;; amdgpu-corpus repo=ggml-org/llama.cpp kind=compiled arch=gfx1250 opt=O3
	.amdgcn_target "amdgcn-amd-amdhsa--gfx1250"
	.amdhsa_code_object_version 6
	.section	.text._ZL15flash_attn_tileILi64ELi64ELi8ELi8ELb0EEvPKcS1_S1_S1_S1_PKiPfP15HIP_vector_typeIfLj2EEffffjfiS5_IjLj3EEiiiiiiiiiiiliiliiiiil,"axG",@progbits,_ZL15flash_attn_tileILi64ELi64ELi8ELi8ELb0EEvPKcS1_S1_S1_S1_PKiPfP15HIP_vector_typeIfLj2EEffffjfiS5_IjLj3EEiiiiiiiiiiiliiliiiiil,comdat
	.globl	_ZL15flash_attn_tileILi64ELi64ELi8ELi8ELb0EEvPKcS1_S1_S1_S1_PKiPfP15HIP_vector_typeIfLj2EEffffjfiS5_IjLj3EEiiiiiiiiiiiliiliiiiil ; -- Begin function _ZL15flash_attn_tileILi64ELi64ELi8ELi8ELb0EEvPKcS1_S1_S1_S1_PKiPfP15HIP_vector_typeIfLj2EEffffjfiS5_IjLj3EEiiiiiiiiiiiliiliiiiil
	.p2align	8
	.type	_ZL15flash_attn_tileILi64ELi64ELi8ELi8ELb0EEvPKcS1_S1_S1_S1_PKiPfP15HIP_vector_typeIfLj2EEffffjfiS5_IjLj3EEiiiiiiiiiiiliiliiiiil,@function
_ZL15flash_attn_tileILi64ELi64ELi8ELi8ELb0EEvPKcS1_S1_S1_S1_PKiPfP15HIP_vector_typeIfLj2EEffffjfiS5_IjLj3EEiiiiiiiiiiiliiliiiiil: ; @_ZL15flash_attn_tileILi64ELi64ELi8ELi8ELb0EEvPKcS1_S1_S1_S1_PKiPfP15HIP_vector_typeIfLj2EEffffjfiS5_IjLj3EEiiiiiiiiiiiliiliiiiil
; %bb.0:
	s_clause 0x1
	s_load_b128 s[20:23], s[0:1], 0x5c
	s_load_b64 s[30:31], s[0:1], 0x80
	s_bfe_u32 s5, ttmp6, 0x40014
	s_lshr_b32 s4, ttmp7, 16
	s_add_co_i32 s5, s5, 1
	s_bfe_u32 s6, ttmp6, 0x40008
	s_mul_i32 s5, s4, s5
	s_getreg_b32 s27, hwreg(HW_REG_IB_STS2, 6, 4)
	s_add_co_i32 s6, s6, s5
	s_load_b64 s[38:39], s[0:1], 0xb8
	s_mov_b32 s37, 0
	s_mov_b64 s[34:35], 0
	s_wait_kmcnt 0x0
	s_ashr_i32 s2, s23, 31
	s_delay_alu instid0(SALU_CYCLE_1) | instskip(NEXT) | instid1(SALU_CYCLE_1)
	s_lshr_b32 s2, s2, 29
	s_add_co_i32 s2, s23, s2
	s_delay_alu instid0(SALU_CYCLE_1) | instskip(NEXT) | instid1(SALU_CYCLE_1)
	s_ashr_i32 s2, s2, 3
	s_cvt_f32_u32 s3, s2
	s_sub_co_i32 s7, 0, s2
	s_delay_alu instid0(SALU_CYCLE_2) | instskip(SKIP_1) | instid1(TRANS32_DEP_1)
	v_rcp_iflag_f32_e32 v1, s3
	v_nop
	v_readfirstlane_b32 s3, v1
	s_mul_f32 s3, s3, 0x4f7ffffe
	s_delay_alu instid0(SALU_CYCLE_3) | instskip(NEXT) | instid1(SALU_CYCLE_3)
	s_cvt_u32_f32 s3, s3
	s_mul_i32 s7, s7, s3
	s_delay_alu instid0(SALU_CYCLE_1) | instskip(NEXT) | instid1(SALU_CYCLE_1)
	s_mul_hi_u32 s7, s3, s7
	s_add_co_i32 s3, s3, s7
	s_cmp_eq_u32 s27, 0
	s_cselect_b32 s4, s4, s6
	s_delay_alu instid0(SALU_CYCLE_1) | instskip(NEXT) | instid1(SALU_CYCLE_1)
	s_mul_hi_u32 s3, s4, s3
	s_mul_i32 s5, s3, s2
	s_add_co_i32 s6, s3, 1
	s_sub_co_i32 s5, s4, s5
	s_delay_alu instid0(SALU_CYCLE_1)
	s_sub_co_i32 s7, s5, s2
	s_cmp_ge_u32 s5, s2
	s_cselect_b32 s3, s6, s3
	s_cselect_b32 s5, s7, s5
	s_add_co_i32 s6, s3, 1
	s_cmp_ge_u32 s5, s2
	s_cselect_b32 s28, s6, s3
	s_abs_i32 s3, s31
	s_lshl_b32 s4, s4, 3
	s_cvt_f32_u32 s2, s3
	s_sub_co_i32 s5, 0, s3
	s_mul_i32 s6, s28, s23
	s_abs_i32 s7, s23
	v_rcp_iflag_f32_e32 v1, s2
	v_nop
	s_delay_alu instid0(TRANS32_DEP_1) | instskip(SKIP_1) | instid1(SALU_CYCLE_3)
	v_readfirstlane_b32 s2, v1
	s_mul_f32 s2, s2, 0x4f7ffffe
	s_cvt_u32_f32 s2, s2
	s_delay_alu instid0(SALU_CYCLE_3) | instskip(NEXT) | instid1(SALU_CYCLE_1)
	s_mul_i32 s5, s5, s2
	s_mul_hi_u32 s5, s2, s5
	s_delay_alu instid0(SALU_CYCLE_1)
	s_add_co_i32 s5, s2, s5
	s_sub_co_i32 s2, s4, s6
	s_mul_hi_u32 s4, s7, s5
	s_xor_b32 s5, s23, s31
	s_mul_i32 s6, s4, s3
	s_ashr_i32 s24, s5, 31
	s_sub_co_i32 s5, s7, s6
	s_add_co_i32 s6, s4, 1
	s_sub_co_i32 s7, s5, s3
	s_cmp_ge_u32 s5, s3
	s_cselect_b32 s4, s6, s4
	s_cselect_b32 s5, s7, s5
	s_add_co_i32 s6, s4, 1
	s_cmp_ge_u32 s5, s3
	s_cselect_b32 s3, s6, s4
	s_load_b512 s[4:19], s[0:1], 0x0
	s_xor_b32 s3, s3, s24
	s_delay_alu instid0(SALU_CYCLE_1) | instskip(NEXT) | instid1(SALU_CYCLE_1)
	s_sub_co_i32 s29, s3, s24
	s_abs_i32 s3, s29
	s_delay_alu instid0(SALU_CYCLE_1) | instskip(NEXT) | instid1(SALU_CYCLE_3)
	s_cvt_f32_u32 s24, s3
	v_rcp_iflag_f32_e32 v1, s24
	v_nop
	s_delay_alu instid0(TRANS32_DEP_1)
	v_readfirstlane_b32 s36, v1
	s_wait_kmcnt 0x0
	s_cmp_eq_u64 s[10:11], 0
	s_cbranch_scc1 .LBB0_2
; %bb.1:
	s_abs_i32 s26, s38
	s_abs_i32 s31, s28
	s_cvt_f32_u32 s24, s26
	s_sub_co_i32 s25, 0, s26
	s_delay_alu instid0(SALU_CYCLE_2) | instskip(SKIP_1) | instid1(TRANS32_DEP_1)
	v_rcp_iflag_f32_e32 v1, s24
	v_nop
	v_readfirstlane_b32 s24, v1
	s_mul_f32 s24, s24, 0x4f7ffffe
	s_delay_alu instid0(SALU_CYCLE_3) | instskip(NEXT) | instid1(SALU_CYCLE_3)
	s_cvt_u32_f32 s24, s24
	s_mul_i32 s25, s25, s24
	s_delay_alu instid0(SALU_CYCLE_1) | instskip(NEXT) | instid1(SALU_CYCLE_1)
	s_mul_hi_u32 s25, s24, s25
	s_add_co_i32 s24, s24, s25
	s_delay_alu instid0(SALU_CYCLE_1) | instskip(SKIP_2) | instid1(SALU_CYCLE_1)
	s_mul_hi_u32 s33, s31, s24
	s_load_b64 s[24:25], s[0:1], 0xc8
	s_mul_i32 s33, s33, s26
	s_sub_co_i32 s31, s31, s33
	s_ashr_i32 s33, s28, 31
	s_sub_co_i32 s34, s31, s26
	s_cmp_ge_u32 s31, s26
	s_cselect_b32 s31, s34, s31
	s_delay_alu instid0(SALU_CYCLE_1) | instskip(SKIP_2) | instid1(SALU_CYCLE_1)
	s_sub_co_i32 s34, s31, s26
	s_cmp_ge_u32 s31, s26
	s_cselect_b32 s26, s34, s31
	s_xor_b32 s26, s26, s33
	s_delay_alu instid0(SALU_CYCLE_1) | instskip(NEXT) | instid1(SALU_CYCLE_1)
	s_sub_co_i32 s34, s26, s33
	s_ashr_i32 s35, s34, 31
	s_wait_kmcnt 0x0
	s_mul_u64 s[24:25], s[24:25], s[34:35]
	s_delay_alu instid0(SALU_CYCLE_1)
	s_add_nc_u64 s[34:35], s[10:11], s[24:25]
.LBB0_2:
	s_bfe_u32 s10, ttmp6, 0x4000c
	v_bfe_u32 v6, v0, 10, 10
	s_add_co_i32 s10, s10, 1
	s_and_b32 s11, ttmp6, 15
	s_mul_i32 s10, ttmp9, s10
	v_and_b32_e32 v122, 0x3ff, v0
	s_add_co_i32 s11, s11, s10
	s_cmp_eq_u32 s27, 0
	v_dual_mov_b32 v1, 0 :: v_dual_lshlrev_b32 v170, 1, v6
	v_lshlrev_b32_e32 v0, 4, v6
	s_cselect_b32 s10, ttmp9, s11
	s_load_b96 s[24:26], s[0:1], 0x70
	s_lshl_b32 s33, s10, 3
	s_delay_alu instid0(VALU_DEP_1) | instskip(SKIP_3) | instid1(VALU_DEP_4)
	v_dual_mov_b32 v5, v1 :: v_dual_bitop2_b32 v46, 11, v0 bitop3:0x54
	v_dual_add_nc_u32 v171, s33, v170 :: v_dual_mov_b32 v3, v1
	v_dual_mov_b32 v11, v1 :: v_dual_bitop2_b32 v7, 8, v0 bitop3:0x54
	v_or_b32_e32 v44, 9, v0
	v_dual_lshrrev_b32 v146, 3, v46 :: v_dual_bitop2_b32 v45, 10, v0 bitop3:0x54
	s_delay_alu instid0(VALU_DEP_4) | instskip(NEXT) | instid1(VALU_DEP_3)
	v_mul_hi_u32 v4, v171, s20
	v_dual_lshrrev_b32 v168, 3, v7 :: v_dual_lshrrev_b32 v166, 3, v44
	s_delay_alu instid0(VALU_DEP_3) | instskip(NEXT) | instid1(VALU_DEP_4)
	v_dual_add_nc_u32 v147, s33, v146 :: v_dual_bitop2_b32 v50, 15, v0 bitop3:0x54
	v_dual_lshrrev_b32 v164, 3, v45 :: v_dual_bitop2_b32 v47, 12, v0 bitop3:0x54
	v_or_b32_e32 v48, 13, v0
	s_delay_alu instid0(VALU_DEP_3) | instskip(NEXT) | instid1(VALU_DEP_4)
	v_dual_lshrrev_b32 v138, 3, v50 :: v_dual_bitop2_b32 v49, 14, v0 bitop3:0x54
	v_mul_hi_u32 v14, v147, s20
	v_dual_add_nc_u32 v0, v171, v4 :: v_dual_add_nc_u32 v167, s33, v166
	s_delay_alu instid0(VALU_DEP_3) | instskip(NEXT) | instid1(VALU_DEP_2)
	v_dual_add_nc_u32 v165, s33, v164 :: v_dual_add_nc_u32 v139, s33, v138
	v_dual_lshrrev_b32 v140, 3, v49 :: v_dual_lshrrev_b32 v0, s21, v0
	v_dual_lshrrev_b32 v144, 3, v47 :: v_dual_lshrrev_b32 v142, 3, v48
	v_add_nc_u32_e32 v169, s33, v168
	s_delay_alu instid0(VALU_DEP_4)
	v_mul_hi_u32 v18, v139, s20
	v_add_nc_u32_e32 v14, v147, v14
	v_mul_hi_u32 v10, v165, s20
	v_dual_add_nc_u32 v145, s33, v144 :: v_dual_add_nc_u32 v143, s33, v142
	v_mul_hi_u32 v4, v169, s20
	v_add_nc_u32_e32 v141, s33, v140
	v_mul_hi_u32 v8, v167, s20
	v_mul_lo_u32 v0, v0, s22
	v_mul_hi_u32 v16, v143, s20
	s_wait_kmcnt 0x0
	s_mul_i32 s42, s2, s25
	v_add_nc_u32_e32 v18, v139, v18
	v_mul_hi_u32 v17, v141, s20
	v_add_nc_u32_e32 v10, v165, v10
	v_mul_hi_u32 v15, v145, s20
	v_dual_lshrrev_b32 v14, s21, v14 :: v_dual_add_nc_u32 v4, v169, v4
	s_ashr_i32 s45, s25, 31
	v_add_nc_u32_e32 v8, v167, v8
	v_dual_sub_nc_u32 v0, v171, v0 :: v_dual_lshrrev_b32 v10, s21, v10
	v_add_nc_u32_e32 v16, v143, v16
	s_mov_b32 s44, s25
	s_delay_alu instid0(VALU_DEP_3) | instskip(SKIP_2) | instid1(VALU_DEP_2)
	v_dual_add_nc_u32 v17, v141, v17 :: v_dual_lshrrev_b32 v8, s21, v8
	v_dual_add_nc_u32 v15, v145, v15 :: v_dual_lshrrev_b32 v4, s21, v4
	s_ashr_i32 s25, s24, 31
	v_lshrrev_b32_e32 v20, s21, v17
	s_delay_alu instid0(VALU_DEP_3) | instskip(NEXT) | instid1(VALU_DEP_3)
	v_mul_lo_u32 v8, v8, s22
	v_lshrrev_b32_e32 v15, s21, v15
	v_mul_lo_u32 v4, v4, s22
	s_lshr_b64 s[24:25], s[24:25], 2
	v_mul_lo_u32 v19, v14, s22
	v_mul_lo_u32 v10, v10, s22
	v_mul_u64_e32 v[12:13], s[24:25], v[0:1]
	v_dual_lshrrev_b32 v16, s21, v16 :: v_dual_lshrrev_b32 v21, s21, v18
	v_dual_mov_b32 v9, v1 :: v_dual_lshlrev_b32 v2, 3, v122
	v_mul_lo_u32 v18, v15, s22
	v_sub_nc_u32_e32 v8, v167, v8
	v_sub_nc_u32_e32 v4, v169, v4
	v_mul_lo_u32 v22, v16, s22
	v_mul_lo_u32 v24, v20, s22
	;; [unrolled: 1-line block ×3, first 2 shown]
	v_sub_nc_u32_e32 v16, v147, v19
	v_mul_u64_e32 v[4:5], s[24:25], v[4:5]
	v_sub_nc_u32_e32 v10, v165, v10
	v_mul_u64_e32 v[8:9], s[24:25], v[8:9]
	v_dual_mov_b32 v17, v1 :: v_dual_mov_b32 v19, v1
	v_dual_mov_b32 v23, v1 :: v_dual_mov_b32 v25, v1
	v_dual_mov_b32 v27, v1 :: v_dual_sub_nc_u32 v22, v143, v22
	v_dual_sub_nc_u32 v24, v141, v24 :: v_dual_sub_nc_u32 v26, v139, v26
	v_lshlrev_b32_e32 v1, 11, v6
	v_sub_nc_u32_e32 v18, v145, v18
	v_mul_u64_e32 v[10:11], s[24:25], v[10:11]
	v_mul_u64_e32 v[16:17], s[24:25], v[16:17]
	;; [unrolled: 1-line block ×6, first 2 shown]
	s_mul_i32 s40, s28, s26
	v_lshlrev_b64_e32 v[12:13], 2, v[12:13]
	s_ashr_i32 s41, s40, 31
	s_ashr_i32 s43, s42, 31
	s_add_nc_u64 s[4:5], s[4:5], s[40:41]
	s_and_b64 s[40:41], s[44:45], -4
	s_add_nc_u64 s[4:5], s[4:5], s[42:43]
	s_lshr_b64 s[46:47], s[44:45], 2
	v_add_nc_u64_e32 v[14:15], s[4:5], v[12:13]
	s_add_nc_u64 s[40:41], s[4:5], s[40:41]
	s_lshl_b64 s[42:43], s[46:47], 3
	s_and_b64 s[44:45], s[44:45], 0x3ffffffffffffffc
	s_add_nc_u64 s[42:43], s[4:5], s[42:43]
	v_lshl_add_u64 v[4:5], v[4:5], 2, s[4:5]
	s_lshl_b64 s[44:45], s[44:45], 2
	v_lshl_add_u64 v[8:9], v[8:9], 2, s[40:41]
	v_add_nc_u64_e32 v[14:15], v[14:15], v[2:3]
	s_mul_u64 s[48:49], s[46:47], 20
	v_add_nc_u64_e32 v[4:5], v[4:5], v[2:3]
	v_add_nc_u64_e32 v[20:21], s[40:41], v[12:13]
	;; [unrolled: 1-line block ×3, first 2 shown]
	s_mul_u64 s[24:25], s[46:47], 12
	s_add_nc_u64 s[40:41], s[4:5], s[44:45]
	s_add_nc_u64 s[44:45], s[4:5], s[48:49]
	s_mul_u64 s[48:49], s[46:47], 24
	s_mul_u64 s[46:47], s[46:47], 28
	v_lshl_add_u64 v[10:11], v[10:11], 2, s[42:43]
	s_add_nc_u64 s[24:25], s[4:5], s[24:25]
	s_add_nc_u64 s[48:49], s[4:5], s[48:49]
	;; [unrolled: 1-line block ×3, first 2 shown]
	v_add_nc_u64_e32 v[28:29], s[42:43], v[12:13]
	global_load_b64 v[14:15], v[14:15], off
	v_add_nc_u64_e32 v[30:31], s[24:25], v[12:13]
	v_lshl_add_u64 v[16:17], v[16:17], 2, s[24:25]
	s_clause 0x1
	global_load_b64 v[32:33], v[4:5], off
	global_load_b64 v[34:35], v[8:9], off
	s_wait_xcnt 0x1
	v_lshl_add_u64 v[4:5], v[18:19], 2, s[40:41]
	v_lshl_add_u64 v[18:19], v[24:25], 2, s[48:49]
	v_add_nc_u64_e32 v[24:25], s[40:41], v[12:13]
	s_wait_xcnt 0x0
	v_add_nc_u64_e32 v[8:9], v[10:11], v[2:3]
	v_lshl_add_u64 v[10:11], v[22:23], 2, s[44:45]
	v_lshl_add_u64 v[22:23], v[26:27], 2, s[4:5]
	v_add_nc_u64_e32 v[26:27], s[44:45], v[12:13]
	v_add_nc_u64_e32 v[36:37], s[48:49], v[12:13]
	;; [unrolled: 1-line block ×15, first 2 shown]
	s_clause 0xc
	global_load_b64 v[8:9], v[8:9], off
	global_load_b64 v[16:17], v[16:17], off
	;; [unrolled: 1-line block ×13, first 2 shown]
	s_load_b32 s4, s[0:1], 0x40
	v_lshl_add_u32 v2, v122, 2, 0x4400
	s_cmp_eq_u64 s[14:15], 0
	s_delay_alu instid0(VALU_DEP_1)
	v_lshl_add_u32 v7, v7, 7, v2
	v_lshl_add_u32 v24, v44, 7, v2
	;; [unrolled: 1-line block ×7, first 2 shown]
	s_wait_loadcnt 0xf
	s_wait_kmcnt 0x0
	v_fma_mixlo_f16 v14, s4, v14, 0
	v_fma_mixlo_f16 v15, s4, v15, 0
	s_wait_loadcnt 0xe
	v_fma_mixlo_f16 v32, s4, v32, 0
	v_fma_mixlo_f16 v33, s4, v33, 0
	s_wait_loadcnt 0xd
	v_fma_mixlo_f16 v34, s4, v34, 0
	v_fma_mixlo_f16 v35, s4, v35, 0
	v_and_b32_e32 v14, 0xffff, v14
	v_and_b32_e32 v32, 0xffff, v32
	v_lshlrev_b32_e32 v33, 16, v33
	v_and_b32_e32 v34, 0xffff, v34
	v_add_nc_u32_e32 v3, v2, v1
	v_lshl_add_u32 v2, v50, 7, v2
	s_delay_alu instid0(VALU_DEP_4)
	v_or_b32_e32 v32, v33, v32
	s_wait_loadcnt 0xc
	v_fma_mixlo_f16 v8, s4, v8, 0
	v_fma_mixlo_f16 v9, s4, v9, 0
	s_wait_loadcnt 0xb
	v_fma_mixlo_f16 v16, s4, v16, 0
	v_fma_mixlo_f16 v17, s4, v17, 0
	;; [unrolled: 3-line block ×3, first 2 shown]
	v_fma_mixlo_f16 v10, s4, v10, 0
	v_fma_mixlo_f16 v11, s4, v11, 0
	s_wait_loadcnt 0x8
	v_fma_mixlo_f16 v18, s4, v18, 0
	v_fma_mixlo_f16 v19, s4, v19, 0
	s_wait_loadcnt 0x7
	;; [unrolled: 3-line block ×3, first 2 shown]
	v_fma_mixlo_f16 v20, s4, v20, 0
	v_fma_mixlo_f16 v21, s4, v21, 0
	v_fma_mixlo_f16 v28, s4, v28, 0
	v_fma_mixlo_f16 v29, s4, v29, 0
	s_wait_loadcnt 0x4
	v_fma_mixlo_f16 v30, s4, v30, 0
	v_fma_mixlo_f16 v31, s4, v31, 0
	s_wait_loadcnt 0x3
	v_fma_mixlo_f16 v12, s4, v12, 0
	v_fma_mixlo_f16 v13, s4, v13, 0
	;; [unrolled: 3-line block ×5, first 2 shown]
	v_dual_lshlrev_b32 v35, 16, v35 :: v_dual_lshlrev_b32 v9, 16, v9
	v_and_b32_e32 v8, 0xffff, v8
	v_dual_lshlrev_b32 v17, 16, v17 :: v_dual_lshlrev_b32 v11, 16, v11
	v_and_b32_e32 v16, 0xffff, v16
	;; [unrolled: 2-line block ×3, first 2 shown]
	v_and_b32_e32 v10, 0xffff, v10
	v_and_b32_e32 v18, 0xffff, v18
	v_dual_lshlrev_b32 v23, 16, v23 :: v_dual_lshlrev_b32 v21, 16, v21
	v_and_b32_e32 v22, 0xffff, v22
	v_dual_lshlrev_b32 v15, 16, v15 :: v_dual_lshlrev_b32 v29, 16, v29
	v_and_b32_e32 v20, 0xffff, v20
	v_and_b32_e32 v28, 0xffff, v28
	v_dual_lshlrev_b32 v31, 16, v31 :: v_dual_lshlrev_b32 v13, 16, v13
	v_and_b32_e32 v30, 0xffff, v30
	;; [unrolled: 3-line block ×3, first 2 shown]
	v_and_b32_e32 v40, 0xffff, v40
	v_lshlrev_b32_e32 v43, 16, v43
	v_and_b32_e32 v42, 0xffff, v42
	v_or_b32_e32 v33, v35, v34
	v_or_b32_e32 v8, v9, v8
	v_or_b32_e32 v9, v17, v16
	v_or_b32_e32 v4, v5, v4
	v_or_b32_e32 v5, v11, v10
	v_or_b32_e32 v10, v19, v18
	v_or_b32_e32 v11, v23, v22
	v_or_b32_e32 v14, v15, v14
	v_or_b32_e32 v15, v21, v20
	v_or_b32_e32 v16, v29, v28
	v_or_b32_e32 v17, v31, v30
	v_or_b32_e32 v12, v13, v12
	v_or_b32_e32 v13, v39, v38
	v_or_b32_e32 v18, v41, v40
	v_or_b32_e32 v19, v43, v42
	ds_store_b32 v7, v32
	ds_store_b32 v24, v33
	ds_store_b32 v25, v8
	ds_store_b32 v26, v9
	ds_store_b32 v27, v4
	ds_store_b32 v36, v5
	ds_store_b32 v37, v10
	ds_store_b32 v2, v11
	ds_store_2addr_b32 v3, v14, v15 offset1:32
	ds_store_2addr_b32 v3, v16, v17 offset0:64 offset1:96
	ds_store_2addr_b32 v3, v12, v13 offset0:128 offset1:160
	ds_store_2addr_b32 v3, v18, v19 offset0:192 offset1:224
	s_wait_dscnt 0x0
	s_barrier_signal -1
	s_barrier_wait -1
	s_cbranch_scc1 .LBB0_4
; %bb.3:
	s_load_b32 s4, s[0:1], 0xd0
	s_wait_kmcnt 0x0
	s_mul_i32 s4, s4, s28
	s_delay_alu instid0(SALU_CYCLE_1)
	s_add_co_i32 s4, s4, s10
	s_load_b32 s30, s[14:15], s4 offset:0x0 scale_offset
.LBB0_4:
	s_wait_xcnt 0x0
	s_bfe_u32 s4, ttmp6, 0x40010
	s_and_b32 s5, ttmp7, 0xffff
	s_add_co_i32 s4, s4, 1
	s_bfe_u32 s10, ttmp6, 0x40004
	s_mul_i32 s4, s5, s4
	v_mbcnt_lo_u32_b32 v129, -1, 0
	s_add_co_i32 s10, s10, s4
	s_cmp_eq_u32 s27, 0
	s_cselect_b32 s31, s5, s10
	s_mov_b32 s5, 0
	s_lshl_b32 s4, s31, 6
	s_wait_kmcnt 0x0
	s_cmp_lt_i32 s4, s30
	s_cbranch_scc1 .LBB0_7
; %bb.5:
	v_mbcnt_lo_u32_b32 v18, -1, 0
	s_delay_alu instid0(VALU_DEP_1)
	v_dual_mov_b32 v51, 32 :: v_dual_bitop2_b32 v131, 16, v18 bitop3:0x14
	v_xor_b32_e32 v130, 8, v18
	v_xor_b32_e32 v128, 4, v18
	;; [unrolled: 1-line block ×4, first 2 shown]
	s_and_not1_b32 vcc_lo, exec_lo, s5
	s_cbranch_vccz .LBB0_8
; %bb.6:
	v_dual_mov_b32 v0, 0xfeffffff :: v_dual_mov_b32 v73, 0
	v_dual_mov_b32 v161, 0 :: v_dual_mov_b32 v160, 0
	;; [unrolled: 1-line block ×3, first 2 shown]
	s_delay_alu instid0(VALU_DEP_3)
	v_dual_mov_b32 v1, v0 :: v_dual_mov_b32 v2, v0
	v_dual_mov_b32 v3, v0 :: v_dual_mov_b32 v4, v0
	;; [unrolled: 1-line block ×21, first 2 shown]
	s_branch .LBB0_11
.LBB0_7:
                                        ; implicit-def: $vgpr18
                                        ; implicit-def: $vgpr51
                                        ; implicit-def: $vgpr131
                                        ; implicit-def: $vgpr130
                                        ; implicit-def: $vgpr128
                                        ; implicit-def: $vgpr127
                                        ; implicit-def: $vgpr126
.LBB0_8:
	v_mov_b32_e32 v89, 0
	v_add3_u32 v88, s33, v170, 1
	s_mov_b32 s40, s20
	s_mov_b32 s41, s37
	s_clause 0x10
	scratch_store_b32 off, v171, off offset:72
	scratch_store_b32 off, v169, off offset:64
	;; [unrolled: 1-line block ×17, first 2 shown]
	s_clause 0x1
	s_load_b128 s[24:27], s[0:1], 0x98
	s_load_b64 s[14:15], s[0:1], 0x8c
	v_mul_u64_e32 v[2:3], s[40:41], v[88:89]
	s_mul_f32 s5, s36, 0x4f7ffffe
	s_sub_co_i32 s10, 0, s3
	v_lshrrev_b32_e32 v2, 3, v122
	s_abs_i32 s36, s2
	s_cvt_u32_f32 s5, s5
	s_mov_b32 s11, s37
	s_ashr_i32 s38, s2, 31
	v_lshl_add_u32 v4, v6, 2, v2
	s_mul_i32 s10, s10, s5
	s_ashr_i32 s44, s29, 31
	s_mul_hi_u32 s10, s5, s10
	s_ashr_i32 s29, s28, 31
	s_add_co_i32 s10, s5, s10
	s_ashr_i32 s5, s39, 1
	s_mul_u64 s[10:11], s[36:37], s[10:11]
	v_lshlrev_b32_e32 v132, 2, v122
	s_mul_i32 s20, s11, s3
	s_wait_kmcnt 0x0
	s_ashr_i32 s10, s26, 2
	s_ashr_i32 s14, s14, 2
	s_sub_co_i32 s20, s36, s20
	v_mul_lo_u32 v90, s14, v4
	s_xor_b32 s26, s38, s44
	s_add_co_i32 s36, s11, 1
	s_sub_co_i32 s37, s20, s3
	s_cmp_ge_u32 s20, s3
	v_mul_lo_u32 v94, s10, v4
	s_cselect_b32 s11, s36, s11
	s_cselect_b32 s20, s37, s20
	s_add_co_i32 s36, s11, 1
	s_cmp_ge_u32 s20, s3
	s_load_b64 s[42:43], s[0:1], 0xa8
	v_add_nc_u32_e32 v3, v88, v3
	s_cselect_b32 s3, s36, s11
	s_lshl_b32 s11, s14, 4
	s_delay_alu instid0(SALU_CYCLE_1) | instskip(NEXT) | instid1(VALU_DEP_2)
	v_dual_add_nc_u32 v92, s11, v90 :: v_dual_bitop2_b32 v2, 28, v132 bitop3:0x40
	v_lshrrev_b32_e32 v3, s21, v3
	s_xor_b32 s3, s3, s26
	v_ashrrev_i32_e32 v91, 31, v90
	s_delay_alu instid0(VALU_DEP_3) | instskip(NEXT) | instid1(VALU_DEP_3)
	v_dual_lshlrev_b32 v5, 2, v2 :: v_dual_add_nc_u32 v96, s11, v92
	v_mul_lo_u32 v3, v3, s22
	s_sub_co_i32 s3, s3, s26
	v_mul_lo_u32 v0, v0, s5
	s_mul_i32 s36, s3, s15
	s_mul_i32 s20, s3, s27
	s_lshl_b32 s3, s10, 4
	v_dual_add_nc_u32 v98, s11, v96 :: v_dual_ashrrev_i32 v97, 31, v96
	v_dual_ashrrev_i32 v93, 31, v92 :: v_dual_add_nc_u32 v100, s3, v94
	v_dual_mov_b32 v87, v89 :: v_dual_add_nc_u32 v134, 0x4400, v1
	s_delay_alu instid0(VALU_DEP_3) | instskip(NEXT) | instid1(VALU_DEP_3)
	v_dual_ashrrev_i32 v99, 31, v98 :: v_dual_sub_nc_u32 v3, v88, v3
	v_add_nc_u32_e32 v102, s3, v100
	v_dual_mov_b32 v86, v89 :: v_dual_add_nc_u32 v139, 0x2400, v1
	v_lshlrev_b32_e32 v1, 4, v122
	s_delay_alu instid0(VALU_DEP_4) | instskip(NEXT) | instid1(VALU_DEP_4)
	v_mul_lo_u32 v137, v3, s5
	v_dual_add_nc_u32 v104, s3, v102 :: v_dual_ashrrev_i32 v101, 31, v100
	s_mul_u64 s[24:25], s[24:25], s[28:29]
	s_clause 0x1
	scratch_store_b32 off, v170, off offset:68
	scratch_store_b32 off, v0, off
	s_add_nc_u64 s[6:7], s[6:7], s[24:25]
	s_wait_kmcnt 0x0
	s_mul_u64 s[24:25], s[42:43], s[28:29]
	v_mad_u32_u24 v133, 0x90, v4, v5
	v_mul_u32_u24_e32 v135, 0x90, v122
	v_lshl_or_b32 v138, v4, 7, v5
	v_dual_ashrrev_i32 v95, 31, v94 :: v_dual_ashrrev_i32 v105, 31, v104
	s_wait_xcnt 0x0
	v_dual_mov_b32 v0, 0xfeffffff :: v_dual_ashrrev_i32 v103, 31, v102
	v_dual_lshlrev_b32 v88, 2, v2 :: v_dual_bitop2_b32 v131, 16, v129 bitop3:0x14
	v_dual_mov_b32 v84, v89 :: v_dual_bitop2_b32 v130, 8, v129 bitop3:0x14
	v_dual_mov_b32 v85, v89 :: v_dual_bitop2_b32 v128, 4, v129 bitop3:0x14
	;; [unrolled: 1-line block ×4, first 2 shown]
	v_dual_mov_b32 v1, 0xfeffffff :: v_dual_add_nc_u32 v140, v139, v1
	v_dual_mov_b32 v80, v89 :: v_dual_add_nc_u32 v141, 0x400, v132
	;; [unrolled: 1-line block ×3, first 2 shown]
	v_dual_mov_b32 v2, 0xfeffffff :: v_dual_mov_b32 v3, 0xfeffffff
	v_dual_mov_b32 v4, 0xfeffffff :: v_dual_mov_b32 v5, 0xfeffffff
	v_dual_mov_b32 v6, 0xfeffffff :: v_dual_mov_b32 v7, 0xfeffffff
	v_dual_mov_b32 v8, 0xfeffffff :: v_dual_mov_b32 v9, 0xfeffffff
	v_dual_mov_b32 v10, 0xfeffffff :: v_dual_mov_b32 v11, 0xfeffffff
	v_dual_mov_b32 v12, 0xfeffffff :: v_dual_mov_b32 v13, 0xfeffffff
	v_dual_mov_b32 v14, 0xfeffffff :: v_dual_mov_b32 v15, 0xfeffffff
	v_dual_mov_b32 v78, v89 :: v_dual_mov_b32 v79, v89
	v_dual_mov_b32 v76, v89 :: v_dual_mov_b32 v77, v89
	v_dual_mov_b32 v74, v89 :: v_dual_mov_b32 v75, v89
	v_dual_mov_b32 v72, v89 :: v_dual_mov_b32 v73, v89
	v_dual_mov_b32 v148, v89 :: v_dual_add_nc_u32 v143, 0xc00, v132
	v_dual_mov_b32 v149, v89 :: v_dual_add_nc_u32 v144, 0x1000, v132
	;; [unrolled: 1-line block ×5, first 2 shown]
	v_dual_mov_b32 v153, v89 :: v_dual_mov_b32 v154, v89
	v_dual_mov_b32 v155, v89 :: v_dual_mov_b32 v156, v89
	;; [unrolled: 1-line block ×5, first 2 shown]
	v_mov_b32_e32 v163, v89
	s_ashr_i32 s37, s36, 31
	s_add_nc_u64 s[8:9], s[8:9], s[24:25]
	s_ashr_i32 s21, s20, 31
	s_add_nc_u64 s[6:7], s[6:7], s[36:37]
	s_add_nc_u64 s[8:9], s[8:9], s[20:21]
	s_ashr_i32 s15, s14, 31
	s_ashr_i32 s11, s10, 31
	s_add_nc_u64 s[20:21], s[0:1], 0xd0
.LBB0_9:                                ; =>This Inner Loop Header: Depth=1
	s_ashr_i32 s5, s4, 31
	v_dual_mov_b32 v178, v1 :: v_dual_mov_b32 v179, v0
	s_mul_u64 s[24:25], s[4:5], s[14:15]
	v_dual_mov_b32 v176, v3 :: v_dual_mov_b32 v177, v2
	s_lshl_b64 s[24:25], s[24:25], 2
	v_dual_mov_b32 v174, v5 :: v_dual_mov_b32 v175, v4
	s_add_nc_u64 s[24:25], s[6:7], s[24:25]
	v_dual_mov_b32 v189, 0 :: v_dual_add_nc_u32 v4, 0x900, v133
	v_lshl_add_u64 v[0:1], v[90:91], 2, s[24:25]
	v_dual_mov_b32 v164, v15 :: v_dual_mov_b32 v165, v14
	v_dual_mov_b32 v166, v13 :: v_dual_mov_b32 v167, v12
	s_delay_alu instid0(VALU_DEP_3)
	v_add_nc_u64_e32 v[0:1], v[0:1], v[88:89]
	v_dual_mov_b32 v168, v11 :: v_dual_mov_b32 v169, v10
	v_dual_mov_b32 v170, v9 :: v_dual_mov_b32 v171, v8
	v_dual_mov_b32 v172, v7 :: v_dual_mov_b32 v173, v6
	global_load_b128 v[0:3], v[0:1], off
	v_dual_mov_b32 v188, 0 :: v_dual_mov_b32 v190, 0
	v_dual_mov_b32 v106, 0 :: v_dual_mov_b32 v108, 0
	;; [unrolled: 1-line block ×14, first 2 shown]
	v_mov_b32_e32 v114, 0
	v_cmp_gt_i32_e32 vcc_lo, 32, v131
	v_dual_mov_b32 v191, 0 :: v_dual_mov_b32 v187, 0
	s_wait_loadcnt 0x0
	ds_store_b128 v133, v[0:3]
	s_wait_xcnt 0x0
	v_lshl_add_u64 v[0:1], v[92:93], 2, s[24:25]
	s_delay_alu instid0(VALU_DEP_1)
	v_add_nc_u64_e32 v[0:1], v[0:1], v[88:89]
	global_load_b128 v[0:3], v[0:1], off
	s_wait_loadcnt 0x0
	ds_store_b128 v4, v[0:3]
	s_wait_xcnt 0x0
	v_lshl_add_u64 v[0:1], v[96:97], 2, s[24:25]
	v_add_nc_u32_e32 v4, 0x1200, v133
	s_delay_alu instid0(VALU_DEP_2)
	v_add_nc_u64_e32 v[0:1], v[0:1], v[88:89]
	global_load_b128 v[0:3], v[0:1], off
	s_wait_loadcnt 0x0
	ds_store_b128 v4, v[0:3]
	s_wait_xcnt 0x0
	v_lshl_add_u64 v[0:1], v[98:99], 2, s[24:25]
	v_add_nc_u32_e32 v4, 0x1b00, v133
	s_mul_u64 s[24:25], s[4:5], s[10:11]
	s_delay_alu instid0(SALU_CYCLE_1) | instskip(NEXT) | instid1(VALU_DEP_2)
	s_lshl_b64 s[24:25], s[24:25], 2
	v_add_nc_u64_e32 v[0:1], v[0:1], v[88:89]
	s_add_nc_u64 s[24:25], s[8:9], s[24:25]
	global_load_b128 v[0:3], v[0:1], off
	s_wait_loadcnt 0x0
	ds_store_b128 v4, v[0:3]
	s_wait_storecnt_dscnt 0x0
	s_barrier_signal -1
	s_barrier_wait -1
	ds_load_b128 v[68:71], v135
	s_wait_xcnt 0x0
	ds_load_b128 v[0:3], v135 offset:4608
	ds_load_b128 v[64:67], v134
	ds_load_b128 v[60:63], v134 offset:128
	ds_load_b128 v[56:59], v134 offset:256
	;; [unrolled: 1-line block ×15, first 2 shown]
	s_wait_dscnt 0xf
	;;#ASMSTART
	v_dot2_f32_f16 v188, v68, v64, v188
	;;#ASMEND
	;;#ASMSTART
	v_dot2_f32_f16 v188, v69, v65, v188
	;;#ASMEND
	;;#ASMSTART
	v_dot2_f32_f16 v188, v70, v66, v188
	;;#ASMEND
	;;#ASMSTART
	v_dot2_f32_f16 v188, v71, v67, v188
	;;#ASMEND
	s_wait_dscnt 0xe
	;;#ASMSTART
	v_dot2_f32_f16 v189, v68, v60, v189
	;;#ASMEND
	;;#ASMSTART
	v_dot2_f32_f16 v189, v69, v61, v189
	;;#ASMEND
	;;#ASMSTART
	v_dot2_f32_f16 v189, v70, v62, v189
	;;#ASMEND
	;;#ASMSTART
	v_dot2_f32_f16 v189, v71, v63, v189
	;;#ASMEND
	;; [unrolled: 13-line block ×16, first 2 shown]
	;;#ASMSTART
	v_dot2_f32_f16 v113, v0, v64, v113
	;;#ASMEND
	;;#ASMSTART
	v_dot2_f32_f16 v113, v1, v65, v113
	;;#ASMEND
	;; [unrolled: 3-line block ×64, first 2 shown]
	ds_load_b128 v[64:67], v135 offset:16
	ds_load_b128 v[0:3], v135 offset:4624
	;; [unrolled: 1-line block ×18, first 2 shown]
	s_wait_dscnt 0xf
	;;#ASMSTART
	v_dot2_f32_f16 v188, v64, v68, v188
	;;#ASMEND
	;;#ASMSTART
	v_dot2_f32_f16 v188, v65, v69, v188
	;;#ASMEND
	;;#ASMSTART
	v_dot2_f32_f16 v188, v66, v70, v188
	;;#ASMEND
	;;#ASMSTART
	v_dot2_f32_f16 v188, v67, v71, v188
	;;#ASMEND
	s_wait_dscnt 0xe
	;;#ASMSTART
	v_dot2_f32_f16 v189, v64, v60, v189
	;;#ASMEND
	;;#ASMSTART
	v_dot2_f32_f16 v189, v65, v61, v189
	;;#ASMEND
	;;#ASMSTART
	v_dot2_f32_f16 v189, v66, v62, v189
	;;#ASMEND
	;;#ASMSTART
	v_dot2_f32_f16 v189, v67, v63, v189
	;;#ASMEND
	;; [unrolled: 13-line block ×16, first 2 shown]
	;;#ASMSTART
	v_dot2_f32_f16 v113, v0, v68, v113
	;;#ASMEND
	;;#ASMSTART
	v_dot2_f32_f16 v113, v1, v69, v113
	;;#ASMEND
	;; [unrolled: 3-line block ×64, first 2 shown]
	ds_load_b128 v[64:67], v135 offset:32
	ds_load_b128 v[0:3], v135 offset:4640
	;; [unrolled: 1-line block ×18, first 2 shown]
	s_wait_dscnt 0xf
	;;#ASMSTART
	v_dot2_f32_f16 v188, v64, v68, v188
	;;#ASMEND
	;;#ASMSTART
	v_dot2_f32_f16 v188, v65, v69, v188
	;;#ASMEND
	;;#ASMSTART
	v_dot2_f32_f16 v188, v66, v70, v188
	;;#ASMEND
	;;#ASMSTART
	v_dot2_f32_f16 v188, v67, v71, v188
	;;#ASMEND
	s_wait_dscnt 0xe
	;;#ASMSTART
	v_dot2_f32_f16 v189, v64, v60, v189
	;;#ASMEND
	;;#ASMSTART
	v_dot2_f32_f16 v189, v65, v61, v189
	;;#ASMEND
	;;#ASMSTART
	v_dot2_f32_f16 v189, v66, v62, v189
	;;#ASMEND
	;;#ASMSTART
	v_dot2_f32_f16 v189, v67, v63, v189
	;;#ASMEND
	;; [unrolled: 13-line block ×16, first 2 shown]
	;;#ASMSTART
	v_dot2_f32_f16 v113, v0, v68, v113
	;;#ASMEND
	;;#ASMSTART
	v_dot2_f32_f16 v113, v1, v69, v113
	;;#ASMEND
	;; [unrolled: 3-line block ×64, first 2 shown]
	ds_load_b128 v[64:67], v135 offset:48
	ds_load_b128 v[0:3], v135 offset:4656
	;; [unrolled: 1-line block ×18, first 2 shown]
	s_wait_dscnt 0xf
	;;#ASMSTART
	v_dot2_f32_f16 v188, v64, v68, v188
	;;#ASMEND
	;;#ASMSTART
	v_dot2_f32_f16 v188, v65, v69, v188
	;;#ASMEND
	;;#ASMSTART
	v_dot2_f32_f16 v188, v66, v70, v188
	;;#ASMEND
	;;#ASMSTART
	v_dot2_f32_f16 v188, v67, v71, v188
	;;#ASMEND
	s_wait_dscnt 0xe
	;;#ASMSTART
	v_dot2_f32_f16 v189, v64, v60, v189
	;;#ASMEND
	;;#ASMSTART
	v_dot2_f32_f16 v189, v65, v61, v189
	;;#ASMEND
	;;#ASMSTART
	v_dot2_f32_f16 v189, v66, v62, v189
	;;#ASMEND
	;;#ASMSTART
	v_dot2_f32_f16 v189, v67, v63, v189
	;;#ASMEND
	;; [unrolled: 13-line block ×16, first 2 shown]
	;;#ASMSTART
	v_dot2_f32_f16 v113, v0, v68, v113
	;;#ASMEND
	;;#ASMSTART
	v_dot2_f32_f16 v113, v1, v69, v113
	;;#ASMEND
	;; [unrolled: 3-line block ×64, first 2 shown]
	ds_load_b128 v[64:67], v135 offset:64
	ds_load_b128 v[0:3], v135 offset:4672
	;; [unrolled: 1-line block ×18, first 2 shown]
	s_wait_dscnt 0xf
	;;#ASMSTART
	v_dot2_f32_f16 v188, v64, v68, v188
	;;#ASMEND
	;;#ASMSTART
	v_dot2_f32_f16 v188, v65, v69, v188
	;;#ASMEND
	;;#ASMSTART
	v_dot2_f32_f16 v188, v66, v70, v188
	;;#ASMEND
	;;#ASMSTART
	v_dot2_f32_f16 v188, v67, v71, v188
	;;#ASMEND
	s_wait_dscnt 0xe
	;;#ASMSTART
	v_dot2_f32_f16 v189, v64, v60, v189
	;;#ASMEND
	;;#ASMSTART
	v_dot2_f32_f16 v189, v65, v61, v189
	;;#ASMEND
	;;#ASMSTART
	v_dot2_f32_f16 v189, v66, v62, v189
	;;#ASMEND
	;;#ASMSTART
	v_dot2_f32_f16 v189, v67, v63, v189
	;;#ASMEND
	;; [unrolled: 13-line block ×16, first 2 shown]
	;;#ASMSTART
	v_dot2_f32_f16 v113, v0, v68, v113
	;;#ASMEND
	;;#ASMSTART
	v_dot2_f32_f16 v113, v1, v69, v113
	;;#ASMEND
	;; [unrolled: 3-line block ×64, first 2 shown]
	ds_load_b128 v[64:67], v135 offset:80
	ds_load_b128 v[0:3], v135 offset:4688
	;; [unrolled: 1-line block ×18, first 2 shown]
	s_wait_dscnt 0xf
	;;#ASMSTART
	v_dot2_f32_f16 v188, v64, v68, v188
	;;#ASMEND
	;;#ASMSTART
	v_dot2_f32_f16 v188, v65, v69, v188
	;;#ASMEND
	;;#ASMSTART
	v_dot2_f32_f16 v188, v66, v70, v188
	;;#ASMEND
	;;#ASMSTART
	v_dot2_f32_f16 v188, v67, v71, v188
	;;#ASMEND
	s_wait_dscnt 0xe
	;;#ASMSTART
	v_dot2_f32_f16 v189, v64, v60, v189
	;;#ASMEND
	;;#ASMSTART
	v_dot2_f32_f16 v189, v65, v61, v189
	;;#ASMEND
	;;#ASMSTART
	v_dot2_f32_f16 v189, v66, v62, v189
	;;#ASMEND
	;;#ASMSTART
	v_dot2_f32_f16 v189, v67, v63, v189
	;;#ASMEND
	;; [unrolled: 13-line block ×16, first 2 shown]
	;;#ASMSTART
	v_dot2_f32_f16 v113, v0, v68, v113
	;;#ASMEND
	;;#ASMSTART
	v_dot2_f32_f16 v113, v1, v69, v113
	;;#ASMEND
	;; [unrolled: 3-line block ×64, first 2 shown]
	ds_load_b128 v[64:67], v135 offset:96
	ds_load_b128 v[0:3], v135 offset:4704
	;; [unrolled: 1-line block ×18, first 2 shown]
	s_wait_dscnt 0xf
	;;#ASMSTART
	v_dot2_f32_f16 v188, v64, v68, v188
	;;#ASMEND
	;;#ASMSTART
	v_dot2_f32_f16 v188, v65, v69, v188
	;;#ASMEND
	;;#ASMSTART
	v_dot2_f32_f16 v188, v66, v70, v188
	;;#ASMEND
	;;#ASMSTART
	v_dot2_f32_f16 v188, v67, v71, v188
	;;#ASMEND
	s_wait_dscnt 0xe
	;;#ASMSTART
	v_dot2_f32_f16 v189, v64, v60, v189
	;;#ASMEND
	;;#ASMSTART
	v_dot2_f32_f16 v189, v65, v61, v189
	;;#ASMEND
	;;#ASMSTART
	v_dot2_f32_f16 v189, v66, v62, v189
	;;#ASMEND
	;;#ASMSTART
	v_dot2_f32_f16 v189, v67, v63, v189
	;;#ASMEND
	;; [unrolled: 13-line block ×16, first 2 shown]
	;;#ASMSTART
	v_dot2_f32_f16 v113, v0, v68, v113
	;;#ASMEND
	;;#ASMSTART
	v_dot2_f32_f16 v113, v1, v69, v113
	;;#ASMEND
	;;#ASMSTART
	v_dot2_f32_f16 v113, v2, v70, v113
	;;#ASMEND
	;;#ASMSTART
	v_dot2_f32_f16 v113, v3, v71, v113
	;;#ASMEND
	;;#ASMSTART
	v_dot2_f32_f16 v115, v0, v60, v115
	;;#ASMEND
	;;#ASMSTART
	v_dot2_f32_f16 v115, v1, v61, v115
	;;#ASMEND
	;;#ASMSTART
	v_dot2_f32_f16 v115, v2, v62, v115
	;;#ASMEND
	;;#ASMSTART
	v_dot2_f32_f16 v115, v3, v63, v115
	;;#ASMEND
	;;#ASMSTART
	v_dot2_f32_f16 v117, v0, v56, v117
	;;#ASMEND
	;;#ASMSTART
	v_dot2_f32_f16 v117, v1, v57, v117
	;;#ASMEND
	;;#ASMSTART
	v_dot2_f32_f16 v117, v2, v58, v117
	;;#ASMEND
	;;#ASMSTART
	v_dot2_f32_f16 v117, v3, v59, v117
	;;#ASMEND
	;;#ASMSTART
	v_dot2_f32_f16 v119, v0, v52, v119
	;;#ASMEND
	;;#ASMSTART
	v_dot2_f32_f16 v119, v1, v53, v119
	;;#ASMEND
	;;#ASMSTART
	v_dot2_f32_f16 v119, v2, v54, v119
	;;#ASMEND
	;;#ASMSTART
	v_dot2_f32_f16 v119, v3, v55, v119
	;;#ASMEND
	;;#ASMSTART
	v_dot2_f32_f16 v121, v0, v48, v121
	;;#ASMEND
	;;#ASMSTART
	v_dot2_f32_f16 v121, v1, v49, v121
	;;#ASMEND
	;;#ASMSTART
	v_dot2_f32_f16 v121, v2, v50, v121
	;;#ASMEND
	;;#ASMSTART
	v_dot2_f32_f16 v121, v3, v51, v121
	;;#ASMEND
	;;#ASMSTART
	v_dot2_f32_f16 v124, v0, v44, v124
	;;#ASMEND
	;;#ASMSTART
	v_dot2_f32_f16 v124, v1, v45, v124
	;;#ASMEND
	;;#ASMSTART
	v_dot2_f32_f16 v124, v2, v46, v124
	;;#ASMEND
	;;#ASMSTART
	v_dot2_f32_f16 v124, v3, v47, v124
	;;#ASMEND
	;;#ASMSTART
	v_dot2_f32_f16 v125, v0, v40, v125
	;;#ASMEND
	;;#ASMSTART
	v_dot2_f32_f16 v125, v1, v41, v125
	;;#ASMEND
	;;#ASMSTART
	v_dot2_f32_f16 v125, v2, v42, v125
	;;#ASMEND
	;;#ASMSTART
	v_dot2_f32_f16 v125, v3, v43, v125
	;;#ASMEND
	;;#ASMSTART
	v_dot2_f32_f16 v136, v0, v36, v136
	;;#ASMEND
	;;#ASMSTART
	v_dot2_f32_f16 v136, v1, v37, v136
	;;#ASMEND
	;;#ASMSTART
	v_dot2_f32_f16 v136, v2, v38, v136
	;;#ASMEND
	;;#ASMSTART
	v_dot2_f32_f16 v136, v3, v39, v136
	;;#ASMEND
	;;#ASMSTART
	v_dot2_f32_f16 v109, v0, v32, v109
	;;#ASMEND
	;;#ASMSTART
	v_dot2_f32_f16 v109, v1, v33, v109
	;;#ASMEND
	;;#ASMSTART
	v_dot2_f32_f16 v109, v2, v34, v109
	;;#ASMEND
	;;#ASMSTART
	v_dot2_f32_f16 v109, v3, v35, v109
	;;#ASMEND
	;;#ASMSTART
	v_dot2_f32_f16 v123, v0, v28, v123
	;;#ASMEND
	;;#ASMSTART
	v_dot2_f32_f16 v123, v1, v29, v123
	;;#ASMEND
	;;#ASMSTART
	v_dot2_f32_f16 v123, v2, v30, v123
	;;#ASMEND
	;;#ASMSTART
	v_dot2_f32_f16 v123, v3, v31, v123
	;;#ASMEND
	;;#ASMSTART
	v_dot2_f32_f16 v118, v0, v24, v118
	;;#ASMEND
	;;#ASMSTART
	v_dot2_f32_f16 v118, v1, v25, v118
	;;#ASMEND
	;;#ASMSTART
	v_dot2_f32_f16 v118, v2, v26, v118
	;;#ASMEND
	;;#ASMSTART
	v_dot2_f32_f16 v118, v3, v27, v118
	;;#ASMEND
	;;#ASMSTART
	v_dot2_f32_f16 v111, v0, v20, v111
	;;#ASMEND
	;;#ASMSTART
	v_dot2_f32_f16 v111, v1, v21, v111
	;;#ASMEND
	;;#ASMSTART
	v_dot2_f32_f16 v111, v2, v22, v111
	;;#ASMEND
	;;#ASMSTART
	v_dot2_f32_f16 v111, v3, v23, v111
	;;#ASMEND
	;;#ASMSTART
	v_dot2_f32_f16 v107, v0, v16, v107
	;;#ASMEND
	;;#ASMSTART
	v_dot2_f32_f16 v107, v1, v17, v107
	;;#ASMEND
	;;#ASMSTART
	v_dot2_f32_f16 v107, v2, v18, v107
	;;#ASMEND
	;;#ASMSTART
	v_dot2_f32_f16 v107, v3, v19, v107
	;;#ASMEND
	;;#ASMSTART
	v_dot2_f32_f16 v120, v0, v12, v120
	;;#ASMEND
	;;#ASMSTART
	v_dot2_f32_f16 v120, v1, v13, v120
	;;#ASMEND
	;;#ASMSTART
	v_dot2_f32_f16 v120, v2, v14, v120
	;;#ASMEND
	;;#ASMSTART
	v_dot2_f32_f16 v120, v3, v15, v120
	;;#ASMEND
	;;#ASMSTART
	v_dot2_f32_f16 v116, v0, v8, v116
	;;#ASMEND
	;;#ASMSTART
	v_dot2_f32_f16 v116, v1, v9, v116
	;;#ASMEND
	;;#ASMSTART
	v_dot2_f32_f16 v116, v2, v10, v116
	;;#ASMEND
	;;#ASMSTART
	v_dot2_f32_f16 v116, v3, v11, v116
	;;#ASMEND
	;;#ASMSTART
	v_dot2_f32_f16 v114, v0, v4, v114
	;;#ASMEND
	;;#ASMSTART
	v_dot2_f32_f16 v114, v1, v5, v114
	;;#ASMEND
	;;#ASMSTART
	v_dot2_f32_f16 v114, v2, v6, v114
	;;#ASMEND
	;;#ASMSTART
	v_dot2_f32_f16 v114, v3, v7, v114
	;;#ASMEND
	ds_load_b128 v[4:7], v135 offset:112
	ds_load_b128 v[0:3], v135 offset:4720
	;; [unrolled: 1-line block ×18, first 2 shown]
	s_wait_dscnt 0xf
	;;#ASMSTART
	v_dot2_f32_f16 v188, v4, v8, v188
	;;#ASMEND
	;;#ASMSTART
	v_dot2_f32_f16 v188, v5, v9, v188
	;;#ASMEND
	;;#ASMSTART
	v_dot2_f32_f16 v188, v6, v10, v188
	;;#ASMEND
	;;#ASMSTART
	v_dot2_f32_f16 v188, v7, v11, v188
	;;#ASMEND
	s_wait_dscnt 0xe
	;;#ASMSTART
	v_dot2_f32_f16 v189, v4, v12, v189
	;;#ASMEND
	;;#ASMSTART
	v_dot2_f32_f16 v189, v5, v13, v189
	;;#ASMEND
	;;#ASMSTART
	v_dot2_f32_f16 v189, v6, v14, v189
	;;#ASMEND
	;;#ASMSTART
	v_dot2_f32_f16 v189, v7, v15, v189
	;;#ASMEND
	;; [unrolled: 13-line block ×16, first 2 shown]
	;;#ASMSTART
	v_dot2_f32_f16 v113, v0, v8, v113
	;;#ASMEND
	;;#ASMSTART
	v_dot2_f32_f16 v113, v1, v9, v113
	;;#ASMEND
	;; [unrolled: 3-line block ×61, first 2 shown]
	v_cndmask_b32_e32 v0, v129, v131, vcc_lo
	v_cmp_gt_i32_e32 vcc_lo, 32, v130
	;;#ASMSTART
	v_dot2_f32_f16 v114, v1, v69, v114
	;;#ASMEND
	;;#ASMSTART
	v_dot2_f32_f16 v114, v2, v70, v114
	;;#ASMEND
	;; [unrolled: 3-line block ×3, first 2 shown]
	v_dual_cndmask_b32 v0, v129, v130 :: v_dual_lshlrev_b32 v27, 2, v0
	v_cmp_gt_i32_e32 vcc_lo, 32, v128
	s_delay_alu instid0(VALU_DEP_2) | instskip(SKIP_2) | instid1(VALU_DEP_2)
	v_dual_add_nc_u32 v8, s4, v122 :: v_dual_lshlrev_b32 v26, 2, v0
	v_cndmask_b32_e32 v0, v129, v128, vcc_lo
	v_cmp_gt_i32_e32 vcc_lo, 32, v127
	v_dual_cndmask_b32 v0, v129, v127 :: v_dual_lshlrev_b32 v21, 2, v0
	v_cmp_gt_i32_e32 vcc_lo, 32, v126
	s_delay_alu instid0(VALU_DEP_2) | instskip(NEXT) | instid1(VALU_DEP_1)
	v_dual_lshlrev_b32 v20, 2, v0 :: v_dual_cndmask_b32 v0, v129, v126, vcc_lo
	v_lshlrev_b32_e32 v15, 2, v0
	scratch_load_b32 v0, off, off           ; 4-byte Folded Reload
	s_wait_loadcnt 0x0
	v_dual_add_nc_u32 v0, v8, v0 :: v_dual_add_nc_u32 v8, v8, v137
	s_clause 0x1
	global_load_u16 v1, v0, s[34:35] scale_offset
	global_load_u16 v0, v0, s[34:35] offset:64 scale_offset
	s_wait_loadcnt 0x1
	v_cvt_f32_f16_e32 v7, v1
	s_wait_loadcnt 0x0
	v_cvt_f32_f16_e32 v9, v0
	s_delay_alu instid0(VALU_DEP_1) | instskip(SKIP_1) | instid1(VALU_DEP_2)
	v_dual_add_f32 v16, v188, v7 :: v_dual_add_f32 v18, v113, v9
	v_dual_add_f32 v19, v115, v9 :: v_dual_add_f32 v17, v189, v7
	;; [unrolled: 1-line block ×3, first 2 shown]
	s_delay_alu instid0(VALU_DEP_3) | instskip(NEXT) | instid1(VALU_DEP_3)
	v_add_f32_e32 v0, 0x40051340, v18
	v_add_f32_e32 v2, 0x40051340, v19
	v_dual_add_f32 v30, v121, v9 :: v_dual_add_f32 v29, v108, v7
	s_delay_alu instid0(VALU_DEP_4) | instskip(NEXT) | instid1(VALU_DEP_4)
	v_add_f32_e32 v3, 0x40051340, v24
	v_max3_num_f32 v0, v179, v1, v0
	v_dual_add_f32 v31, v124, v9 :: v_dual_add_f32 v36, v125, v9
	v_dual_add_f32 v22, v190, v7 :: v_dual_add_f32 v25, v119, v9
	ds_bpermute_b32 v1, v27, v0
	v_dual_add_f32 v23, v191, v7 :: v_dual_add_f32 v28, v106, v7
	v_dual_add_f32 v5, 0x40051340, v30 :: v_dual_add_f32 v4, 0x40051340, v25
	v_add_f32_e32 v6, 0x40051340, v31
	v_dual_add_f32 v34, v110, v7 :: v_dual_add_f32 v35, v112, v7
	v_dual_add_f32 v10, 0x40051340, v36 :: v_dual_add_f32 v37, v136, v9
	s_delay_alu instid0(VALU_DEP_2) | instskip(NEXT) | instid1(VALU_DEP_2)
	v_add_f32_e32 v7, 0x40051340, v35
	v_add_f32_e32 v9, 0x40051340, v37
	s_delay_alu instid0(VALU_DEP_1)
	v_max3_num_f32 v7, v172, v7, v9
	s_wait_dscnt 0x0
	v_max_num_f32_e32 v1, v1, v1
	ds_bpermute_b32 v9, v27, v7
	v_max_num_f32_e32 v0, v0, v1
	ds_bpermute_b32 v1, v26, v0
	s_wait_dscnt 0x1
	v_max_num_f32_e32 v9, v9, v9
	s_delay_alu instid0(VALU_DEP_1)
	v_max_num_f32_e32 v7, v7, v9
	s_wait_dscnt 0x0
	v_max_num_f32_e32 v1, v1, v1
	ds_bpermute_b32 v9, v26, v7
	v_max_num_f32_e32 v0, v0, v1
	ds_bpermute_b32 v1, v21, v0
	s_wait_dscnt 0x1
	v_max_num_f32_e32 v9, v9, v9
	s_delay_alu instid0(VALU_DEP_1)
	v_max_num_f32_e32 v7, v7, v9
	;; [unrolled: 9-line block ×3, first 2 shown]
	s_wait_dscnt 0x0
	v_max_num_f32_e32 v1, v1, v1
	ds_bpermute_b32 v9, v20, v7
	v_max_num_f32_e32 v0, v0, v1
	ds_bpermute_b32 v1, v15, v0
	s_wait_dscnt 0x1
	v_max_num_f32_e32 v9, v9, v9
	s_delay_alu instid0(VALU_DEP_1) | instskip(SKIP_4) | instid1(VALU_DEP_1)
	v_max_num_f32_e32 v7, v7, v9
	s_wait_dscnt 0x0
	v_max_num_f32_e32 v1, v1, v1
	ds_bpermute_b32 v9, v15, v7
	v_max_num_f32_e32 v0, v0, v1
	v_dual_add_f32 v1, 0x40051340, v17 :: v_dual_sub_f32 v16, v16, v0
	s_delay_alu instid0(VALU_DEP_1) | instskip(SKIP_1) | instid1(VALU_DEP_3)
	v_max3_num_f32 v1, v178, v1, v2
	v_sub_f32_e32 v18, v18, v0
	v_cmp_ngt_f32_e32 vcc_lo, 0xc2ce8ed0, v16
	ds_bpermute_b32 v2, v27, v1
	s_wait_dscnt 0x1
	v_max_num_f32_e32 v9, v9, v9
	s_delay_alu instid0(VALU_DEP_1) | instskip(SKIP_3) | instid1(VALU_DEP_1)
	v_max_num_f32_e32 v7, v7, v9
	global_load_u16 v9, v8, s[34:35] scale_offset
	s_wait_dscnt 0x0
	v_max_num_f32_e32 v2, v2, v2
	v_max_num_f32_e32 v1, v1, v2
	ds_bpermute_b32 v2, v26, v1
	s_wait_dscnt 0x0
	v_max_num_f32_e32 v2, v2, v2
	s_delay_alu instid0(VALU_DEP_1) | instskip(SKIP_3) | instid1(VALU_DEP_1)
	v_max_num_f32_e32 v1, v1, v2
	ds_bpermute_b32 v2, v21, v1
	s_wait_dscnt 0x0
	v_max_num_f32_e32 v2, v2, v2
	v_max_num_f32_e32 v1, v1, v2
	ds_bpermute_b32 v2, v20, v1
	s_wait_dscnt 0x0
	v_max_num_f32_e32 v2, v2, v2
	s_delay_alu instid0(VALU_DEP_1) | instskip(SKIP_3) | instid1(VALU_DEP_1)
	v_max_num_f32_e32 v1, v1, v2
	ds_bpermute_b32 v2, v15, v1
	s_wait_dscnt 0x0
	v_max_num_f32_e32 v2, v2, v2
	v_max_num_f32_e32 v1, v1, v2
	s_delay_alu instid0(VALU_DEP_1) | instskip(NEXT) | instid1(VALU_DEP_1)
	v_dual_add_f32 v2, 0x40051340, v22 :: v_dual_sub_f32 v17, v17, v1
	v_max3_num_f32 v2, v177, v2, v3
	v_sub_f32_e32 v19, v19, v1
	ds_bpermute_b32 v3, v27, v2
	s_wait_dscnt 0x0
	v_max_num_f32_e32 v3, v3, v3
	s_delay_alu instid0(VALU_DEP_1) | instskip(SKIP_3) | instid1(VALU_DEP_1)
	v_max_num_f32_e32 v2, v2, v3
	ds_bpermute_b32 v3, v26, v2
	s_wait_dscnt 0x0
	v_max_num_f32_e32 v3, v3, v3
	v_max_num_f32_e32 v2, v2, v3
	ds_bpermute_b32 v3, v21, v2
	s_wait_dscnt 0x0
	v_max_num_f32_e32 v3, v3, v3
	s_delay_alu instid0(VALU_DEP_1) | instskip(SKIP_3) | instid1(VALU_DEP_1)
	v_max_num_f32_e32 v2, v2, v3
	ds_bpermute_b32 v3, v20, v2
	s_wait_dscnt 0x0
	v_max_num_f32_e32 v3, v3, v3
	v_max_num_f32_e32 v2, v2, v3
	ds_bpermute_b32 v3, v15, v2
	s_wait_dscnt 0x0
	v_max_num_f32_e32 v3, v3, v3
	s_delay_alu instid0(VALU_DEP_1) | instskip(NEXT) | instid1(VALU_DEP_1)
	v_max_num_f32_e32 v2, v2, v3
	v_dual_add_f32 v3, 0x40051340, v23 :: v_dual_sub_f32 v22, v22, v2
	s_delay_alu instid0(VALU_DEP_1)
	v_max3_num_f32 v3, v176, v3, v4
	v_sub_f32_e32 v24, v24, v2
	ds_bpermute_b32 v4, v27, v3
	s_wait_dscnt 0x0
	v_max_num_f32_e32 v4, v4, v4
	s_wait_loadcnt 0x0
	v_cvt_f32_f16_e32 v32, v9
	s_delay_alu instid0(VALU_DEP_2) | instskip(NEXT) | instid1(VALU_DEP_2)
	v_max_num_f32_e32 v3, v3, v4
	v_add_f32_e32 v40, v187, v32
	global_load_u16 v8, v8, s[34:35] offset:64 scale_offset
	v_add_f32_e32 v41, v186, v32
	ds_bpermute_b32 v4, v26, v3
	v_dual_add_f32 v46, v185, v32 :: v_dual_add_f32 v47, v182, v32
	v_add_f32_e32 v183, v183, v32
	s_wait_loadcnt_dscnt 0x0
	s_barrier_signal -1
	s_barrier_wait -1
	v_max_num_f32_e32 v4, v4, v4
	s_delay_alu instid0(VALU_DEP_1) | instskip(SKIP_3) | instid1(VALU_DEP_1)
	v_max_num_f32_e32 v3, v3, v4
	ds_bpermute_b32 v4, v21, v3
	s_wait_dscnt 0x0
	v_max_num_f32_e32 v4, v4, v4
	v_max_num_f32_e32 v3, v3, v4
	ds_bpermute_b32 v4, v20, v3
	s_wait_dscnt 0x0
	v_max_num_f32_e32 v4, v4, v4
	s_delay_alu instid0(VALU_DEP_1) | instskip(SKIP_3) | instid1(VALU_DEP_1)
	v_max_num_f32_e32 v3, v3, v4
	ds_bpermute_b32 v4, v15, v3
	s_wait_dscnt 0x0
	v_max_num_f32_e32 v4, v4, v4
	v_max_num_f32_e32 v3, v3, v4
	s_delay_alu instid0(VALU_DEP_1) | instskip(NEXT) | instid1(VALU_DEP_1)
	v_dual_add_f32 v4, 0x40051340, v28 :: v_dual_sub_f32 v23, v23, v3
	v_max3_num_f32 v4, v175, v4, v5
	v_sub_f32_e32 v25, v25, v3
	ds_bpermute_b32 v5, v27, v4
	s_wait_dscnt 0x0
	v_max_num_f32_e32 v5, v5, v5
	s_delay_alu instid0(VALU_DEP_1) | instskip(SKIP_3) | instid1(VALU_DEP_1)
	v_max_num_f32_e32 v4, v4, v5
	ds_bpermute_b32 v5, v26, v4
	s_wait_dscnt 0x0
	v_max_num_f32_e32 v5, v5, v5
	v_max_num_f32_e32 v4, v4, v5
	ds_bpermute_b32 v5, v21, v4
	s_wait_dscnt 0x0
	v_max_num_f32_e32 v5, v5, v5
	s_delay_alu instid0(VALU_DEP_1) | instskip(SKIP_3) | instid1(VALU_DEP_1)
	v_max_num_f32_e32 v4, v4, v5
	ds_bpermute_b32 v5, v20, v4
	s_wait_dscnt 0x0
	v_max_num_f32_e32 v5, v5, v5
	v_max_num_f32_e32 v4, v4, v5
	ds_bpermute_b32 v5, v15, v4
	s_wait_dscnt 0x0
	v_max_num_f32_e32 v5, v5, v5
	s_delay_alu instid0(VALU_DEP_1) | instskip(SKIP_1) | instid1(VALU_DEP_1)
	v_max_num_f32_e32 v4, v4, v5
	v_add_f32_e32 v5, 0x40051340, v29
	v_max3_num_f32 v5, v174, v5, v6
	ds_bpermute_b32 v6, v27, v5
	s_wait_dscnt 0x0
	v_dual_max_num_f32 v6, v6, v6 :: v_dual_sub_f32 v28, v28, v4
	s_delay_alu instid0(VALU_DEP_1) | instskip(SKIP_2) | instid1(VALU_DEP_1)
	v_dual_sub_f32 v30, v30, v4 :: v_dual_max_num_f32 v5, v5, v6
	ds_bpermute_b32 v6, v26, v5
	v_cvt_f32_f16_e32 v33, v8
	v_dual_add_f32 v9, 0x40051340, v40 :: v_dual_add_f32 v42, v109, v33
	v_dual_add_f32 v43, v123, v33 :: v_dual_add_f32 v48, v118, v33
	v_add_f32_e32 v49, v111, v33
	v_add_f32_e32 v54, v107, v33
	s_delay_alu instid0(VALU_DEP_4) | instskip(SKIP_1) | instid1(VALU_DEP_4)
	v_add_f32_e32 v8, 0x40051340, v42
	v_add_f32_e32 v52, v181, v32
	v_dual_add_f32 v11, 0x40051340, v48 :: v_dual_add_f32 v12, 0x40051340, v49
	s_wait_dscnt 0x0
	v_max_num_f32_e32 v6, v6, v6
	v_max3_num_f32 v8, v171, v9, v8
	v_add_f32_e32 v13, 0x40051340, v54
	v_add_f32_e32 v55, v120, v33
	s_delay_alu instid0(VALU_DEP_4)
	v_dual_add_f32 v53, v180, v32 :: v_dual_max_num_f32 v5, v5, v6
	ds_bpermute_b32 v9, v27, v8
	v_add_f32_e32 v182, v116, v33
	v_dual_add_f32 v14, 0x40051340, v55 :: v_dual_add_f32 v181, v184, v32
	ds_bpermute_b32 v6, v21, v5
	v_add_f32_e32 v180, v114, v33
	v_dual_add_f32 v38, 0x40051340, v182 :: v_dual_sub_f32 v35, v35, v7
	v_dual_add_f32 v32, 0x40051340, v181 :: v_dual_sub_f32 v37, v37, v7
	s_delay_alu instid0(VALU_DEP_3) | instskip(NEXT) | instid1(VALU_DEP_1)
	v_add_f32_e32 v33, 0x40051340, v180
	v_max3_num_f32 v32, v164, v32, v33
	s_wait_dscnt 0x0
	v_dual_max_num_f32 v9, v9, v9 :: v_dual_max_num_f32 v6, v6, v6
	s_delay_alu instid0(VALU_DEP_1) | instskip(SKIP_4) | instid1(VALU_DEP_1)
	v_dual_max_num_f32 v8, v8, v9 :: v_dual_max_num_f32 v5, v5, v6
	ds_bpermute_b32 v9, v26, v8
	ds_bpermute_b32 v6, v20, v5
	s_wait_dscnt 0x0
	v_dual_max_num_f32 v9, v9, v9 :: v_dual_max_num_f32 v6, v6, v6
	v_dual_max_num_f32 v8, v8, v9 :: v_dual_max_num_f32 v5, v5, v6
	ds_bpermute_b32 v9, v21, v8
	ds_bpermute_b32 v6, v15, v5
	s_wait_dscnt 0x0
	v_dual_max_num_f32 v9, v9, v9 :: v_dual_max_num_f32 v6, v6, v6
	s_delay_alu instid0(VALU_DEP_1)
	v_dual_max_num_f32 v8, v8, v9 :: v_dual_max_num_f32 v5, v5, v6
	v_add_f32_e32 v6, 0x40051340, v34
	ds_bpermute_b32 v9, v20, v8
	v_dual_sub_f32 v29, v29, v5 :: v_dual_sub_f32 v31, v31, v5
	v_max3_num_f32 v6, v173, v6, v10
	ds_bpermute_b32 v10, v27, v6
	s_wait_dscnt 0x1
	v_max_num_f32_e32 v9, v9, v9
	s_wait_dscnt 0x0
	s_delay_alu instid0(VALU_DEP_1)
	v_dual_max_num_f32 v8, v8, v9 :: v_dual_max_num_f32 v10, v10, v10
	ds_bpermute_b32 v9, v15, v8
	v_max_num_f32_e32 v6, v6, v10
	ds_bpermute_b32 v10, v26, v6
	s_wait_dscnt 0x1
	v_max_num_f32_e32 v9, v9, v9
	s_delay_alu instid0(VALU_DEP_1) | instskip(SKIP_2) | instid1(VALU_DEP_1)
	v_max_num_f32_e32 v8, v8, v9
	s_wait_dscnt 0x0
	v_dual_add_f32 v9, 0x40051340, v41 :: v_dual_max_num_f32 v10, v10, v10
	v_max_num_f32_e32 v6, v6, v10
	ds_bpermute_b32 v10, v21, v6
	s_wait_dscnt 0x0
	v_max_num_f32_e32 v10, v10, v10
	s_delay_alu instid0(VALU_DEP_1) | instskip(SKIP_3) | instid1(VALU_DEP_1)
	v_max_num_f32_e32 v6, v6, v10
	ds_bpermute_b32 v10, v20, v6
	s_wait_dscnt 0x0
	v_max_num_f32_e32 v10, v10, v10
	v_max_num_f32_e32 v6, v6, v10
	ds_bpermute_b32 v10, v15, v6
	s_wait_dscnt 0x0
	v_max_num_f32_e32 v10, v10, v10
	s_delay_alu instid0(VALU_DEP_1) | instskip(SKIP_1) | instid1(VALU_DEP_2)
	v_max_num_f32_e32 v6, v6, v10
	v_add_f32_e32 v10, 0x40051340, v43
	v_sub_f32_e32 v34, v34, v6
	s_delay_alu instid0(VALU_DEP_2) | instskip(SKIP_4) | instid1(VALU_DEP_1)
	v_max3_num_f32 v9, v170, v9, v10
	v_sub_f32_e32 v36, v36, v6
	ds_bpermute_b32 v10, v27, v9
	s_wait_dscnt 0x0
	v_dual_max_num_f32 v10, v10, v10 :: v_dual_sub_f32 v40, v40, v8
	v_dual_sub_f32 v42, v42, v8 :: v_dual_max_num_f32 v9, v9, v10
	ds_bpermute_b32 v10, v26, v9
	s_wait_dscnt 0x0
	v_max_num_f32_e32 v10, v10, v10
	s_delay_alu instid0(VALU_DEP_1) | instskip(SKIP_3) | instid1(VALU_DEP_1)
	v_max_num_f32_e32 v9, v9, v10
	ds_bpermute_b32 v10, v21, v9
	s_wait_dscnt 0x0
	v_max_num_f32_e32 v10, v10, v10
	v_max_num_f32_e32 v9, v9, v10
	ds_bpermute_b32 v10, v20, v9
	s_wait_dscnt 0x0
	v_max_num_f32_e32 v10, v10, v10
	s_delay_alu instid0(VALU_DEP_1) | instskip(SKIP_3) | instid1(VALU_DEP_1)
	v_max_num_f32_e32 v9, v9, v10
	ds_bpermute_b32 v10, v15, v9
	s_wait_dscnt 0x0
	v_max_num_f32_e32 v10, v10, v10
	v_max_num_f32_e32 v9, v9, v10
	s_delay_alu instid0(VALU_DEP_1) | instskip(SKIP_1) | instid1(VALU_DEP_2)
	v_dual_add_f32 v10, 0x40051340, v46 :: v_dual_sub_f32 v41, v41, v9
	v_sub_f32_e32 v43, v43, v9
	v_max3_num_f32 v10, v169, v10, v11
	ds_bpermute_b32 v11, v27, v10
	s_wait_dscnt 0x0
	v_max_num_f32_e32 v11, v11, v11
	s_delay_alu instid0(VALU_DEP_1) | instskip(SKIP_3) | instid1(VALU_DEP_1)
	v_max_num_f32_e32 v10, v10, v11
	ds_bpermute_b32 v11, v26, v10
	s_wait_dscnt 0x0
	v_max_num_f32_e32 v11, v11, v11
	v_max_num_f32_e32 v10, v10, v11
	ds_bpermute_b32 v11, v21, v10
	s_wait_dscnt 0x0
	v_max_num_f32_e32 v11, v11, v11
	s_delay_alu instid0(VALU_DEP_1) | instskip(SKIP_3) | instid1(VALU_DEP_1)
	v_max_num_f32_e32 v10, v10, v11
	ds_bpermute_b32 v11, v20, v10
	s_wait_dscnt 0x0
	v_max_num_f32_e32 v11, v11, v11
	v_max_num_f32_e32 v10, v10, v11
	ds_bpermute_b32 v11, v15, v10
	s_wait_dscnt 0x0
	v_max_num_f32_e32 v11, v11, v11
	s_delay_alu instid0(VALU_DEP_1) | instskip(NEXT) | instid1(VALU_DEP_1)
	v_max_num_f32_e32 v10, v10, v11
	v_dual_add_f32 v11, 0x40051340, v47 :: v_dual_sub_f32 v46, v46, v10
	s_delay_alu instid0(VALU_DEP_1) | instskip(SKIP_4) | instid1(VALU_DEP_1)
	v_max3_num_f32 v11, v168, v11, v12
	v_sub_f32_e32 v48, v48, v10
	ds_bpermute_b32 v12, v27, v11
	s_wait_dscnt 0x0
	v_max_num_f32_e32 v12, v12, v12
	v_max_num_f32_e32 v11, v11, v12
	ds_bpermute_b32 v12, v26, v11
	s_wait_dscnt 0x0
	v_max_num_f32_e32 v12, v12, v12
	s_delay_alu instid0(VALU_DEP_1) | instskip(SKIP_3) | instid1(VALU_DEP_1)
	v_max_num_f32_e32 v11, v11, v12
	ds_bpermute_b32 v12, v21, v11
	s_wait_dscnt 0x0
	v_max_num_f32_e32 v12, v12, v12
	v_max_num_f32_e32 v11, v11, v12
	ds_bpermute_b32 v12, v20, v11
	s_wait_dscnt 0x0
	v_max_num_f32_e32 v12, v12, v12
	s_delay_alu instid0(VALU_DEP_1) | instskip(SKIP_3) | instid1(VALU_DEP_1)
	v_max_num_f32_e32 v11, v11, v12
	ds_bpermute_b32 v12, v15, v11
	s_wait_dscnt 0x0
	v_max_num_f32_e32 v12, v12, v12
	v_max_num_f32_e32 v11, v11, v12
	v_add_f32_e32 v12, 0x40051340, v52
	s_delay_alu instid0(VALU_DEP_1) | instskip(SKIP_3) | instid1(VALU_DEP_1)
	v_max3_num_f32 v12, v167, v12, v13
	ds_bpermute_b32 v13, v27, v12
	s_wait_dscnt 0x0
	v_dual_max_num_f32 v13, v13, v13 :: v_dual_sub_f32 v47, v47, v11
	v_dual_sub_f32 v49, v49, v11 :: v_dual_max_num_f32 v12, v12, v13
	ds_bpermute_b32 v13, v26, v12
	s_wait_dscnt 0x0
	v_max_num_f32_e32 v13, v13, v13
	s_delay_alu instid0(VALU_DEP_1) | instskip(SKIP_3) | instid1(VALU_DEP_1)
	v_max_num_f32_e32 v12, v12, v13
	ds_bpermute_b32 v13, v21, v12
	s_wait_dscnt 0x0
	v_max_num_f32_e32 v13, v13, v13
	v_max_num_f32_e32 v12, v12, v13
	ds_bpermute_b32 v13, v20, v12
	s_wait_dscnt 0x0
	v_max_num_f32_e32 v13, v13, v13
	s_delay_alu instid0(VALU_DEP_1) | instskip(SKIP_3) | instid1(VALU_DEP_1)
	v_max_num_f32_e32 v12, v12, v13
	ds_bpermute_b32 v13, v15, v12
	s_wait_dscnt 0x0
	v_max_num_f32_e32 v13, v13, v13
	v_max_num_f32_e32 v12, v12, v13
	v_add_f32_e32 v13, 0x40051340, v53
	s_delay_alu instid0(VALU_DEP_1) | instskip(SKIP_3) | instid1(VALU_DEP_1)
	v_max3_num_f32 v13, v166, v13, v14
	ds_bpermute_b32 v14, v27, v13
	s_wait_dscnt 0x0
	v_max_num_f32_e32 v14, v14, v14
	v_dual_max_num_f32 v13, v13, v14 :: v_dual_sub_f32 v52, v52, v12
	v_sub_f32_e32 v54, v54, v12
	ds_bpermute_b32 v14, v26, v13
	s_wait_dscnt 0x0
	v_max_num_f32_e32 v14, v14, v14
	s_delay_alu instid0(VALU_DEP_1) | instskip(SKIP_3) | instid1(VALU_DEP_1)
	v_max_num_f32_e32 v13, v13, v14
	ds_bpermute_b32 v14, v21, v13
	s_wait_dscnt 0x0
	v_max_num_f32_e32 v14, v14, v14
	v_max_num_f32_e32 v13, v13, v14
	ds_bpermute_b32 v14, v20, v13
	s_wait_dscnt 0x0
	v_max_num_f32_e32 v14, v14, v14
	s_delay_alu instid0(VALU_DEP_1) | instskip(SKIP_3) | instid1(VALU_DEP_1)
	v_max_num_f32_e32 v13, v13, v14
	ds_bpermute_b32 v14, v15, v13
	s_wait_dscnt 0x0
	v_max_num_f32_e32 v14, v14, v14
	v_dual_max_num_f32 v13, v13, v14 :: v_dual_add_f32 v14, 0x40051340, v183
	s_delay_alu instid0(VALU_DEP_1) | instskip(NEXT) | instid1(VALU_DEP_2)
	v_sub_f32_e32 v53, v53, v13
	v_max3_num_f32 v14, v165, v14, v38
	v_sub_f32_e32 v55, v55, v13
	ds_bpermute_b32 v38, v27, v14
	ds_bpermute_b32 v27, v27, v32
	s_wait_dscnt 0x0
	v_dual_max_num_f32 v38, v38, v38 :: v_dual_max_num_f32 v27, v27, v27
	s_delay_alu instid0(VALU_DEP_1)
	v_dual_max_num_f32 v14, v14, v38 :: v_dual_max_num_f32 v27, v32, v27
	ds_bpermute_b32 v38, v26, v14
	ds_bpermute_b32 v26, v26, v27
	s_wait_dscnt 0x1
	v_max_num_f32_e32 v38, v38, v38
	s_wait_dscnt 0x0
	v_max_num_f32_e32 v26, v26, v26
	s_delay_alu instid0(VALU_DEP_2) | instskip(NEXT) | instid1(VALU_DEP_2)
	v_max_num_f32_e32 v14, v14, v38
	v_max_num_f32_e32 v26, v27, v26
	ds_bpermute_b32 v38, v21, v14
	ds_bpermute_b32 v21, v21, v26
	s_wait_dscnt 0x0
	v_dual_max_num_f32 v38, v38, v38 :: v_dual_max_num_f32 v21, v21, v21
	s_delay_alu instid0(VALU_DEP_1) | instskip(NEXT) | instid1(VALU_DEP_2)
	v_max_num_f32_e32 v14, v14, v38
	v_max_num_f32_e32 v21, v26, v21
	ds_bpermute_b32 v38, v20, v14
	ds_bpermute_b32 v20, v20, v21
	s_wait_dscnt 0x0
	v_dual_max_num_f32 v20, v20, v20 :: v_dual_max_num_f32 v38, v38, v38
	s_delay_alu instid0(VALU_DEP_1)
	v_dual_max_num_f32 v20, v21, v20 :: v_dual_max_num_f32 v14, v14, v38
	v_sub_f32_e32 v21, v179, v0
	ds_bpermute_b32 v38, v15, v14
	ds_bpermute_b32 v15, v15, v20
	s_wait_dscnt 0x0
	v_dual_max_num_f32 v15, v15, v15 :: v_dual_max_num_f32 v38, v38, v38
	s_delay_alu instid0(VALU_DEP_1) | instskip(NEXT) | instid1(VALU_DEP_2)
	v_dual_max_num_f32 v15, v20, v15 :: v_dual_mul_f32 v20, 0x3fb8aa3b, v16
	v_max_num_f32_e32 v14, v14, v38
	s_delay_alu instid0(VALU_DEP_2) | instskip(SKIP_1) | instid1(VALU_DEP_2)
	v_fma_f32 v26, 0x3fb8aa3b, v16, -v20
	v_rndne_f32_e32 v27, v20
	v_fmac_f32_e32 v26, 0x32a5705f, v16
	s_delay_alu instid0(VALU_DEP_2) | instskip(NEXT) | instid1(VALU_DEP_1)
	v_sub_f32_e32 v20, v20, v27
	v_add_f32_e32 v20, v20, v26
	v_cvt_i32_f32_e32 v26, v27
	s_delay_alu instid0(VALU_DEP_2) | instskip(SKIP_1) | instid1(TRANS32_DEP_1)
	v_exp_f32_e32 v20, v20
	v_nop
	v_ldexp_f32 v20, v20, v26
	s_delay_alu instid0(VALU_DEP_1) | instskip(SKIP_1) | instid1(VALU_DEP_2)
	v_cndmask_b32_e32 v20, 0, v20, vcc_lo
	v_cmp_nlt_f32_e32 vcc_lo, 0x42b17218, v16
	v_cndmask_b32_e32 v16, 0x7f800000, v20, vcc_lo
	v_mul_f32_e32 v20, 0x3fb8aa3b, v18
	v_cmp_ngt_f32_e32 vcc_lo, 0xc2ce8ed0, v18
	s_delay_alu instid0(VALU_DEP_2) | instskip(SKIP_1) | instid1(VALU_DEP_2)
	v_fma_f32 v26, 0x3fb8aa3b, v18, -v20
	v_rndne_f32_e32 v27, v20
	v_fmac_f32_e32 v26, 0x32a5705f, v18
	s_delay_alu instid0(VALU_DEP_2) | instskip(NEXT) | instid1(VALU_DEP_1)
	v_sub_f32_e32 v20, v20, v27
	v_add_f32_e32 v20, v20, v26
	v_cvt_i32_f32_e32 v26, v27
	s_delay_alu instid0(VALU_DEP_2) | instskip(SKIP_1) | instid1(TRANS32_DEP_1)
	v_exp_f32_e32 v20, v20
	v_nop
	v_ldexp_f32 v20, v20, v26
	s_delay_alu instid0(VALU_DEP_1) | instskip(SKIP_2) | instid1(VALU_DEP_3)
	v_cndmask_b32_e32 v20, 0, v20, vcc_lo
	v_cmp_nlt_f32_e32 vcc_lo, 0x42b17218, v18
	v_mul_f32_e32 v18, 0x3fb8aa3b, v21
	v_cndmask_b32_e32 v20, 0x7f800000, v20, vcc_lo
	s_delay_alu instid0(VALU_DEP_2) | instskip(SKIP_2) | instid1(VALU_DEP_3)
	v_fma_f32 v26, 0x3fb8aa3b, v21, -v18
	v_rndne_f32_e32 v27, v18
	v_cmp_ngt_f32_e32 vcc_lo, 0xc2ce8ed0, v21
	v_fmac_f32_e32 v26, 0x32a5705f, v21
	s_delay_alu instid0(VALU_DEP_3) | instskip(NEXT) | instid1(VALU_DEP_1)
	v_sub_f32_e32 v18, v18, v27
	v_add_f32_e32 v18, v18, v26
	v_cvt_i32_f32_e32 v26, v27
	s_delay_alu instid0(VALU_DEP_2) | instskip(SKIP_1) | instid1(TRANS32_DEP_1)
	v_exp_f32_e32 v18, v18
	v_nop
	v_ldexp_f32 v18, v18, v26
	s_delay_alu instid0(VALU_DEP_1) | instskip(SKIP_1) | instid1(VALU_DEP_2)
	v_dual_sub_f32 v26, v178, v1 :: v_dual_cndmask_b32 v18, 0, v18, vcc_lo
	v_cmp_nlt_f32_e32 vcc_lo, 0x42b17218, v21
	v_cndmask_b32_e32 v18, 0x7f800000, v18, vcc_lo
	v_cmp_ngt_f32_e32 vcc_lo, 0xc2ce8ed0, v17
	s_delay_alu instid0(VALU_DEP_2) | instskip(NEXT) | instid1(VALU_DEP_1)
	v_cvt_f16_f32_e32 v21, v18
	v_and_b32_e32 v21, 0xffff, v21
	s_delay_alu instid0(VALU_DEP_1) | instskip(NEXT) | instid1(VALU_DEP_1)
	v_mul_u32_u24_e32 v21, 0x10001, v21
	v_pk_mul_f16 v58, v163, v21
	v_mul_f32_e32 v21, 0x3fb8aa3b, v17
	s_delay_alu instid0(VALU_DEP_1) | instskip(SKIP_1) | instid1(VALU_DEP_2)
	v_fma_f32 v27, 0x3fb8aa3b, v17, -v21
	v_rndne_f32_e32 v32, v21
	v_fmac_f32_e32 v27, 0x32a5705f, v17
	s_delay_alu instid0(VALU_DEP_2) | instskip(NEXT) | instid1(VALU_DEP_1)
	v_sub_f32_e32 v21, v21, v32
	v_add_f32_e32 v21, v21, v27
	v_cvt_i32_f32_e32 v27, v32
	s_delay_alu instid0(VALU_DEP_2) | instskip(SKIP_1) | instid1(TRANS32_DEP_1)
	v_exp_f32_e32 v21, v21
	v_nop
	v_ldexp_f32 v21, v21, v27
	s_delay_alu instid0(VALU_DEP_1) | instskip(SKIP_1) | instid1(VALU_DEP_2)
	v_cndmask_b32_e32 v21, 0, v21, vcc_lo
	v_cmp_nlt_f32_e32 vcc_lo, 0x42b17218, v17
	v_cndmask_b32_e32 v17, 0x7f800000, v21, vcc_lo
	v_mul_f32_e32 v21, 0x3fb8aa3b, v19
	v_cmp_ngt_f32_e32 vcc_lo, 0xc2ce8ed0, v19
	s_delay_alu instid0(VALU_DEP_3) | instskip(NEXT) | instid1(VALU_DEP_3)
	v_cvt_pk_f16_f32 v66, v16, v17
	v_fma_f32 v27, 0x3fb8aa3b, v19, -v21
	v_rndne_f32_e32 v32, v21
	s_delay_alu instid0(VALU_DEP_2) | instskip(NEXT) | instid1(VALU_DEP_2)
	v_fmac_f32_e32 v27, 0x32a5705f, v19
	v_sub_f32_e32 v21, v21, v32
	s_delay_alu instid0(VALU_DEP_1) | instskip(SKIP_1) | instid1(VALU_DEP_2)
	v_add_f32_e32 v21, v21, v27
	v_cvt_i32_f32_e32 v27, v32
	v_exp_f32_e32 v21, v21
	v_nop
	s_delay_alu instid0(TRANS32_DEP_1) | instskip(NEXT) | instid1(VALU_DEP_1)
	v_ldexp_f32 v21, v21, v27
	v_cndmask_b32_e32 v21, 0, v21, vcc_lo
	v_cmp_nlt_f32_e32 vcc_lo, 0x42b17218, v19
	v_mul_f32_e32 v19, 0x3fb8aa3b, v26
	s_delay_alu instid0(VALU_DEP_1) | instskip(SKIP_1) | instid1(VALU_DEP_2)
	v_fma_f32 v27, 0x3fb8aa3b, v26, -v19
	v_rndne_f32_e32 v32, v19
	v_fmac_f32_e32 v27, 0x32a5705f, v26
	s_delay_alu instid0(VALU_DEP_2) | instskip(SKIP_2) | instid1(VALU_DEP_3)
	v_sub_f32_e32 v19, v19, v32
	v_cndmask_b32_e32 v21, 0x7f800000, v21, vcc_lo
	v_cmp_ngt_f32_e32 vcc_lo, 0xc2ce8ed0, v26
	v_add_f32_e32 v19, v19, v27
	v_cvt_i32_f32_e32 v27, v32
	s_delay_alu instid0(VALU_DEP_2) | instskip(SKIP_1) | instid1(TRANS32_DEP_1)
	v_exp_f32_e32 v19, v19
	v_nop
	v_ldexp_f32 v19, v19, v27
	s_delay_alu instid0(VALU_DEP_1) | instskip(SKIP_1) | instid1(VALU_DEP_2)
	v_dual_sub_f32 v27, v177, v2 :: v_dual_cndmask_b32 v19, 0, v19, vcc_lo
	v_cmp_nlt_f32_e32 vcc_lo, 0x42b17218, v26
	v_cndmask_b32_e32 v19, 0x7f800000, v19, vcc_lo
	v_cmp_ngt_f32_e32 vcc_lo, 0xc2ce8ed0, v22
	s_delay_alu instid0(VALU_DEP_2) | instskip(NEXT) | instid1(VALU_DEP_1)
	v_cvt_f16_f32_e32 v26, v19
	v_and_b32_e32 v26, 0xffff, v26
	s_delay_alu instid0(VALU_DEP_1) | instskip(NEXT) | instid1(VALU_DEP_1)
	v_mul_u32_u24_e32 v26, 0x10001, v26
	v_pk_mul_f16 v59, v162, v26
	v_mul_f32_e32 v26, 0x3fb8aa3b, v22
	s_delay_alu instid0(VALU_DEP_1) | instskip(SKIP_1) | instid1(VALU_DEP_2)
	v_fma_f32 v32, 0x3fb8aa3b, v22, -v26
	v_rndne_f32_e32 v33, v26
	v_fmac_f32_e32 v32, 0x32a5705f, v22
	s_delay_alu instid0(VALU_DEP_2) | instskip(NEXT) | instid1(VALU_DEP_1)
	v_sub_f32_e32 v26, v26, v33
	v_add_f32_e32 v26, v26, v32
	v_cvt_i32_f32_e32 v32, v33
	v_pk_add_f32 v[16:17], v[16:17], v[20:21]
	s_delay_alu instid0(VALU_DEP_3) | instskip(NEXT) | instid1(VALU_DEP_1)
	v_exp_f32_e32 v26, v26
	v_pk_fma_f32 v[86:87], v[86:87], v[18:19], v[16:17]
	s_delay_alu instid0(TRANS32_DEP_1) | instskip(NEXT) | instid1(VALU_DEP_1)
	v_ldexp_f32 v26, v26, v32
	v_cndmask_b32_e32 v26, 0, v26, vcc_lo
	v_cmp_nlt_f32_e32 vcc_lo, 0x42b17218, v22
	s_delay_alu instid0(VALU_DEP_2) | instskip(SKIP_2) | instid1(VALU_DEP_2)
	v_cndmask_b32_e32 v22, 0x7f800000, v26, vcc_lo
	v_mul_f32_e32 v26, 0x3fb8aa3b, v24
	v_cmp_ngt_f32_e32 vcc_lo, 0xc2ce8ed0, v24
	v_fma_f32 v32, 0x3fb8aa3b, v24, -v26
	v_rndne_f32_e32 v33, v26
	s_delay_alu instid0(VALU_DEP_2) | instskip(NEXT) | instid1(VALU_DEP_2)
	v_fmac_f32_e32 v32, 0x32a5705f, v24
	v_sub_f32_e32 v26, v26, v33
	s_delay_alu instid0(VALU_DEP_1) | instskip(SKIP_1) | instid1(VALU_DEP_2)
	v_add_f32_e32 v26, v26, v32
	v_cvt_i32_f32_e32 v32, v33
	v_exp_f32_e32 v26, v26
	v_nop
	s_delay_alu instid0(TRANS32_DEP_1) | instskip(NEXT) | instid1(VALU_DEP_1)
	v_ldexp_f32 v26, v26, v32
	v_cndmask_b32_e32 v26, 0, v26, vcc_lo
	v_cmp_nlt_f32_e32 vcc_lo, 0x42b17218, v24
	v_mul_f32_e32 v24, 0x3fb8aa3b, v27
	s_delay_alu instid0(VALU_DEP_3) | instskip(NEXT) | instid1(VALU_DEP_2)
	v_cndmask_b32_e32 v26, 0x7f800000, v26, vcc_lo
	v_fma_f32 v32, 0x3fb8aa3b, v27, -v24
	v_rndne_f32_e32 v33, v24
	v_cmp_ngt_f32_e32 vcc_lo, 0xc2ce8ed0, v27
	s_delay_alu instid0(VALU_DEP_3) | instskip(NEXT) | instid1(VALU_DEP_3)
	v_fmac_f32_e32 v32, 0x32a5705f, v27
	v_sub_f32_e32 v24, v24, v33
	s_delay_alu instid0(VALU_DEP_1) | instskip(SKIP_1) | instid1(VALU_DEP_2)
	v_add_f32_e32 v24, v24, v32
	v_cvt_i32_f32_e32 v32, v33
	v_exp_f32_e32 v24, v24
	v_nop
	s_delay_alu instid0(TRANS32_DEP_1) | instskip(NEXT) | instid1(VALU_DEP_1)
	v_ldexp_f32 v24, v24, v32
	v_dual_sub_f32 v32, v176, v3 :: v_dual_cndmask_b32 v24, 0, v24, vcc_lo
	v_cmp_nlt_f32_e32 vcc_lo, 0x42b17218, v27
	s_delay_alu instid0(VALU_DEP_2) | instskip(SKIP_1) | instid1(VALU_DEP_2)
	v_cndmask_b32_e32 v24, 0x7f800000, v24, vcc_lo
	v_cmp_ngt_f32_e32 vcc_lo, 0xc2ce8ed0, v23
	v_cvt_f16_f32_e32 v27, v24
	s_delay_alu instid0(VALU_DEP_1) | instskip(NEXT) | instid1(VALU_DEP_1)
	v_and_b32_e32 v27, 0xffff, v27
	v_mul_u32_u24_e32 v27, 0x10001, v27
	s_delay_alu instid0(VALU_DEP_1) | instskip(SKIP_1) | instid1(VALU_DEP_1)
	v_pk_mul_f16 v60, v161, v27
	v_mul_f32_e32 v27, 0x3fb8aa3b, v23
	v_fma_f32 v33, 0x3fb8aa3b, v23, -v27
	v_rndne_f32_e32 v38, v27
	s_delay_alu instid0(VALU_DEP_2) | instskip(NEXT) | instid1(VALU_DEP_2)
	v_fmac_f32_e32 v33, 0x32a5705f, v23
	v_sub_f32_e32 v27, v27, v38
	s_delay_alu instid0(VALU_DEP_1) | instskip(SKIP_1) | instid1(VALU_DEP_2)
	v_add_f32_e32 v27, v27, v33
	v_cvt_i32_f32_e32 v33, v38
	v_exp_f32_e32 v27, v27
	v_nop
	s_delay_alu instid0(TRANS32_DEP_1) | instskip(NEXT) | instid1(VALU_DEP_1)
	v_ldexp_f32 v27, v27, v33
	v_cndmask_b32_e32 v27, 0, v27, vcc_lo
	v_cmp_nlt_f32_e32 vcc_lo, 0x42b17218, v23
	s_delay_alu instid0(VALU_DEP_2) | instskip(SKIP_2) | instid1(VALU_DEP_2)
	v_cndmask_b32_e32 v23, 0x7f800000, v27, vcc_lo
	v_mul_f32_e32 v27, 0x3fb8aa3b, v25
	v_cmp_ngt_f32_e32 vcc_lo, 0xc2ce8ed0, v25
	v_fma_f32 v33, 0x3fb8aa3b, v25, -v27
	v_rndne_f32_e32 v38, v27
	s_delay_alu instid0(VALU_DEP_2) | instskip(NEXT) | instid1(VALU_DEP_2)
	v_fmac_f32_e32 v33, 0x32a5705f, v25
	v_sub_f32_e32 v27, v27, v38
	s_delay_alu instid0(VALU_DEP_1) | instskip(SKIP_1) | instid1(VALU_DEP_2)
	v_add_f32_e32 v27, v27, v33
	v_cvt_i32_f32_e32 v33, v38
	v_exp_f32_e32 v27, v27
	v_nop
	s_delay_alu instid0(TRANS32_DEP_1) | instskip(NEXT) | instid1(VALU_DEP_1)
	v_ldexp_f32 v27, v27, v33
	v_cndmask_b32_e32 v27, 0, v27, vcc_lo
	v_cmp_nlt_f32_e32 vcc_lo, 0x42b17218, v25
	v_mul_f32_e32 v25, 0x3fb8aa3b, v32
	s_delay_alu instid0(VALU_DEP_3) | instskip(NEXT) | instid1(VALU_DEP_2)
	v_cndmask_b32_e32 v27, 0x7f800000, v27, vcc_lo
	v_fma_f32 v33, 0x3fb8aa3b, v32, -v25
	v_rndne_f32_e32 v38, v25
	v_cmp_ngt_f32_e32 vcc_lo, 0xc2ce8ed0, v32
	s_delay_alu instid0(VALU_DEP_3) | instskip(NEXT) | instid1(VALU_DEP_3)
	v_fmac_f32_e32 v33, 0x32a5705f, v32
	v_sub_f32_e32 v25, v25, v38
	s_delay_alu instid0(VALU_DEP_1) | instskip(SKIP_1) | instid1(VALU_DEP_2)
	v_add_f32_e32 v25, v25, v33
	v_cvt_i32_f32_e32 v33, v38
	v_exp_f32_e32 v25, v25
	v_nop
	s_delay_alu instid0(TRANS32_DEP_1) | instskip(SKIP_1) | instid1(VALU_DEP_2)
	v_ldexp_f32 v25, v25, v33
	v_mul_f32_e32 v33, 0x3fb8aa3b, v28
	v_cndmask_b32_e32 v25, 0, v25, vcc_lo
	v_cmp_nlt_f32_e32 vcc_lo, 0x42b17218, v32
	s_delay_alu instid0(VALU_DEP_3) | instskip(SKIP_1) | instid1(VALU_DEP_4)
	v_fma_f32 v38, 0x3fb8aa3b, v28, -v33
	v_rndne_f32_e32 v39, v33
	v_cndmask_b32_e32 v25, 0x7f800000, v25, vcc_lo
	s_delay_alu instid0(VALU_DEP_2) | instskip(SKIP_1) | instid1(VALU_DEP_3)
	v_dual_fmac_f32 v38, 0x32a5705f, v28 :: v_dual_sub_f32 v33, v33, v39
	v_cmp_ngt_f32_e32 vcc_lo, 0xc2ce8ed0, v28
	v_cvt_f16_f32_e32 v32, v25
	s_delay_alu instid0(VALU_DEP_1) | instskip(NEXT) | instid1(VALU_DEP_1)
	v_and_b32_e32 v32, 0xffff, v32
	v_mul_u32_u24_e32 v32, 0x10001, v32
	s_delay_alu instid0(VALU_DEP_1) | instskip(SKIP_3) | instid1(VALU_DEP_3)
	v_pk_mul_f16 v61, v160, v32
	v_dual_sub_f32 v32, v175, v4 :: v_dual_add_f32 v33, v33, v38
	v_cvt_i32_f32_e32 v38, v39
	v_cvt_pk_f16_f32 v67, v22, v23
	v_exp_f32_e32 v33, v33
	v_nop
	s_delay_alu instid0(TRANS32_DEP_1) | instskip(NEXT) | instid1(VALU_DEP_1)
	v_ldexp_f32 v33, v33, v38
	v_cndmask_b32_e32 v33, 0, v33, vcc_lo
	v_cmp_nlt_f32_e32 vcc_lo, 0x42b17218, v28
	s_delay_alu instid0(VALU_DEP_2) | instskip(SKIP_2) | instid1(VALU_DEP_2)
	v_cndmask_b32_e32 v28, 0x7f800000, v33, vcc_lo
	v_mul_f32_e32 v33, 0x3fb8aa3b, v30
	v_cmp_ngt_f32_e32 vcc_lo, 0xc2ce8ed0, v30
	v_fma_f32 v38, 0x3fb8aa3b, v30, -v33
	v_rndne_f32_e32 v39, v33
	s_delay_alu instid0(VALU_DEP_1) | instskip(NEXT) | instid1(VALU_DEP_1)
	v_dual_fmac_f32 v38, 0x32a5705f, v30 :: v_dual_sub_f32 v33, v33, v39
	v_add_f32_e32 v33, v33, v38
	v_cvt_i32_f32_e32 v38, v39
	s_delay_alu instid0(VALU_DEP_2) | instskip(SKIP_1) | instid1(TRANS32_DEP_1)
	v_exp_f32_e32 v33, v33
	v_nop
	v_ldexp_f32 v33, v33, v38
	s_delay_alu instid0(VALU_DEP_1) | instskip(SKIP_1) | instid1(VALU_DEP_2)
	v_cndmask_b32_e32 v33, 0, v33, vcc_lo
	v_cmp_nlt_f32_e32 vcc_lo, 0x42b17218, v30
	v_cndmask_b32_e32 v30, 0x7f800000, v33, vcc_lo
	v_mul_f32_e32 v33, 0x3fb8aa3b, v32
	v_cmp_ngt_f32_e32 vcc_lo, 0xc2ce8ed0, v32
	s_delay_alu instid0(VALU_DEP_2) | instskip(SKIP_1) | instid1(VALU_DEP_1)
	v_fma_f32 v38, 0x3fb8aa3b, v32, -v33
	v_rndne_f32_e32 v39, v33
	v_dual_fmac_f32 v38, 0x32a5705f, v32 :: v_dual_sub_f32 v33, v33, v39
	s_delay_alu instid0(VALU_DEP_1) | instskip(SKIP_1) | instid1(VALU_DEP_2)
	v_add_f32_e32 v33, v33, v38
	v_cvt_i32_f32_e32 v38, v39
	v_exp_f32_e32 v33, v33
	v_nop
	s_delay_alu instid0(TRANS32_DEP_1) | instskip(SKIP_1) | instid1(VALU_DEP_2)
	v_ldexp_f32 v33, v33, v38
	v_mul_f32_e32 v38, 0x3fb8aa3b, v29
	v_cndmask_b32_e32 v33, 0, v33, vcc_lo
	s_delay_alu instid0(VALU_DEP_2) | instskip(SKIP_2) | instid1(VALU_DEP_2)
	v_fma_f32 v39, 0x3fb8aa3b, v29, -v38
	v_rndne_f32_e32 v44, v38
	v_cmp_nlt_f32_e32 vcc_lo, 0x42b17218, v32
	v_dual_fmac_f32 v39, 0x32a5705f, v29 :: v_dual_sub_f32 v38, v38, v44
	v_cndmask_b32_e32 v32, 0x7f800000, v33, vcc_lo
	v_cmp_ngt_f32_e32 vcc_lo, 0xc2ce8ed0, v29
	s_delay_alu instid0(VALU_DEP_3) | instskip(SKIP_1) | instid1(VALU_DEP_4)
	v_add_f32_e32 v38, v38, v39
	v_cvt_i32_f32_e32 v39, v44
	v_cvt_f16_f32_e32 v33, v32
	s_delay_alu instid0(VALU_DEP_3) | instskip(NEXT) | instid1(VALU_DEP_1)
	v_exp_f32_e32 v38, v38
	v_and_b32_e32 v33, 0xffff, v33
	s_delay_alu instid0(TRANS32_DEP_1) | instskip(NEXT) | instid1(VALU_DEP_2)
	v_ldexp_f32 v38, v38, v39
	v_mul_u32_u24_e32 v33, 0x10001, v33
	s_delay_alu instid0(VALU_DEP_2) | instskip(SKIP_1) | instid1(VALU_DEP_3)
	v_cndmask_b32_e32 v38, 0, v38, vcc_lo
	v_cmp_nlt_f32_e32 vcc_lo, 0x42b17218, v29
	v_pk_mul_f16 v62, v159, v33
	v_sub_f32_e32 v33, v174, v5
	s_delay_alu instid0(VALU_DEP_4) | instskip(SKIP_2) | instid1(VALU_DEP_2)
	v_cndmask_b32_e32 v29, 0x7f800000, v38, vcc_lo
	v_mul_f32_e32 v38, 0x3fb8aa3b, v31
	v_cmp_ngt_f32_e32 vcc_lo, 0xc2ce8ed0, v31
	v_fma_f32 v39, 0x3fb8aa3b, v31, -v38
	v_rndne_f32_e32 v44, v38
	s_delay_alu instid0(VALU_DEP_1) | instskip(NEXT) | instid1(VALU_DEP_1)
	v_dual_fmac_f32 v39, 0x32a5705f, v31 :: v_dual_sub_f32 v38, v38, v44
	v_add_f32_e32 v38, v38, v39
	v_cvt_i32_f32_e32 v39, v44
	s_delay_alu instid0(VALU_DEP_2) | instskip(SKIP_1) | instid1(TRANS32_DEP_1)
	v_exp_f32_e32 v38, v38
	v_nop
	v_ldexp_f32 v38, v38, v39
	s_delay_alu instid0(VALU_DEP_1) | instskip(SKIP_1) | instid1(VALU_DEP_2)
	v_cndmask_b32_e32 v38, 0, v38, vcc_lo
	v_cmp_nlt_f32_e32 vcc_lo, 0x42b17218, v31
	v_cndmask_b32_e32 v31, 0x7f800000, v38, vcc_lo
	v_mul_f32_e32 v38, 0x3fb8aa3b, v33
	v_cmp_ngt_f32_e32 vcc_lo, 0xc2ce8ed0, v33
	s_delay_alu instid0(VALU_DEP_2) | instskip(SKIP_1) | instid1(VALU_DEP_1)
	v_fma_f32 v39, 0x3fb8aa3b, v33, -v38
	v_rndne_f32_e32 v44, v38
	v_dual_fmac_f32 v39, 0x32a5705f, v33 :: v_dual_sub_f32 v38, v38, v44
	s_delay_alu instid0(VALU_DEP_1) | instskip(SKIP_1) | instid1(VALU_DEP_2)
	v_add_f32_e32 v38, v38, v39
	v_cvt_i32_f32_e32 v39, v44
	v_exp_f32_e32 v38, v38
	v_nop
	s_delay_alu instid0(TRANS32_DEP_1) | instskip(SKIP_1) | instid1(VALU_DEP_2)
	v_ldexp_f32 v38, v38, v39
	v_mul_f32_e32 v39, 0x3fb8aa3b, v34
	v_cndmask_b32_e32 v38, 0, v38, vcc_lo
	s_delay_alu instid0(VALU_DEP_2) | instskip(SKIP_2) | instid1(VALU_DEP_2)
	v_fma_f32 v44, 0x3fb8aa3b, v34, -v39
	v_rndne_f32_e32 v45, v39
	v_cmp_nlt_f32_e32 vcc_lo, 0x42b17218, v33
	v_dual_fmac_f32 v44, 0x32a5705f, v34 :: v_dual_sub_f32 v39, v39, v45
	v_cndmask_b32_e32 v33, 0x7f800000, v38, vcc_lo
	v_cmp_ngt_f32_e32 vcc_lo, 0xc2ce8ed0, v34
	s_delay_alu instid0(VALU_DEP_3) | instskip(SKIP_1) | instid1(VALU_DEP_4)
	v_add_f32_e32 v39, v39, v44
	v_cvt_i32_f32_e32 v44, v45
	v_cvt_f16_f32_e32 v38, v33
	s_delay_alu instid0(VALU_DEP_3) | instskip(NEXT) | instid1(VALU_DEP_1)
	v_exp_f32_e32 v39, v39
	v_and_b32_e32 v38, 0xffff, v38
	s_delay_alu instid0(TRANS32_DEP_1) | instskip(NEXT) | instid1(VALU_DEP_2)
	v_ldexp_f32 v39, v39, v44
	v_mul_u32_u24_e32 v38, 0x10001, v38
	s_delay_alu instid0(VALU_DEP_2) | instskip(SKIP_1) | instid1(VALU_DEP_3)
	v_cndmask_b32_e32 v39, 0, v39, vcc_lo
	v_cmp_nlt_f32_e32 vcc_lo, 0x42b17218, v34
	v_pk_mul_f16 v63, v158, v38
	v_sub_f32_e32 v38, v173, v6
	s_delay_alu instid0(VALU_DEP_4) | instskip(SKIP_2) | instid1(VALU_DEP_2)
	v_cndmask_b32_e32 v34, 0x7f800000, v39, vcc_lo
	v_mul_f32_e32 v39, 0x3fb8aa3b, v36
	v_cmp_ngt_f32_e32 vcc_lo, 0xc2ce8ed0, v36
	v_fma_f32 v44, 0x3fb8aa3b, v36, -v39
	v_rndne_f32_e32 v45, v39
	s_delay_alu instid0(VALU_DEP_1) | instskip(NEXT) | instid1(VALU_DEP_1)
	v_dual_fmac_f32 v44, 0x32a5705f, v36 :: v_dual_sub_f32 v39, v39, v45
	v_add_f32_e32 v39, v39, v44
	v_cvt_i32_f32_e32 v44, v45
	s_delay_alu instid0(VALU_DEP_2) | instskip(SKIP_1) | instid1(TRANS32_DEP_1)
	v_exp_f32_e32 v39, v39
	v_nop
	v_ldexp_f32 v39, v39, v44
	s_delay_alu instid0(VALU_DEP_1) | instskip(SKIP_1) | instid1(VALU_DEP_2)
	v_cndmask_b32_e32 v39, 0, v39, vcc_lo
	v_cmp_nlt_f32_e32 vcc_lo, 0x42b17218, v36
	v_cndmask_b32_e32 v36, 0x7f800000, v39, vcc_lo
	v_mul_f32_e32 v39, 0x3fb8aa3b, v38
	v_cmp_ngt_f32_e32 vcc_lo, 0xc2ce8ed0, v38
	s_delay_alu instid0(VALU_DEP_2) | instskip(SKIP_1) | instid1(VALU_DEP_1)
	v_fma_f32 v44, 0x3fb8aa3b, v38, -v39
	v_rndne_f32_e32 v45, v39
	v_dual_fmac_f32 v44, 0x32a5705f, v38 :: v_dual_sub_f32 v39, v39, v45
	s_delay_alu instid0(VALU_DEP_1) | instskip(SKIP_1) | instid1(VALU_DEP_2)
	v_add_f32_e32 v39, v39, v44
	v_cvt_i32_f32_e32 v44, v45
	v_exp_f32_e32 v39, v39
	v_nop
	s_delay_alu instid0(TRANS32_DEP_1) | instskip(SKIP_1) | instid1(VALU_DEP_2)
	v_ldexp_f32 v39, v39, v44
	v_mul_f32_e32 v44, 0x3fb8aa3b, v35
	v_cndmask_b32_e32 v39, 0, v39, vcc_lo
	s_delay_alu instid0(VALU_DEP_2) | instskip(SKIP_2) | instid1(VALU_DEP_2)
	v_fma_f32 v45, 0x3fb8aa3b, v35, -v44
	v_rndne_f32_e32 v50, v44
	v_cmp_nlt_f32_e32 vcc_lo, 0x42b17218, v38
	v_dual_fmac_f32 v45, 0x32a5705f, v35 :: v_dual_sub_f32 v44, v44, v50
	v_cndmask_b32_e32 v38, 0x7f800000, v39, vcc_lo
	v_cmp_ngt_f32_e32 vcc_lo, 0xc2ce8ed0, v35
	s_delay_alu instid0(VALU_DEP_3) | instskip(SKIP_1) | instid1(VALU_DEP_4)
	v_add_f32_e32 v44, v44, v45
	v_cvt_i32_f32_e32 v45, v50
	v_cvt_f16_f32_e32 v39, v38
	v_cvt_pk_f16_f32 v68, v28, v29
	s_delay_alu instid0(VALU_DEP_4) | instskip(NEXT) | instid1(VALU_DEP_2)
	v_exp_f32_e32 v44, v44
	v_and_b32_e32 v39, 0xffff, v39
	s_delay_alu instid0(TRANS32_DEP_1) | instskip(NEXT) | instid1(VALU_DEP_2)
	v_ldexp_f32 v44, v44, v45
	v_mul_u32_u24_e32 v39, 0x10001, v39
	s_delay_alu instid0(VALU_DEP_2) | instskip(SKIP_1) | instid1(VALU_DEP_3)
	v_cndmask_b32_e32 v44, 0, v44, vcc_lo
	v_cmp_nlt_f32_e32 vcc_lo, 0x42b17218, v35
	v_pk_mul_f16 v64, v157, v39
	s_delay_alu instid0(VALU_DEP_3) | instskip(SKIP_2) | instid1(VALU_DEP_2)
	v_cndmask_b32_e32 v35, 0x7f800000, v44, vcc_lo
	v_mul_f32_e32 v44, 0x3fb8aa3b, v37
	v_cmp_ngt_f32_e32 vcc_lo, 0xc2ce8ed0, v37
	v_fma_f32 v45, 0x3fb8aa3b, v37, -v44
	v_rndne_f32_e32 v50, v44
	s_delay_alu instid0(VALU_DEP_1) | instskip(NEXT) | instid1(VALU_DEP_1)
	v_dual_fmac_f32 v45, 0x32a5705f, v37 :: v_dual_sub_f32 v44, v44, v50
	v_add_f32_e32 v44, v44, v45
	v_cvt_i32_f32_e32 v45, v50
	s_delay_alu instid0(VALU_DEP_2) | instskip(SKIP_1) | instid1(TRANS32_DEP_1)
	v_exp_f32_e32 v44, v44
	v_nop
	v_ldexp_f32 v44, v44, v45
	s_delay_alu instid0(VALU_DEP_1) | instskip(SKIP_1) | instid1(VALU_DEP_2)
	v_dual_sub_f32 v39, v172, v7 :: v_dual_cndmask_b32 v44, 0, v44
	v_cmp_nlt_f32_e32 vcc_lo, 0x42b17218, v37
	v_cndmask_b32_e32 v37, 0x7f800000, v44, vcc_lo
	s_delay_alu instid0(VALU_DEP_3) | instskip(SKIP_1) | instid1(VALU_DEP_2)
	v_mul_f32_e32 v44, 0x3fb8aa3b, v39
	v_cmp_ngt_f32_e32 vcc_lo, 0xc2ce8ed0, v39
	v_fma_f32 v45, 0x3fb8aa3b, v39, -v44
	v_rndne_f32_e32 v50, v44
	s_delay_alu instid0(VALU_DEP_1) | instskip(NEXT) | instid1(VALU_DEP_1)
	v_dual_fmac_f32 v45, 0x32a5705f, v39 :: v_dual_sub_f32 v44, v44, v50
	v_add_f32_e32 v44, v44, v45
	v_cvt_i32_f32_e32 v45, v50
	s_delay_alu instid0(VALU_DEP_2) | instskip(SKIP_1) | instid1(TRANS32_DEP_1)
	v_exp_f32_e32 v44, v44
	v_nop
	v_ldexp_f32 v44, v44, v45
	v_mul_f32_e32 v45, 0x3fb8aa3b, v40
	s_delay_alu instid0(VALU_DEP_2) | instskip(SKIP_1) | instid1(VALU_DEP_3)
	v_cndmask_b32_e32 v44, 0, v44, vcc_lo
	v_cmp_nlt_f32_e32 vcc_lo, 0x42b17218, v39
	v_fma_f32 v50, 0x3fb8aa3b, v40, -v45
	v_rndne_f32_e32 v51, v45
	s_delay_alu instid0(VALU_DEP_4) | instskip(NEXT) | instid1(VALU_DEP_2)
	v_cndmask_b32_e32 v39, 0x7f800000, v44, vcc_lo
	v_sub_f32_e32 v45, v45, v51
	v_cmp_ngt_f32_e32 vcc_lo, 0xc2ce8ed0, v40
	v_fmac_f32_e32 v50, 0x32a5705f, v40
	s_delay_alu instid0(VALU_DEP_4) | instskip(NEXT) | instid1(VALU_DEP_2)
	v_cvt_f16_f32_e32 v44, v39
	v_add_f32_e32 v45, v45, v50
	v_cvt_i32_f32_e32 v50, v51
	s_delay_alu instid0(VALU_DEP_3) | instskip(NEXT) | instid1(VALU_DEP_3)
	v_and_b32_e32 v44, 0xffff, v44
	v_exp_f32_e32 v45, v45
	s_delay_alu instid0(VALU_DEP_1) | instskip(NEXT) | instid1(TRANS32_DEP_1)
	v_mul_u32_u24_e32 v44, 0x10001, v44
	v_ldexp_f32 v45, v45, v50
	s_delay_alu instid0(VALU_DEP_2) | instskip(NEXT) | instid1(VALU_DEP_2)
	v_pk_mul_f16 v65, v156, v44
	v_dual_sub_f32 v44, v171, v8 :: v_dual_cndmask_b32 v45, 0, v45
	v_cmp_nlt_f32_e32 vcc_lo, 0x42b17218, v40
	s_delay_alu instid0(VALU_DEP_2) | instskip(SKIP_1) | instid1(VALU_DEP_1)
	v_cndmask_b32_e32 v40, 0x7f800000, v45, vcc_lo
	v_mul_f32_e32 v45, 0x3fb8aa3b, v42
	v_fma_f32 v50, 0x3fb8aa3b, v42, -v45
	v_rndne_f32_e32 v51, v45
	s_delay_alu instid0(VALU_DEP_1) | instskip(NEXT) | instid1(VALU_DEP_1)
	v_dual_fmac_f32 v50, 0x32a5705f, v42 :: v_dual_sub_f32 v45, v45, v51
	v_add_f32_e32 v45, v45, v50
	v_cvt_i32_f32_e32 v50, v51
	v_cmp_ngt_f32_e32 vcc_lo, 0xc2ce8ed0, v42
	s_delay_alu instid0(VALU_DEP_3) | instskip(SKIP_1) | instid1(TRANS32_DEP_1)
	v_exp_f32_e32 v45, v45
	v_nop
	v_ldexp_f32 v45, v45, v50
	s_delay_alu instid0(VALU_DEP_1) | instskip(SKIP_1) | instid1(VALU_DEP_2)
	v_cndmask_b32_e32 v45, 0, v45, vcc_lo
	v_cmp_nlt_f32_e32 vcc_lo, 0x42b17218, v42
	v_cndmask_b32_e32 v42, 0x7f800000, v45, vcc_lo
	v_mul_f32_e32 v45, 0x3fb8aa3b, v44
	v_cmp_ngt_f32_e32 vcc_lo, 0xc2ce8ed0, v44
	s_delay_alu instid0(VALU_DEP_2) | instskip(SKIP_1) | instid1(VALU_DEP_1)
	v_fma_f32 v50, 0x3fb8aa3b, v44, -v45
	v_rndne_f32_e32 v51, v45
	v_dual_fmac_f32 v50, 0x32a5705f, v44 :: v_dual_sub_f32 v45, v45, v51
	s_delay_alu instid0(VALU_DEP_1) | instskip(SKIP_1) | instid1(VALU_DEP_2)
	v_add_f32_e32 v45, v45, v50
	v_cvt_i32_f32_e32 v50, v51
	v_exp_f32_e32 v45, v45
	v_nop
	s_delay_alu instid0(TRANS32_DEP_1) | instskip(SKIP_1) | instid1(VALU_DEP_2)
	v_ldexp_f32 v45, v45, v50
	v_mul_f32_e32 v50, 0x3fb8aa3b, v41
	v_cndmask_b32_e32 v45, 0, v45, vcc_lo
	s_delay_alu instid0(VALU_DEP_2) | instskip(SKIP_2) | instid1(VALU_DEP_2)
	v_fma_f32 v51, 0x3fb8aa3b, v41, -v50
	v_rndne_f32_e32 v56, v50
	v_cmp_nlt_f32_e32 vcc_lo, 0x42b17218, v44
	v_dual_fmac_f32 v51, 0x32a5705f, v41 :: v_dual_sub_f32 v50, v50, v56
	v_cndmask_b32_e32 v44, 0x7f800000, v45, vcc_lo
	v_cmp_ngt_f32_e32 vcc_lo, 0xc2ce8ed0, v41
	s_delay_alu instid0(VALU_DEP_3) | instskip(SKIP_1) | instid1(VALU_DEP_4)
	v_add_f32_e32 v50, v50, v51
	v_cvt_i32_f32_e32 v51, v56
	v_cvt_f16_f32_e32 v45, v44
	v_cvt_pk_f16_f32 v69, v34, v35
	s_delay_alu instid0(VALU_DEP_4) | instskip(NEXT) | instid1(VALU_DEP_2)
	v_exp_f32_e32 v50, v50
	v_and_b32_e32 v45, 0xffff, v45
	ds_store_b128 v140, v[66:69]
	v_cvt_pk_f16_f32 v68, v30, v31
	v_cvt_pk_f16_f32 v67, v26, v27
	;; [unrolled: 1-line block ×3, first 2 shown]
	v_ldexp_f32 v50, v50, v51
	v_mul_u32_u24_e32 v45, 0x10001, v45
	v_pk_add_f32 v[20:21], v[22:23], v[26:27]
	v_pk_add_f32 v[22:23], v[28:29], v[30:31]
	s_delay_alu instid0(VALU_DEP_4) | instskip(SKIP_1) | instid1(VALU_DEP_4)
	v_cndmask_b32_e32 v50, 0, v50, vcc_lo
	v_cmp_nlt_f32_e32 vcc_lo, 0x42b17218, v41
	v_pk_fma_f32 v[84:85], v[84:85], v[24:25], v[20:21]
	s_delay_alu instid0(VALU_DEP_4) | instskip(NEXT) | instid1(VALU_DEP_4)
	v_pk_fma_f32 v[82:83], v[82:83], v[32:33], v[22:23]
	v_cndmask_b32_e32 v41, 0x7f800000, v50, vcc_lo
	v_mul_f32_e32 v50, 0x3fb8aa3b, v43
	v_cmp_ngt_f32_e32 vcc_lo, 0xc2ce8ed0, v43
	s_delay_alu instid0(VALU_DEP_2) | instskip(SKIP_1) | instid1(VALU_DEP_1)
	v_fma_f32 v51, 0x3fb8aa3b, v43, -v50
	v_rndne_f32_e32 v56, v50
	v_dual_fmac_f32 v51, 0x32a5705f, v43 :: v_dual_sub_f32 v50, v50, v56
	s_delay_alu instid0(VALU_DEP_1) | instskip(SKIP_3) | instid1(VALU_DEP_4)
	v_add_f32_e32 v50, v50, v51
	v_cvt_i32_f32_e32 v51, v56
	v_cvt_pk_f16_f32 v69, v36, v37
	v_pk_add_f32 v[26:27], v[34:35], v[36:37]
	v_exp_f32_e32 v50, v50
	ds_store_b128 v140, v[66:69] offset:512
	v_pk_mul_f16 v66, v155, v45
	v_ldexp_f32 v50, v50, v51
	s_delay_alu instid0(VALU_DEP_1) | instskip(SKIP_1) | instid1(VALU_DEP_2)
	v_dual_sub_f32 v45, v170, v9 :: v_dual_cndmask_b32 v50, 0, v50
	v_cmp_nlt_f32_e32 vcc_lo, 0x42b17218, v43
	v_cndmask_b32_e32 v43, 0x7f800000, v50, vcc_lo
	s_delay_alu instid0(VALU_DEP_3) | instskip(SKIP_1) | instid1(VALU_DEP_2)
	v_mul_f32_e32 v50, 0x3fb8aa3b, v45
	v_cmp_ngt_f32_e32 vcc_lo, 0xc2ce8ed0, v45
	v_fma_f32 v51, 0x3fb8aa3b, v45, -v50
	v_rndne_f32_e32 v56, v50
	s_delay_alu instid0(VALU_DEP_1) | instskip(NEXT) | instid1(VALU_DEP_1)
	v_dual_fmac_f32 v51, 0x32a5705f, v45 :: v_dual_sub_f32 v50, v50, v56
	v_add_f32_e32 v50, v50, v51
	v_cvt_i32_f32_e32 v51, v56
	v_pk_fma_f32 v[80:81], v[80:81], v[38:39], v[26:27]
	s_delay_alu instid0(VALU_DEP_3) | instskip(SKIP_1) | instid1(TRANS32_DEP_1)
	v_exp_f32_e32 v50, v50
	v_nop
	v_ldexp_f32 v50, v50, v51
	v_mul_f32_e32 v51, 0x3fb8aa3b, v46
	s_delay_alu instid0(VALU_DEP_2) | instskip(NEXT) | instid1(VALU_DEP_2)
	v_cndmask_b32_e32 v50, 0, v50, vcc_lo
	v_fma_f32 v56, 0x3fb8aa3b, v46, -v51
	v_rndne_f32_e32 v57, v51
	v_cmp_nlt_f32_e32 vcc_lo, 0x42b17218, v45
	s_delay_alu instid0(VALU_DEP_2) | instskip(SKIP_2) | instid1(VALU_DEP_3)
	v_dual_sub_f32 v51, v51, v57 :: v_dual_fmac_f32 v56, 0x32a5705f, v46
	v_cndmask_b32_e32 v45, 0x7f800000, v50, vcc_lo
	v_cmp_ngt_f32_e32 vcc_lo, 0xc2ce8ed0, v46
	v_add_f32_e32 v51, v51, v56
	v_cvt_i32_f32_e32 v56, v57
	s_delay_alu instid0(VALU_DEP_4) | instskip(NEXT) | instid1(VALU_DEP_3)
	v_cvt_f16_f32_e32 v50, v45
	v_exp_f32_e32 v51, v51
	s_delay_alu instid0(VALU_DEP_1) | instskip(NEXT) | instid1(TRANS32_DEP_1)
	v_and_b32_e32 v50, 0xffff, v50
	v_ldexp_f32 v51, v51, v56
	s_delay_alu instid0(VALU_DEP_2) | instskip(NEXT) | instid1(VALU_DEP_2)
	v_mul_u32_u24_e32 v50, 0x10001, v50
	v_cndmask_b32_e32 v51, 0, v51, vcc_lo
	v_cmp_nlt_f32_e32 vcc_lo, 0x42b17218, v46
	s_delay_alu instid0(VALU_DEP_3) | instskip(SKIP_1) | instid1(VALU_DEP_4)
	v_pk_mul_f16 v67, v154, v50
	v_sub_f32_e32 v50, v169, v10
	v_cndmask_b32_e32 v46, 0x7f800000, v51, vcc_lo
	v_mul_f32_e32 v51, 0x3fb8aa3b, v48
	v_cmp_ngt_f32_e32 vcc_lo, 0xc2ce8ed0, v48
	s_delay_alu instid0(VALU_DEP_2) | instskip(SKIP_1) | instid1(VALU_DEP_1)
	v_fma_f32 v56, 0x3fb8aa3b, v48, -v51
	v_rndne_f32_e32 v57, v51
	v_dual_fmac_f32 v56, 0x32a5705f, v48 :: v_dual_sub_f32 v51, v51, v57
	s_delay_alu instid0(VALU_DEP_1) | instskip(SKIP_1) | instid1(VALU_DEP_2)
	v_add_f32_e32 v51, v51, v56
	v_cvt_i32_f32_e32 v56, v57
	v_exp_f32_e32 v51, v51
	v_nop
	s_delay_alu instid0(TRANS32_DEP_1) | instskip(NEXT) | instid1(VALU_DEP_1)
	v_ldexp_f32 v51, v51, v56
	v_cndmask_b32_e32 v51, 0, v51, vcc_lo
	v_cmp_nlt_f32_e32 vcc_lo, 0x42b17218, v48
	s_delay_alu instid0(VALU_DEP_2) | instskip(SKIP_2) | instid1(VALU_DEP_2)
	v_cndmask_b32_e32 v48, 0x7f800000, v51, vcc_lo
	v_mul_f32_e32 v51, 0x3fb8aa3b, v50
	v_cmp_ngt_f32_e32 vcc_lo, 0xc2ce8ed0, v50
	v_fma_f32 v56, 0x3fb8aa3b, v50, -v51
	v_rndne_f32_e32 v57, v51
	s_delay_alu instid0(VALU_DEP_1) | instskip(NEXT) | instid1(VALU_DEP_1)
	v_dual_fmac_f32 v56, 0x32a5705f, v50 :: v_dual_sub_f32 v51, v51, v57
	v_add_f32_e32 v51, v51, v56
	v_cvt_i32_f32_e32 v56, v57
	s_delay_alu instid0(VALU_DEP_2) | instskip(SKIP_1) | instid1(TRANS32_DEP_1)
	v_exp_f32_e32 v51, v51
	v_nop
	v_ldexp_f32 v51, v51, v56
	v_mul_f32_e32 v56, 0x3fb8aa3b, v47
	s_delay_alu instid0(VALU_DEP_2) | instskip(NEXT) | instid1(VALU_DEP_2)
	v_cndmask_b32_e32 v51, 0, v51, vcc_lo
	v_fma_f32 v57, 0x3fb8aa3b, v47, -v56
	v_rndne_f32_e32 v69, v56
	v_cmp_nlt_f32_e32 vcc_lo, 0x42b17218, v50
	s_delay_alu instid0(VALU_DEP_2) | instskip(SKIP_3) | instid1(VALU_DEP_4)
	v_dual_fmac_f32 v57, 0x32a5705f, v47 :: v_dual_sub_f32 v56, v56, v69
	v_cndmask_b32_e32 v50, 0x7f800000, v51, vcc_lo
	v_cmp_ngt_f32_e32 vcc_lo, 0xc2ce8ed0, v47
	v_pk_add_f32 v[28:29], v[40:41], v[42:43]
	v_add_f32_e32 v56, v56, v57
	s_delay_alu instid0(VALU_DEP_4) | instskip(SKIP_1) | instid1(VALU_DEP_4)
	v_cvt_f16_f32_e32 v51, v50
	v_cvt_i32_f32_e32 v57, v69
	v_pk_fma_f32 v[78:79], v[78:79], v[44:45], v[28:29]
	s_delay_alu instid0(VALU_DEP_4) | instskip(NEXT) | instid1(VALU_DEP_3)
	v_exp_f32_e32 v56, v56
	v_and_b32_e32 v51, 0xffff, v51
	s_delay_alu instid0(VALU_DEP_1) | instskip(NEXT) | instid1(TRANS32_DEP_1)
	v_mul_u32_u24_e32 v51, 0x10001, v51
	v_ldexp_f32 v56, v56, v57
	s_delay_alu instid0(VALU_DEP_2) | instskip(NEXT) | instid1(VALU_DEP_2)
	v_pk_mul_f16 v68, v153, v51
	v_dual_sub_f32 v51, v168, v11 :: v_dual_cndmask_b32 v56, 0, v56
	v_cmp_nlt_f32_e32 vcc_lo, 0x42b17218, v47
	s_delay_alu instid0(VALU_DEP_2) | instskip(SKIP_2) | instid1(VALU_DEP_2)
	v_cndmask_b32_e32 v47, 0x7f800000, v56, vcc_lo
	v_mul_f32_e32 v56, 0x3fb8aa3b, v49
	v_cmp_ngt_f32_e32 vcc_lo, 0xc2ce8ed0, v49
	v_fma_f32 v57, 0x3fb8aa3b, v49, -v56
	v_rndne_f32_e32 v69, v56
	s_delay_alu instid0(VALU_DEP_2) | instskip(NEXT) | instid1(VALU_DEP_2)
	v_fmac_f32_e32 v57, 0x32a5705f, v49
	v_sub_f32_e32 v56, v56, v69
	s_delay_alu instid0(VALU_DEP_1) | instskip(SKIP_2) | instid1(VALU_DEP_3)
	v_add_f32_e32 v56, v56, v57
	v_cvt_i32_f32_e32 v57, v69
	v_cvt_pk_f16_f32 v17, v46, v47
	v_exp_f32_e32 v56, v56
	v_nop
	s_delay_alu instid0(TRANS32_DEP_1) | instskip(NEXT) | instid1(VALU_DEP_1)
	v_ldexp_f32 v56, v56, v57
	v_cndmask_b32_e32 v56, 0, v56, vcc_lo
	v_cmp_nlt_f32_e32 vcc_lo, 0x42b17218, v49
	s_delay_alu instid0(VALU_DEP_2) | instskip(SKIP_2) | instid1(VALU_DEP_2)
	v_cndmask_b32_e32 v49, 0x7f800000, v56, vcc_lo
	v_mul_f32_e32 v56, 0x3fb8aa3b, v51
	v_cmp_ngt_f32_e32 vcc_lo, 0xc2ce8ed0, v51
	v_fma_f32 v57, 0x3fb8aa3b, v51, -v56
	v_rndne_f32_e32 v69, v56
	s_delay_alu instid0(VALU_DEP_1) | instskip(SKIP_1) | instid1(VALU_DEP_2)
	v_dual_fmac_f32 v57, 0x32a5705f, v51 :: v_dual_sub_f32 v56, v56, v69
	v_pk_add_f32 v[30:31], v[46:47], v[48:49]
	v_add_f32_e32 v56, v56, v57
	v_cvt_i32_f32_e32 v57, v69
	s_delay_alu instid0(VALU_DEP_2) | instskip(SKIP_1) | instid1(TRANS32_DEP_1)
	v_exp_f32_e32 v56, v56
	v_nop
	v_ldexp_f32 v56, v56, v57
	v_mul_f32_e32 v57, 0x3fb8aa3b, v52
	s_delay_alu instid0(VALU_DEP_2) | instskip(NEXT) | instid1(VALU_DEP_2)
	v_cndmask_b32_e32 v56, 0, v56, vcc_lo
	v_fma_f32 v70, 0x3fb8aa3b, v52, -v57
	v_rndne_f32_e32 v71, v57
	v_cmp_nlt_f32_e32 vcc_lo, 0x42b17218, v51
	s_delay_alu instid0(VALU_DEP_2) | instskip(SKIP_2) | instid1(VALU_DEP_3)
	v_dual_fmac_f32 v70, 0x32a5705f, v52 :: v_dual_sub_f32 v57, v57, v71
	v_cndmask_b32_e32 v51, 0x7f800000, v56, vcc_lo
	v_cmp_ngt_f32_e32 vcc_lo, 0xc2ce8ed0, v52
	v_add_f32_e32 v57, v57, v70
	s_delay_alu instid0(VALU_DEP_3) | instskip(SKIP_1) | instid1(VALU_DEP_3)
	v_cvt_f16_f32_e32 v56, v51
	v_cvt_i32_f32_e32 v70, v71
	v_exp_f32_e32 v57, v57
	s_delay_alu instid0(VALU_DEP_2) | instskip(NEXT) | instid1(VALU_DEP_1)
	v_and_b32_e32 v56, 0xffff, v56
	v_mul_u32_u24_e32 v56, 0x10001, v56
	s_delay_alu instid0(TRANS32_DEP_1) | instskip(NEXT) | instid1(VALU_DEP_2)
	v_ldexp_f32 v57, v57, v70
	v_pk_mul_f16 v69, v152, v56
	s_delay_alu instid0(VALU_DEP_2) | instskip(SKIP_1) | instid1(VALU_DEP_2)
	v_dual_sub_f32 v56, v167, v12 :: v_dual_cndmask_b32 v57, 0, v57
	v_cmp_nlt_f32_e32 vcc_lo, 0x42b17218, v52
	v_cndmask_b32_e32 v52, 0x7f800000, v57, vcc_lo
	v_mul_f32_e32 v57, 0x3fb8aa3b, v54
	v_cmp_ngt_f32_e32 vcc_lo, 0xc2ce8ed0, v54
	s_delay_alu instid0(VALU_DEP_2) | instskip(SKIP_1) | instid1(VALU_DEP_1)
	v_fma_f32 v70, 0x3fb8aa3b, v54, -v57
	v_rndne_f32_e32 v71, v57
	v_dual_fmac_f32 v70, 0x32a5705f, v54 :: v_dual_sub_f32 v57, v57, v71
	s_delay_alu instid0(VALU_DEP_1) | instskip(SKIP_1) | instid1(VALU_DEP_2)
	v_add_f32_e32 v57, v57, v70
	v_cvt_i32_f32_e32 v70, v71
	v_exp_f32_e32 v57, v57
	v_nop
	s_delay_alu instid0(TRANS32_DEP_1) | instskip(NEXT) | instid1(VALU_DEP_1)
	v_ldexp_f32 v57, v57, v70
	v_cndmask_b32_e32 v57, 0, v57, vcc_lo
	v_cmp_nlt_f32_e32 vcc_lo, 0x42b17218, v54
	s_delay_alu instid0(VALU_DEP_2) | instskip(SKIP_2) | instid1(VALU_DEP_2)
	v_cndmask_b32_e32 v54, 0x7f800000, v57, vcc_lo
	v_mul_f32_e32 v57, 0x3fb8aa3b, v56
	v_cmp_ngt_f32_e32 vcc_lo, 0xc2ce8ed0, v56
	v_fma_f32 v70, 0x3fb8aa3b, v56, -v57
	v_rndne_f32_e32 v71, v57
	s_delay_alu instid0(VALU_DEP_1) | instskip(NEXT) | instid1(VALU_DEP_1)
	v_dual_fmac_f32 v70, 0x32a5705f, v56 :: v_dual_sub_f32 v57, v57, v71
	v_add_f32_e32 v57, v57, v70
	v_cvt_i32_f32_e32 v70, v71
	v_mul_f32_e32 v71, 0x3fb8aa3b, v53
	s_delay_alu instid0(VALU_DEP_1) | instskip(SKIP_1) | instid1(VALU_DEP_2)
	v_fma_f32 v106, 0x3fb8aa3b, v53, -v71
	v_rndne_f32_e32 v107, v71
	v_fmac_f32_e32 v106, 0x32a5705f, v53
	v_exp_f32_e32 v57, v57
	s_delay_alu instid0(VALU_DEP_2) | instskip(NEXT) | instid1(VALU_DEP_1)
	v_sub_f32_e32 v71, v71, v107
	v_add_f32_e32 v71, v71, v106
	s_delay_alu instid0(TRANS32_DEP_1) | instskip(SKIP_1) | instid1(VALU_DEP_3)
	v_ldexp_f32 v57, v57, v70
	v_cvt_i32_f32_e32 v106, v107
	v_exp_f32_e32 v71, v71
	s_delay_alu instid0(VALU_DEP_2) | instskip(SKIP_1) | instid1(VALU_DEP_2)
	v_cndmask_b32_e32 v57, 0, v57, vcc_lo
	v_cmp_nlt_f32_e32 vcc_lo, 0x42b17218, v56
	v_cndmask_b32_e32 v56, 0x7f800000, v57, vcc_lo
	v_cmp_ngt_f32_e32 vcc_lo, 0xc2ce8ed0, v53
	s_delay_alu instid0(TRANS32_DEP_1) | instskip(NEXT) | instid1(VALU_DEP_3)
	v_ldexp_f32 v71, v71, v106
	v_cvt_f16_f32_e32 v57, v56
	s_delay_alu instid0(VALU_DEP_2) | instskip(SKIP_1) | instid1(VALU_DEP_3)
	v_cndmask_b32_e32 v71, 0, v71, vcc_lo
	v_cmp_nlt_f32_e32 vcc_lo, 0x42b17218, v53
	v_and_b32_e32 v57, 0xffff, v57
	s_delay_alu instid0(VALU_DEP_3) | instskip(SKIP_1) | instid1(VALU_DEP_3)
	v_cndmask_b32_e32 v53, 0x7f800000, v71, vcc_lo
	v_mul_f32_e32 v71, 0x3fb8aa3b, v55
	v_mul_u32_u24_e32 v57, 0x10001, v57
	v_cmp_ngt_f32_e32 vcc_lo, 0xc2ce8ed0, v55
	s_delay_alu instid0(VALU_DEP_3) | instskip(NEXT) | instid1(VALU_DEP_3)
	v_fma_f32 v106, 0x3fb8aa3b, v55, -v71
	v_pk_mul_f16 v70, v151, v57
	v_sub_f32_e32 v57, v166, v13
	v_rndne_f32_e32 v107, v71
	s_delay_alu instid0(VALU_DEP_4) | instskip(NEXT) | instid1(VALU_DEP_2)
	v_fmac_f32_e32 v106, 0x32a5705f, v55
	v_sub_f32_e32 v71, v71, v107
	s_delay_alu instid0(VALU_DEP_1) | instskip(SKIP_1) | instid1(VALU_DEP_2)
	v_add_f32_e32 v71, v71, v106
	v_cvt_i32_f32_e32 v106, v107
	v_exp_f32_e32 v71, v71
	v_nop
	s_delay_alu instid0(TRANS32_DEP_1) | instskip(NEXT) | instid1(VALU_DEP_1)
	v_ldexp_f32 v71, v71, v106
	v_cndmask_b32_e32 v71, 0, v71, vcc_lo
	v_cmp_nlt_f32_e32 vcc_lo, 0x42b17218, v55
	s_delay_alu instid0(VALU_DEP_2) | instskip(SKIP_2) | instid1(VALU_DEP_2)
	v_cndmask_b32_e32 v55, 0x7f800000, v71, vcc_lo
	v_mul_f32_e32 v71, 0x3fb8aa3b, v57
	v_cmp_ngt_f32_e32 vcc_lo, 0xc2ce8ed0, v57
	v_fma_f32 v106, 0x3fb8aa3b, v57, -v71
	v_rndne_f32_e32 v107, v71
	s_delay_alu instid0(VALU_DEP_1) | instskip(NEXT) | instid1(VALU_DEP_1)
	v_dual_fmac_f32 v106, 0x32a5705f, v57 :: v_dual_sub_f32 v71, v71, v107
	v_add_f32_e32 v71, v71, v106
	v_cvt_i32_f32_e32 v106, v107
	v_sub_f32_e32 v107, v165, v14
	s_delay_alu instid0(VALU_DEP_3) | instskip(SKIP_1) | instid1(TRANS32_DEP_1)
	v_exp_f32_e32 v71, v71
	v_nop
	v_ldexp_f32 v71, v71, v106
	v_sub_f32_e32 v106, v183, v14
	v_pk_fma_f32 v[76:77], v[76:77], v[50:51], v[30:31]
	s_delay_alu instid0(VALU_DEP_2) | instskip(SKIP_1) | instid1(VALU_DEP_2)
	v_dual_cndmask_b32 v71, 0, v71 :: v_dual_mul_f32 v108, 0x3fb8aa3b, v106
	v_cmp_nlt_f32_e32 vcc_lo, 0x42b17218, v57
	v_fma_f32 v109, 0x3fb8aa3b, v106, -v108
	v_rndne_f32_e32 v110, v108
	s_delay_alu instid0(VALU_DEP_4) | instskip(SKIP_1) | instid1(VALU_DEP_4)
	v_cndmask_b32_e32 v57, 0x7f800000, v71, vcc_lo
	v_cmp_ngt_f32_e32 vcc_lo, 0xc2ce8ed0, v106
	v_fmac_f32_e32 v109, 0x32a5705f, v106
	s_delay_alu instid0(VALU_DEP_4) | instskip(NEXT) | instid1(VALU_DEP_1)
	v_sub_f32_e32 v108, v108, v110
	v_add_f32_e32 v108, v108, v109
	v_cvt_i32_f32_e32 v109, v110
	s_delay_alu instid0(VALU_DEP_2) | instskip(SKIP_1) | instid1(TRANS32_DEP_1)
	v_exp_f32_e32 v108, v108
	v_nop
	v_ldexp_f32 v108, v108, v109
	s_delay_alu instid0(VALU_DEP_1) | instskip(SKIP_1) | instid1(VALU_DEP_2)
	v_cndmask_b32_e32 v108, 0, v108, vcc_lo
	v_cmp_nlt_f32_e32 vcc_lo, 0x42b17218, v106
	v_cndmask_b32_e32 v106, 0x7f800000, v108, vcc_lo
	v_sub_f32_e32 v108, v182, v14
	v_cvt_pk_f16_f32 v18, v52, v53
	s_delay_alu instid0(VALU_DEP_2) | instskip(SKIP_1) | instid1(VALU_DEP_2)
	v_mul_f32_e32 v109, 0x3fb8aa3b, v108
	v_cmp_ngt_f32_e32 vcc_lo, 0xc2ce8ed0, v108
	v_fma_f32 v110, 0x3fb8aa3b, v108, -v109
	v_rndne_f32_e32 v111, v109
	s_delay_alu instid0(VALU_DEP_1) | instskip(NEXT) | instid1(VALU_DEP_1)
	v_dual_fmac_f32 v110, 0x32a5705f, v108 :: v_dual_sub_f32 v109, v109, v111
	v_add_f32_e32 v109, v109, v110
	v_cvt_i32_f32_e32 v110, v111
	s_delay_alu instid0(VALU_DEP_2) | instskip(SKIP_1) | instid1(TRANS32_DEP_1)
	v_exp_f32_e32 v109, v109
	v_nop
	v_ldexp_f32 v109, v109, v110
	s_delay_alu instid0(VALU_DEP_1) | instskip(SKIP_1) | instid1(VALU_DEP_2)
	v_cndmask_b32_e32 v109, 0, v109, vcc_lo
	v_cmp_nlt_f32_e32 vcc_lo, 0x42b17218, v108
	v_cndmask_b32_e32 v108, 0x7f800000, v109, vcc_lo
	v_mul_f32_e32 v109, 0x3fb8aa3b, v107
	v_cmp_ngt_f32_e32 vcc_lo, 0xc2ce8ed0, v107
	s_delay_alu instid0(VALU_DEP_2) | instskip(SKIP_1) | instid1(VALU_DEP_2)
	v_fma_f32 v110, 0x3fb8aa3b, v107, -v109
	v_rndne_f32_e32 v111, v109
	v_fmac_f32_e32 v110, 0x32a5705f, v107
	s_delay_alu instid0(VALU_DEP_2) | instskip(NEXT) | instid1(VALU_DEP_1)
	v_sub_f32_e32 v109, v109, v111
	v_add_f32_e32 v109, v109, v110
	v_cvt_i32_f32_e32 v110, v111
	v_sub_f32_e32 v111, v164, v15
	s_delay_alu instid0(VALU_DEP_3) | instskip(SKIP_1) | instid1(TRANS32_DEP_1)
	v_exp_f32_e32 v109, v109
	v_nop
	v_ldexp_f32 v109, v109, v110
	s_delay_alu instid0(VALU_DEP_1) | instskip(SKIP_1) | instid1(VALU_DEP_2)
	v_cndmask_b32_e32 v109, 0, v109, vcc_lo
	v_cmp_nlt_f32_e32 vcc_lo, 0x42b17218, v107
	v_cndmask_b32_e32 v110, 0x7f800000, v109, vcc_lo
	s_delay_alu instid0(VALU_DEP_1) | instskip(NEXT) | instid1(VALU_DEP_1)
	v_cvt_f16_f32_e32 v107, v110
	v_and_b32_e32 v107, 0xffff, v107
	s_delay_alu instid0(VALU_DEP_1) | instskip(NEXT) | instid1(VALU_DEP_1)
	v_mul_u32_u24_e32 v107, 0x10001, v107
	v_pk_mul_f16 v149, v149, v107
	v_sub_f32_e32 v107, v181, v15
	s_delay_alu instid0(VALU_DEP_1) | instskip(SKIP_1) | instid1(VALU_DEP_2)
	v_mul_f32_e32 v109, 0x3fb8aa3b, v107
	v_cmp_ngt_f32_e32 vcc_lo, 0xc2ce8ed0, v107
	v_fma_f32 v112, 0x3fb8aa3b, v107, -v109
	v_rndne_f32_e32 v113, v109
	s_delay_alu instid0(VALU_DEP_1) | instskip(NEXT) | instid1(VALU_DEP_1)
	v_dual_fmac_f32 v112, 0x32a5705f, v107 :: v_dual_sub_f32 v109, v109, v113
	v_add_f32_e32 v109, v109, v112
	v_cvt_i32_f32_e32 v112, v113
	s_delay_alu instid0(VALU_DEP_2) | instskip(SKIP_1) | instid1(TRANS32_DEP_1)
	v_exp_f32_e32 v109, v109
	v_nop
	v_ldexp_f32 v109, v109, v112
	s_delay_alu instid0(VALU_DEP_1) | instskip(SKIP_1) | instid1(VALU_DEP_2)
	v_cndmask_b32_e32 v109, 0, v109, vcc_lo
	v_cmp_nlt_f32_e32 vcc_lo, 0x42b17218, v107
	v_cndmask_b32_e32 v107, 0x7f800000, v109, vcc_lo
	v_sub_f32_e32 v109, v180, v15
	s_delay_alu instid0(VALU_DEP_2) | instskip(NEXT) | instid1(VALU_DEP_2)
	v_cvt_pk_f16_f32 v19, v106, v107
	v_mul_f32_e32 v112, 0x3fb8aa3b, v109
	v_cmp_ngt_f32_e32 vcc_lo, 0xc2ce8ed0, v109
	s_delay_alu instid0(VALU_DEP_2) | instskip(SKIP_1) | instid1(VALU_DEP_1)
	v_fma_f32 v113, 0x3fb8aa3b, v109, -v112
	v_rndne_f32_e32 v114, v112
	v_dual_fmac_f32 v113, 0x32a5705f, v109 :: v_dual_sub_f32 v112, v112, v114
	v_pk_add_f32 v[34:35], v[52:53], v[54:55]
	s_delay_alu instid0(VALU_DEP_2) | instskip(SKIP_1) | instid1(VALU_DEP_3)
	v_add_f32_e32 v112, v112, v113
	v_cvt_i32_f32_e32 v113, v114
	v_pk_fma_f32 v[74:75], v[74:75], v[56:57], v[34:35]
	v_cvt_f16_f32_e32 v71, v57
	s_delay_alu instid0(VALU_DEP_4) | instskip(NEXT) | instid1(VALU_DEP_1)
	v_exp_f32_e32 v112, v112
	v_and_b32_e32 v71, 0xffff, v71
	s_delay_alu instid0(TRANS32_DEP_1) | instskip(NEXT) | instid1(VALU_DEP_2)
	v_ldexp_f32 v112, v112, v113
	v_mul_u32_u24_e32 v71, 0x10001, v71
	s_delay_alu instid0(VALU_DEP_2) | instskip(SKIP_1) | instid1(VALU_DEP_3)
	v_cndmask_b32_e32 v112, 0, v112, vcc_lo
	v_cmp_nlt_f32_e32 vcc_lo, 0x42b17218, v109
	v_pk_mul_f16 v71, v150, v71
	s_delay_alu instid0(VALU_DEP_3) | instskip(SKIP_2) | instid1(VALU_DEP_2)
	v_cndmask_b32_e32 v109, 0x7f800000, v112, vcc_lo
	v_mul_f32_e32 v112, 0x3fb8aa3b, v111
	v_cmp_ngt_f32_e32 vcc_lo, 0xc2ce8ed0, v111
	v_fma_f32 v113, 0x3fb8aa3b, v111, -v112
	v_rndne_f32_e32 v114, v112
	s_delay_alu instid0(VALU_DEP_1) | instskip(NEXT) | instid1(VALU_DEP_1)
	v_dual_fmac_f32 v113, 0x32a5705f, v111 :: v_dual_sub_f32 v112, v112, v114
	v_add_f32_e32 v112, v112, v113
	v_cvt_i32_f32_e32 v113, v114
	s_delay_alu instid0(VALU_DEP_2) | instskip(SKIP_1) | instid1(TRANS32_DEP_1)
	v_exp_f32_e32 v112, v112
	v_nop
	v_ldexp_f32 v112, v112, v113
	s_delay_alu instid0(VALU_DEP_1) | instskip(SKIP_1) | instid1(VALU_DEP_2)
	v_cndmask_b32_e32 v112, 0, v112, vcc_lo
	v_cmp_nlt_f32_e32 vcc_lo, 0x42b17218, v111
	v_cndmask_b32_e32 v111, 0x7f800000, v112, vcc_lo
	s_delay_alu instid0(VALU_DEP_1) | instskip(NEXT) | instid1(VALU_DEP_1)
	v_cvt_f16_f32_e32 v16, v111
	v_and_b32_e32 v16, 0xffff, v16
	s_delay_alu instid0(VALU_DEP_1) | instskip(NEXT) | instid1(VALU_DEP_1)
	v_mul_u32_u24_e32 v16, 0x10001, v16
	v_pk_mul_f16 v26, v148, v16
	v_cvt_pk_f16_f32 v16, v40, v41
	ds_store_b128 v140, v[16:19] offset:1024
	v_cvt_pk_f16_f32 v19, v108, v109
	v_cvt_pk_f16_f32 v18, v54, v55
	;; [unrolled: 1-line block ×4, first 2 shown]
	ds_store_b128 v140, v[16:19] offset:1536
	v_lshl_add_u64 v[18:19], v[100:101], 2, s[24:25]
	v_lshl_add_u64 v[16:17], v[94:95], 2, s[24:25]
	s_delay_alu instid0(VALU_DEP_2) | instskip(SKIP_1) | instid1(VALU_DEP_3)
	v_add_nc_u64_e32 v[24:25], v[18:19], v[88:89]
	v_lshl_add_u64 v[18:19], v[102:103], 2, s[24:25]
	v_add_nc_u64_e32 v[16:17], v[16:17], v[88:89]
	s_delay_alu instid0(VALU_DEP_2) | instskip(SKIP_1) | instid1(VALU_DEP_1)
	v_add_nc_u64_e32 v[22:23], v[18:19], v[88:89]
	v_lshl_add_u64 v[18:19], v[104:105], 2, s[24:25]
	v_add_nc_u64_e32 v[20:21], v[18:19], v[88:89]
	global_load_b128 v[16:19], v[16:17], off
	s_wait_loadcnt 0x0
	ds_store_b128 v138, v[16:19]
	global_load_b128 v[16:19], v[24:25], off
	s_wait_xcnt 0x0
	v_add_nc_u32_e32 v24, 0x800, v138
	s_wait_loadcnt 0x0
	ds_store_b128 v24, v[16:19]
	global_load_b128 v[16:19], v[22:23], off
	s_wait_xcnt 0x0
	v_add_nc_u32_e32 v22, 0x1000, v138
	;; [unrolled: 5-line block ×3, first 2 shown]
	s_wait_loadcnt 0x0
	ds_store_b128 v20, v[16:19]
	s_wait_dscnt 0x0
	s_barrier_signal -1
	s_barrier_wait -1
	ds_load_2addr_b32 v[24:25], v132 offset1:32
	ds_load_b128 v[28:31], v139
	ds_load_b128 v[32:35], v139 offset:16
	ds_load_b128 v[20:23], v139 offset:32
	ds_load_b128 v[16:19], v139 offset:48
	s_wait_dscnt 0x3
	v_lshrrev_b32_e32 v27, 16, v28
	v_and_b32_e32 v28, 0xffff, v28
	v_lshrrev_b32_e32 v38, 16, v31
	v_pk_add_f32 v[36:37], v[106:107], v[108:109]
	s_delay_alu instid0(VALU_DEP_4) | instskip(NEXT) | instid1(VALU_DEP_4)
	v_mul_u32_u24_e32 v27, 0x10001, v27
	v_mul_u32_u24_e32 v39, 0x10001, v28
	v_and_b32_e32 v28, 0xffff, v29
	s_delay_alu instid0(VALU_DEP_4) | instskip(SKIP_2) | instid1(VALU_DEP_4)
	v_pk_fma_f32 v[72:73], v[72:73], v[110:111], v[36:37]
	v_dual_lshrrev_b32 v36, 16, v29 :: v_dual_lshrrev_b32 v37, 16, v30
	v_mul_u32_u24_e32 v38, 0x10001, v38
	v_mul_u32_u24_e32 v40, 0x10001, v28
	v_and_b32_e32 v28, 0xffff, v30
	s_delay_alu instid0(VALU_DEP_4)
	v_mul_u32_u24_e32 v36, 0x10001, v36
	v_pk_fma_f16 v39, v24, v39, v58
	v_pk_fma_f16 v47, v24, v27, v59
	;; [unrolled: 1-line block ×3, first 2 shown]
	s_wait_dscnt 0x2
	v_lshrrev_b32_e32 v27, 16, v33
	v_mul_u32_u24_e32 v41, 0x10001, v28
	v_and_b32_e32 v28, 0xffff, v31
	v_pk_fma_f16 v40, v24, v40, v60
	v_pk_fma_f16 v36, v24, v36, v61
	s_delay_alu instid0(VALU_DEP_4) | instskip(NEXT) | instid1(VALU_DEP_4)
	v_pk_fma_f16 v41, v24, v41, v62
	v_mul_u32_u24_e32 v42, 0x10001, v28
	ds_load_b128 v[28:31], v139 offset:1024
	v_pk_fma_f16 v42, v24, v42, v64
	s_wait_dscnt 0x0
	v_dual_lshrrev_b32 v43, 16, v28 :: v_dual_lshrrev_b32 v44, 16, v29
	v_dual_lshrrev_b32 v45, 16, v30 :: v_dual_lshrrev_b32 v46, 16, v31
	v_and_b32_e32 v28, 0xffff, v28
	v_and_b32_e32 v29, 0xffff, v29
	;; [unrolled: 1-line block ×4, first 2 shown]
	v_mul_u32_u24_e32 v37, 0x10001, v37
	v_mul_u32_u24_e32 v28, 0x10001, v28
	;; [unrolled: 1-line block ×9, first 2 shown]
	v_pk_fma_f16 v37, v24, v37, v63
	v_pk_fma_f16 v48, v24, v28, v66
	v_pk_fma_f16 v43, v24, v43, v67
	v_pk_fma_f16 v49, v24, v29, v68
	v_pk_fma_f16 v44, v24, v44, v69
	v_pk_fma_f16 v30, v24, v30, v70
	v_pk_fma_f16 v45, v24, v45, v71
	v_pk_fma_f16 v31, v24, v31, v149
	v_pk_fma_f16 v24, v24, v46, v26
	v_dual_lshrrev_b32 v26, 16, v32 :: v_dual_lshrrev_b32 v28, 16, v34
	v_lshrrev_b32_e32 v29, 16, v35
	v_mul_u32_u24_e32 v50, 0x10001, v27
	v_and_b32_e32 v32, 0xffff, v32
	s_delay_alu instid0(VALU_DEP_4)
	v_mul_u32_u24_e32 v46, 0x10001, v26
	v_and_b32_e32 v26, 0xffff, v33
	v_mul_u32_u24_e32 v51, 0x10001, v28
	v_mul_u32_u24_e32 v52, 0x10001, v29
	;; [unrolled: 1-line block ×3, first 2 shown]
	v_pk_fma_f16 v36, v25, v50, v36
	v_mul_u32_u24_e32 v33, 0x10001, v26
	v_and_b32_e32 v26, 0xffff, v34
	v_pk_fma_f16 v37, v25, v51, v37
	v_pk_fma_f16 v32, v25, v32, v39
	;; [unrolled: 1-line block ×4, first 2 shown]
	v_mul_u32_u24_e32 v34, 0x10001, v26
	v_and_b32_e32 v26, 0xffff, v35
	v_pk_fma_f16 v33, v25, v33, v40
	s_delay_alu instid0(VALU_DEP_3) | instskip(NEXT) | instid1(VALU_DEP_3)
	v_pk_fma_f16 v34, v25, v34, v41
	v_mul_u32_u24_e32 v35, 0x10001, v26
	ds_load_b128 v[26:29], v139 offset:1040
	v_pk_fma_f16 v35, v25, v35, v42
	v_lshrrev_b32_e32 v42, 16, v20
	v_and_b32_e32 v20, 0xffff, v20
	s_delay_alu instid0(VALU_DEP_1) | instskip(SKIP_1) | instid1(VALU_DEP_1)
	v_mul_u32_u24_e32 v46, 0x10001, v20
	v_and_b32_e32 v20, 0xffff, v21
	v_mul_u32_u24_e32 v47, 0x10001, v20
	v_and_b32_e32 v20, 0xffff, v22
	s_wait_dscnt 0x0
	v_dual_lshrrev_b32 v53, 16, v26 :: v_dual_lshrrev_b32 v54, 16, v27
	v_and_b32_e32 v26, 0xffff, v26
	v_dual_lshrrev_b32 v55, 16, v28 :: v_dual_lshrrev_b32 v56, 16, v29
	v_and_b32_e32 v27, 0xffff, v27
	v_and_b32_e32 v28, 0xffff, v28
	;; [unrolled: 1-line block ×3, first 2 shown]
	v_mul_u32_u24_e32 v26, 0x10001, v26
	v_mul_u32_u24_e32 v53, 0x10001, v53
	;; [unrolled: 1-line block ×8, first 2 shown]
	v_pk_fma_f16 v26, v25, v26, v48
	v_mul_u32_u24_e32 v48, 0x10001, v20
	v_and_b32_e32 v20, 0xffff, v23
	v_pk_fma_f16 v40, v25, v53, v43
	v_pk_fma_f16 v27, v25, v27, v49
	;; [unrolled: 1-line block ×5, first 2 shown]
	v_dual_lshrrev_b32 v43, 16, v21 :: v_dual_lshrrev_b32 v44, 16, v22
	v_lshrrev_b32_e32 v45, 16, v23
	v_pk_fma_f16 v29, v25, v29, v31
	v_pk_fma_f16 v31, v25, v56, v24
	ds_load_2addr_b32 v[24:25], v132 offset0:64 offset1:96
	v_mul_u32_u24_e32 v42, 0x10001, v42
	v_mul_u32_u24_e32 v49, 0x10001, v20
	ds_load_b128 v[20:23], v139 offset:1056
	v_mul_u32_u24_e32 v43, 0x10001, v43
	v_mul_u32_u24_e32 v44, 0x10001, v44
	;; [unrolled: 1-line block ×3, first 2 shown]
	s_wait_dscnt 0x1
	v_pk_fma_f16 v39, v24, v42, v39
	v_pk_fma_f16 v36, v24, v43, v36
	;; [unrolled: 1-line block ×8, first 2 shown]
	s_wait_dscnt 0x0
	v_dual_lshrrev_b32 v52, 16, v22 :: v_dual_lshrrev_b32 v53, 16, v23
	v_and_b32_e32 v23, 0xffff, v23
	v_dual_lshrrev_b32 v50, 16, v20 :: v_dual_lshrrev_b32 v51, 16, v21
	v_and_b32_e32 v21, 0xffff, v21
	v_and_b32_e32 v20, 0xffff, v20
	;; [unrolled: 1-line block ×3, first 2 shown]
	v_mul_u32_u24_e32 v23, 0x10001, v23
	v_mul_u32_u24_e32 v51, 0x10001, v51
	;; [unrolled: 1-line block ×8, first 2 shown]
	v_pk_fma_f16 v23, v24, v23, v29
	v_lshrrev_b32_e32 v29, 16, v16
	v_and_b32_e32 v16, 0xffff, v16
	v_pk_fma_f16 v21, v24, v21, v27
	v_pk_fma_f16 v27, v24, v51, v41
	;; [unrolled: 1-line block ×7, first 2 shown]
	v_dual_lshrrev_b32 v30, 16, v17 :: v_dual_lshrrev_b32 v31, 16, v18
	v_lshrrev_b32_e32 v40, 16, v19
	v_mul_u32_u24_e32 v41, 0x10001, v16
	v_and_b32_e32 v16, 0xffff, v17
	s_delay_alu instid0(VALU_DEP_4)
	v_mul_u32_u24_e32 v30, 0x10001, v30
	v_mul_u32_u24_e32 v31, 0x10001, v31
	;; [unrolled: 1-line block ×5, first 2 shown]
	v_and_b32_e32 v16, 0xffff, v18
	v_pk_fma_f16 v30, v25, v30, v36
	v_pk_fma_f16 v31, v25, v31, v37
	;; [unrolled: 1-line block ×5, first 2 shown]
	v_mul_u32_u24_e32 v43, 0x10001, v16
	v_and_b32_e32 v16, 0xffff, v19
	v_pk_fma_f16 v33, v25, v42, v33
	s_delay_alu instid0(VALU_DEP_3) | instskip(NEXT) | instid1(VALU_DEP_3)
	v_pk_fma_f16 v34, v25, v43, v34
	v_mul_u32_u24_e32 v44, 0x10001, v16
	ds_load_b128 v[16:19], v139 offset:1072
	v_pk_fma_f16 v35, v25, v44, v35
	s_wait_dscnt 0x0
	v_dual_lshrrev_b32 v45, 16, v16 :: v_dual_lshrrev_b32 v46, 16, v17
	v_dual_lshrrev_b32 v47, 16, v18 :: v_dual_lshrrev_b32 v48, 16, v19
	v_and_b32_e32 v16, 0xffff, v16
	v_and_b32_e32 v17, 0xffff, v17
	;; [unrolled: 1-line block ×4, first 2 shown]
	v_mul_u32_u24_e32 v45, 0x10001, v45
	v_mul_u32_u24_e32 v16, 0x10001, v16
	;; [unrolled: 1-line block ×8, first 2 shown]
	v_pk_fma_f16 v37, v25, v16, v20
	v_pk_fma_f16 v38, v25, v17, v21
	;; [unrolled: 1-line block ×4, first 2 shown]
	ds_load_2addr_b32 v[16:17], v132 offset0:128 offset1:160
	ds_load_b128 v[18:21], v139 offset:64
	v_pk_fma_f16 v26, v25, v45, v26
	v_pk_fma_f16 v27, v25, v46, v27
	;; [unrolled: 1-line block ×4, first 2 shown]
	s_wait_dscnt 0x0
	v_dual_lshrrev_b32 v25, 16, v18 :: v_dual_lshrrev_b32 v39, 16, v19
	v_and_b32_e32 v18, 0xffff, v18
	v_dual_lshrrev_b32 v40, 16, v20 :: v_dual_lshrrev_b32 v41, 16, v21
	s_delay_alu instid0(VALU_DEP_3) | instskip(NEXT) | instid1(VALU_DEP_4)
	v_mul_u32_u24_e32 v25, 0x10001, v25
	v_mul_u32_u24_e32 v39, 0x10001, v39
	s_delay_alu instid0(VALU_DEP_4)
	v_mul_u32_u24_e32 v42, 0x10001, v18
	v_and_b32_e32 v18, 0xffff, v19
	v_mul_u32_u24_e32 v41, 0x10001, v41
	v_mul_u32_u24_e32 v40, 0x10001, v40
	v_pk_fma_f16 v25, v16, v25, v29
	v_pk_fma_f16 v32, v16, v42, v32
	v_mul_u32_u24_e32 v43, 0x10001, v18
	v_and_b32_e32 v18, 0xffff, v20
	v_pk_fma_f16 v30, v16, v39, v30
	v_pk_fma_f16 v31, v16, v40, v31
	s_delay_alu instid0(VALU_DEP_4) | instskip(NEXT) | instid1(VALU_DEP_4)
	v_pk_fma_f16 v29, v16, v43, v33
	v_mul_u32_u24_e32 v44, 0x10001, v18
	v_and_b32_e32 v18, 0xffff, v21
	s_delay_alu instid0(VALU_DEP_2) | instskip(NEXT) | instid1(VALU_DEP_2)
	v_pk_fma_f16 v33, v16, v44, v34
	v_mul_u32_u24_e32 v45, 0x10001, v18
	ds_load_b128 v[18:21], v139 offset:1088
	v_pk_fma_f16 v34, v16, v45, v35
	v_pk_fma_f16 v35, v16, v41, v36
	s_wait_dscnt 0x0
	v_dual_lshrrev_b32 v46, 16, v18 :: v_dual_lshrrev_b32 v47, 16, v19
	v_dual_lshrrev_b32 v48, 16, v20 :: v_dual_lshrrev_b32 v49, 16, v21
	v_and_b32_e32 v18, 0xffff, v18
	v_and_b32_e32 v19, 0xffff, v19
	;; [unrolled: 1-line block ×4, first 2 shown]
	v_mul_u32_u24_e32 v46, 0x10001, v46
	v_mul_u32_u24_e32 v18, 0x10001, v18
	;; [unrolled: 1-line block ×8, first 2 shown]
	v_pk_fma_f16 v36, v16, v18, v37
	v_pk_fma_f16 v37, v16, v19, v38
	v_pk_fma_f16 v22, v16, v20, v22
	v_pk_fma_f16 v23, v16, v21, v23
	ds_load_b128 v[18:21], v139 offset:80
	v_pk_fma_f16 v26, v16, v46, v26
	v_pk_fma_f16 v27, v16, v47, v27
	;; [unrolled: 1-line block ×4, first 2 shown]
	s_wait_dscnt 0x0
	v_dual_lshrrev_b32 v24, 16, v18 :: v_dual_lshrrev_b32 v38, 16, v19
	v_and_b32_e32 v18, 0xffff, v18
	v_dual_lshrrev_b32 v39, 16, v20 :: v_dual_lshrrev_b32 v40, 16, v21
	s_delay_alu instid0(VALU_DEP_3) | instskip(NEXT) | instid1(VALU_DEP_4)
	v_mul_u32_u24_e32 v24, 0x10001, v24
	v_mul_u32_u24_e32 v38, 0x10001, v38
	s_delay_alu instid0(VALU_DEP_4)
	v_mul_u32_u24_e32 v41, 0x10001, v18
	v_and_b32_e32 v18, 0xffff, v19
	v_mul_u32_u24_e32 v39, 0x10001, v39
	v_mul_u32_u24_e32 v40, 0x10001, v40
	v_pk_fma_f16 v24, v17, v24, v25
	v_pk_fma_f16 v32, v17, v41, v32
	v_mul_u32_u24_e32 v42, 0x10001, v18
	v_and_b32_e32 v18, 0xffff, v20
	v_pk_fma_f16 v31, v17, v39, v31
	s_delay_alu instid0(VALU_DEP_3) | instskip(NEXT) | instid1(VALU_DEP_3)
	v_pk_fma_f16 v25, v17, v42, v29
	v_mul_u32_u24_e32 v43, 0x10001, v18
	v_and_b32_e32 v18, 0xffff, v21
	v_pk_fma_f16 v29, v17, v38, v30
	s_delay_alu instid0(VALU_DEP_3) | instskip(NEXT) | instid1(VALU_DEP_3)
	v_pk_fma_f16 v30, v17, v43, v33
	v_mul_u32_u24_e32 v44, 0x10001, v18
	ds_load_b128 v[18:21], v139 offset:1104
	v_pk_fma_f16 v33, v17, v44, v34
	v_pk_fma_f16 v34, v17, v40, v35
	s_wait_dscnt 0x0
	v_dual_lshrrev_b32 v45, 16, v18 :: v_dual_lshrrev_b32 v46, 16, v19
	v_dual_lshrrev_b32 v47, 16, v20 :: v_dual_lshrrev_b32 v48, 16, v21
	v_and_b32_e32 v18, 0xffff, v18
	v_and_b32_e32 v19, 0xffff, v19
	;; [unrolled: 1-line block ×4, first 2 shown]
	v_mul_u32_u24_e32 v45, 0x10001, v45
	v_mul_u32_u24_e32 v18, 0x10001, v18
	;; [unrolled: 1-line block ×8, first 2 shown]
	v_pk_fma_f16 v35, v17, v18, v36
	v_pk_fma_f16 v26, v17, v45, v26
	;; [unrolled: 1-line block ×8, first 2 shown]
	ds_load_2addr_b32 v[16:17], v132 offset0:192 offset1:224
	ds_load_b128 v[18:21], v139 offset:96
	s_wait_dscnt 0x0
	v_dual_lshrrev_b32 v38, 16, v18 :: v_dual_lshrrev_b32 v39, 16, v19
	v_and_b32_e32 v18, 0xffff, v18
	v_dual_lshrrev_b32 v40, 16, v20 :: v_dual_lshrrev_b32 v41, 16, v21
	s_delay_alu instid0(VALU_DEP_3) | instskip(NEXT) | instid1(VALU_DEP_4)
	v_mul_u32_u24_e32 v38, 0x10001, v38
	v_mul_u32_u24_e32 v39, 0x10001, v39
	s_delay_alu instid0(VALU_DEP_4)
	v_mul_u32_u24_e32 v42, 0x10001, v18
	v_and_b32_e32 v18, 0xffff, v19
	v_mul_u32_u24_e32 v40, 0x10001, v40
	v_mul_u32_u24_e32 v41, 0x10001, v41
	v_pk_fma_f16 v24, v16, v38, v24
	v_pk_fma_f16 v32, v16, v42, v32
	v_mul_u32_u24_e32 v43, 0x10001, v18
	v_and_b32_e32 v18, 0xffff, v20
	v_pk_fma_f16 v29, v16, v39, v29
	v_pk_fma_f16 v31, v16, v40, v31
	;; [unrolled: 1-line block ×4, first 2 shown]
	v_mul_u32_u24_e32 v44, 0x10001, v18
	v_and_b32_e32 v18, 0xffff, v21
	s_delay_alu instid0(VALU_DEP_2) | instskip(NEXT) | instid1(VALU_DEP_2)
	v_pk_fma_f16 v30, v16, v44, v30
	v_mul_u32_u24_e32 v45, 0x10001, v18
	ds_load_b128 v[18:21], v139 offset:1120
	v_pk_fma_f16 v33, v16, v45, v33
	s_wait_dscnt 0x0
	v_dual_lshrrev_b32 v46, 16, v18 :: v_dual_lshrrev_b32 v47, 16, v19
	v_dual_lshrrev_b32 v48, 16, v20 :: v_dual_lshrrev_b32 v49, 16, v21
	v_and_b32_e32 v18, 0xffff, v18
	v_and_b32_e32 v19, 0xffff, v19
	;; [unrolled: 1-line block ×4, first 2 shown]
	v_mul_u32_u24_e32 v46, 0x10001, v46
	v_mul_u32_u24_e32 v18, 0x10001, v18
	;; [unrolled: 1-line block ×8, first 2 shown]
	v_pk_fma_f16 v35, v16, v18, v35
	v_pk_fma_f16 v36, v16, v19, v36
	;; [unrolled: 1-line block ×4, first 2 shown]
	ds_load_b128 v[18:21], v139 offset:112
	v_pk_fma_f16 v26, v16, v46, v26
	v_pk_fma_f16 v27, v16, v47, v27
	;; [unrolled: 1-line block ×4, first 2 shown]
	s_wait_dscnt 0x0
	v_dual_lshrrev_b32 v37, 16, v18 :: v_dual_lshrrev_b32 v38, 16, v19
	v_and_b32_e32 v18, 0xffff, v18
	v_dual_lshrrev_b32 v39, 16, v20 :: v_dual_lshrrev_b32 v40, 16, v21
	s_delay_alu instid0(VALU_DEP_3) | instskip(NEXT) | instid1(VALU_DEP_4)
	v_mul_u32_u24_e32 v37, 0x10001, v37
	v_mul_u32_u24_e32 v38, 0x10001, v38
	s_delay_alu instid0(VALU_DEP_4)
	v_mul_u32_u24_e32 v41, 0x10001, v18
	v_and_b32_e32 v18, 0xffff, v19
	v_mul_u32_u24_e32 v39, 0x10001, v39
	v_mul_u32_u24_e32 v40, 0x10001, v40
	v_pk_fma_f16 v24, v17, v37, v24
	v_pk_fma_f16 v32, v17, v41, v32
	v_mul_u32_u24_e32 v42, 0x10001, v18
	v_and_b32_e32 v18, 0xffff, v20
	v_pk_fma_f16 v29, v17, v38, v29
	v_pk_fma_f16 v31, v17, v39, v31
	;; [unrolled: 1-line block ×4, first 2 shown]
	v_mul_u32_u24_e32 v43, 0x10001, v18
	v_and_b32_e32 v18, 0xffff, v21
	s_delay_alu instid0(VALU_DEP_2) | instskip(NEXT) | instid1(VALU_DEP_2)
	v_pk_fma_f16 v30, v17, v43, v30
	v_mul_u32_u24_e32 v44, 0x10001, v18
	ds_load_b128 v[18:21], v139 offset:1136
	v_pk_fma_f16 v33, v17, v44, v33
	s_wait_dscnt 0x0
	v_dual_lshrrev_b32 v45, 16, v18 :: v_dual_lshrrev_b32 v46, 16, v19
	v_dual_lshrrev_b32 v47, 16, v20 :: v_dual_lshrrev_b32 v48, 16, v21
	v_and_b32_e32 v18, 0xffff, v18
	v_and_b32_e32 v19, 0xffff, v19
	;; [unrolled: 1-line block ×4, first 2 shown]
	v_mul_u32_u24_e32 v45, 0x10001, v45
	v_mul_u32_u24_e32 v18, 0x10001, v18
	;; [unrolled: 1-line block ×8, first 2 shown]
	v_pk_fma_f16 v35, v17, v18, v35
	v_pk_fma_f16 v26, v17, v45, v26
	;; [unrolled: 1-line block ×8, first 2 shown]
	ds_load_2addr_b32 v[16:17], v141 offset1:32
	ds_load_b128 v[18:21], v139 offset:128
	s_wait_dscnt 0x0
	v_dual_lshrrev_b32 v38, 16, v18 :: v_dual_lshrrev_b32 v39, 16, v19
	v_and_b32_e32 v18, 0xffff, v18
	v_dual_lshrrev_b32 v40, 16, v20 :: v_dual_lshrrev_b32 v41, 16, v21
	s_delay_alu instid0(VALU_DEP_3) | instskip(NEXT) | instid1(VALU_DEP_4)
	v_mul_u32_u24_e32 v38, 0x10001, v38
	v_mul_u32_u24_e32 v39, 0x10001, v39
	s_delay_alu instid0(VALU_DEP_4)
	v_mul_u32_u24_e32 v42, 0x10001, v18
	v_and_b32_e32 v18, 0xffff, v19
	v_mul_u32_u24_e32 v40, 0x10001, v40
	v_mul_u32_u24_e32 v41, 0x10001, v41
	v_pk_fma_f16 v24, v16, v38, v24
	v_pk_fma_f16 v32, v16, v42, v32
	v_mul_u32_u24_e32 v43, 0x10001, v18
	v_and_b32_e32 v18, 0xffff, v20
	v_pk_fma_f16 v29, v16, v39, v29
	v_pk_fma_f16 v31, v16, v40, v31
	;; [unrolled: 1-line block ×4, first 2 shown]
	v_mul_u32_u24_e32 v44, 0x10001, v18
	v_and_b32_e32 v18, 0xffff, v21
	s_delay_alu instid0(VALU_DEP_2) | instskip(NEXT) | instid1(VALU_DEP_2)
	v_pk_fma_f16 v30, v16, v44, v30
	v_mul_u32_u24_e32 v45, 0x10001, v18
	ds_load_b128 v[18:21], v139 offset:1152
	v_pk_fma_f16 v33, v16, v45, v33
	s_wait_dscnt 0x0
	v_dual_lshrrev_b32 v46, 16, v18 :: v_dual_lshrrev_b32 v47, 16, v19
	v_dual_lshrrev_b32 v48, 16, v20 :: v_dual_lshrrev_b32 v49, 16, v21
	v_and_b32_e32 v18, 0xffff, v18
	v_and_b32_e32 v19, 0xffff, v19
	;; [unrolled: 1-line block ×4, first 2 shown]
	v_mul_u32_u24_e32 v46, 0x10001, v46
	v_mul_u32_u24_e32 v18, 0x10001, v18
	;; [unrolled: 1-line block ×8, first 2 shown]
	v_pk_fma_f16 v35, v16, v18, v35
	v_pk_fma_f16 v36, v16, v19, v36
	;; [unrolled: 1-line block ×4, first 2 shown]
	ds_load_b128 v[18:21], v139 offset:144
	v_pk_fma_f16 v26, v16, v46, v26
	v_pk_fma_f16 v27, v16, v47, v27
	;; [unrolled: 1-line block ×4, first 2 shown]
	s_wait_dscnt 0x0
	v_dual_lshrrev_b32 v37, 16, v18 :: v_dual_lshrrev_b32 v38, 16, v19
	v_and_b32_e32 v18, 0xffff, v18
	v_dual_lshrrev_b32 v39, 16, v20 :: v_dual_lshrrev_b32 v40, 16, v21
	s_delay_alu instid0(VALU_DEP_3) | instskip(NEXT) | instid1(VALU_DEP_4)
	v_mul_u32_u24_e32 v37, 0x10001, v37
	v_mul_u32_u24_e32 v38, 0x10001, v38
	s_delay_alu instid0(VALU_DEP_4)
	v_mul_u32_u24_e32 v41, 0x10001, v18
	v_and_b32_e32 v18, 0xffff, v19
	v_mul_u32_u24_e32 v39, 0x10001, v39
	v_mul_u32_u24_e32 v40, 0x10001, v40
	v_pk_fma_f16 v24, v17, v37, v24
	v_pk_fma_f16 v32, v17, v41, v32
	v_mul_u32_u24_e32 v42, 0x10001, v18
	v_and_b32_e32 v18, 0xffff, v20
	v_pk_fma_f16 v29, v17, v38, v29
	v_pk_fma_f16 v31, v17, v39, v31
	;; [unrolled: 1-line block ×4, first 2 shown]
	v_mul_u32_u24_e32 v43, 0x10001, v18
	v_and_b32_e32 v18, 0xffff, v21
	s_delay_alu instid0(VALU_DEP_2) | instskip(NEXT) | instid1(VALU_DEP_2)
	v_pk_fma_f16 v30, v17, v43, v30
	v_mul_u32_u24_e32 v44, 0x10001, v18
	ds_load_b128 v[18:21], v139 offset:1168
	v_pk_fma_f16 v33, v17, v44, v33
	s_wait_dscnt 0x0
	v_dual_lshrrev_b32 v45, 16, v18 :: v_dual_lshrrev_b32 v46, 16, v19
	v_dual_lshrrev_b32 v47, 16, v20 :: v_dual_lshrrev_b32 v48, 16, v21
	v_and_b32_e32 v18, 0xffff, v18
	v_and_b32_e32 v19, 0xffff, v19
	;; [unrolled: 1-line block ×4, first 2 shown]
	v_mul_u32_u24_e32 v45, 0x10001, v45
	v_mul_u32_u24_e32 v18, 0x10001, v18
	;; [unrolled: 1-line block ×8, first 2 shown]
	v_pk_fma_f16 v35, v17, v18, v35
	v_pk_fma_f16 v26, v17, v45, v26
	;; [unrolled: 1-line block ×8, first 2 shown]
	ds_load_2addr_b32 v[16:17], v141 offset0:64 offset1:96
	ds_load_b128 v[18:21], v139 offset:160
	s_wait_dscnt 0x0
	v_dual_lshrrev_b32 v38, 16, v18 :: v_dual_lshrrev_b32 v39, 16, v19
	v_and_b32_e32 v18, 0xffff, v18
	v_dual_lshrrev_b32 v40, 16, v20 :: v_dual_lshrrev_b32 v41, 16, v21
	s_delay_alu instid0(VALU_DEP_3) | instskip(NEXT) | instid1(VALU_DEP_4)
	v_mul_u32_u24_e32 v38, 0x10001, v38
	v_mul_u32_u24_e32 v39, 0x10001, v39
	s_delay_alu instid0(VALU_DEP_4)
	v_mul_u32_u24_e32 v42, 0x10001, v18
	v_and_b32_e32 v18, 0xffff, v19
	v_mul_u32_u24_e32 v40, 0x10001, v40
	v_mul_u32_u24_e32 v41, 0x10001, v41
	v_pk_fma_f16 v24, v16, v38, v24
	v_pk_fma_f16 v32, v16, v42, v32
	v_mul_u32_u24_e32 v43, 0x10001, v18
	v_and_b32_e32 v18, 0xffff, v20
	v_pk_fma_f16 v29, v16, v39, v29
	v_pk_fma_f16 v31, v16, v40, v31
	v_pk_fma_f16 v34, v16, v41, v34
	v_pk_fma_f16 v25, v16, v43, v25
	v_mul_u32_u24_e32 v44, 0x10001, v18
	v_and_b32_e32 v18, 0xffff, v21
	s_delay_alu instid0(VALU_DEP_2) | instskip(NEXT) | instid1(VALU_DEP_2)
	v_pk_fma_f16 v30, v16, v44, v30
	v_mul_u32_u24_e32 v45, 0x10001, v18
	ds_load_b128 v[18:21], v139 offset:1184
	v_pk_fma_f16 v33, v16, v45, v33
	s_wait_dscnt 0x0
	v_dual_lshrrev_b32 v46, 16, v18 :: v_dual_lshrrev_b32 v47, 16, v19
	v_dual_lshrrev_b32 v48, 16, v20 :: v_dual_lshrrev_b32 v49, 16, v21
	v_and_b32_e32 v18, 0xffff, v18
	v_and_b32_e32 v19, 0xffff, v19
	;; [unrolled: 1-line block ×4, first 2 shown]
	v_mul_u32_u24_e32 v46, 0x10001, v46
	v_mul_u32_u24_e32 v18, 0x10001, v18
	;; [unrolled: 1-line block ×8, first 2 shown]
	v_pk_fma_f16 v35, v16, v18, v35
	v_pk_fma_f16 v36, v16, v19, v36
	;; [unrolled: 1-line block ×4, first 2 shown]
	ds_load_b128 v[18:21], v139 offset:176
	v_pk_fma_f16 v26, v16, v46, v26
	v_pk_fma_f16 v27, v16, v47, v27
	;; [unrolled: 1-line block ×4, first 2 shown]
	s_wait_dscnt 0x0
	v_dual_lshrrev_b32 v37, 16, v18 :: v_dual_lshrrev_b32 v38, 16, v19
	v_and_b32_e32 v18, 0xffff, v18
	v_dual_lshrrev_b32 v39, 16, v20 :: v_dual_lshrrev_b32 v40, 16, v21
	s_delay_alu instid0(VALU_DEP_3) | instskip(NEXT) | instid1(VALU_DEP_4)
	v_mul_u32_u24_e32 v37, 0x10001, v37
	v_mul_u32_u24_e32 v38, 0x10001, v38
	s_delay_alu instid0(VALU_DEP_4)
	v_mul_u32_u24_e32 v41, 0x10001, v18
	v_and_b32_e32 v18, 0xffff, v19
	v_mul_u32_u24_e32 v39, 0x10001, v39
	v_mul_u32_u24_e32 v40, 0x10001, v40
	v_pk_fma_f16 v24, v17, v37, v24
	v_pk_fma_f16 v32, v17, v41, v32
	v_mul_u32_u24_e32 v42, 0x10001, v18
	v_and_b32_e32 v18, 0xffff, v20
	v_pk_fma_f16 v29, v17, v38, v29
	v_pk_fma_f16 v31, v17, v39, v31
	v_pk_fma_f16 v34, v17, v40, v34
	v_pk_fma_f16 v25, v17, v42, v25
	v_mul_u32_u24_e32 v43, 0x10001, v18
	v_and_b32_e32 v18, 0xffff, v21
	s_delay_alu instid0(VALU_DEP_2) | instskip(NEXT) | instid1(VALU_DEP_2)
	v_pk_fma_f16 v30, v17, v43, v30
	v_mul_u32_u24_e32 v44, 0x10001, v18
	ds_load_b128 v[18:21], v139 offset:1200
	v_pk_fma_f16 v33, v17, v44, v33
	s_wait_dscnt 0x0
	v_dual_lshrrev_b32 v45, 16, v18 :: v_dual_lshrrev_b32 v46, 16, v19
	v_dual_lshrrev_b32 v47, 16, v20 :: v_dual_lshrrev_b32 v48, 16, v21
	v_and_b32_e32 v18, 0xffff, v18
	v_and_b32_e32 v19, 0xffff, v19
	;; [unrolled: 1-line block ×4, first 2 shown]
	v_mul_u32_u24_e32 v45, 0x10001, v45
	v_mul_u32_u24_e32 v18, 0x10001, v18
	;; [unrolled: 1-line block ×8, first 2 shown]
	v_pk_fma_f16 v35, v17, v18, v35
	v_pk_fma_f16 v26, v17, v45, v26
	;; [unrolled: 1-line block ×8, first 2 shown]
	ds_load_2addr_b32 v[16:17], v141 offset0:128 offset1:160
	ds_load_b128 v[18:21], v139 offset:192
	s_wait_dscnt 0x0
	v_dual_lshrrev_b32 v38, 16, v18 :: v_dual_lshrrev_b32 v39, 16, v19
	v_and_b32_e32 v18, 0xffff, v18
	v_dual_lshrrev_b32 v40, 16, v20 :: v_dual_lshrrev_b32 v41, 16, v21
	s_delay_alu instid0(VALU_DEP_3) | instskip(NEXT) | instid1(VALU_DEP_4)
	v_mul_u32_u24_e32 v38, 0x10001, v38
	v_mul_u32_u24_e32 v39, 0x10001, v39
	s_delay_alu instid0(VALU_DEP_4)
	v_mul_u32_u24_e32 v42, 0x10001, v18
	v_and_b32_e32 v18, 0xffff, v19
	v_mul_u32_u24_e32 v40, 0x10001, v40
	v_mul_u32_u24_e32 v41, 0x10001, v41
	v_pk_fma_f16 v24, v16, v38, v24
	v_pk_fma_f16 v32, v16, v42, v32
	v_mul_u32_u24_e32 v43, 0x10001, v18
	v_and_b32_e32 v18, 0xffff, v20
	v_pk_fma_f16 v29, v16, v39, v29
	v_pk_fma_f16 v31, v16, v40, v31
	;; [unrolled: 1-line block ×4, first 2 shown]
	v_mul_u32_u24_e32 v44, 0x10001, v18
	v_and_b32_e32 v18, 0xffff, v21
	s_delay_alu instid0(VALU_DEP_2) | instskip(NEXT) | instid1(VALU_DEP_2)
	v_pk_fma_f16 v30, v16, v44, v30
	v_mul_u32_u24_e32 v45, 0x10001, v18
	ds_load_b128 v[18:21], v139 offset:1216
	v_pk_fma_f16 v33, v16, v45, v33
	s_wait_dscnt 0x0
	v_dual_lshrrev_b32 v46, 16, v18 :: v_dual_lshrrev_b32 v47, 16, v19
	v_dual_lshrrev_b32 v48, 16, v20 :: v_dual_lshrrev_b32 v49, 16, v21
	v_and_b32_e32 v18, 0xffff, v18
	v_and_b32_e32 v19, 0xffff, v19
	;; [unrolled: 1-line block ×4, first 2 shown]
	v_mul_u32_u24_e32 v46, 0x10001, v46
	v_mul_u32_u24_e32 v18, 0x10001, v18
	;; [unrolled: 1-line block ×8, first 2 shown]
	v_pk_fma_f16 v35, v16, v18, v35
	v_pk_fma_f16 v36, v16, v19, v36
	;; [unrolled: 1-line block ×4, first 2 shown]
	ds_load_b128 v[18:21], v139 offset:208
	v_pk_fma_f16 v26, v16, v46, v26
	v_pk_fma_f16 v27, v16, v47, v27
	;; [unrolled: 1-line block ×4, first 2 shown]
	s_wait_dscnt 0x0
	v_dual_lshrrev_b32 v37, 16, v18 :: v_dual_lshrrev_b32 v38, 16, v19
	v_and_b32_e32 v18, 0xffff, v18
	v_dual_lshrrev_b32 v39, 16, v20 :: v_dual_lshrrev_b32 v40, 16, v21
	s_delay_alu instid0(VALU_DEP_3) | instskip(NEXT) | instid1(VALU_DEP_4)
	v_mul_u32_u24_e32 v37, 0x10001, v37
	v_mul_u32_u24_e32 v38, 0x10001, v38
	s_delay_alu instid0(VALU_DEP_4)
	v_mul_u32_u24_e32 v41, 0x10001, v18
	v_and_b32_e32 v18, 0xffff, v19
	v_mul_u32_u24_e32 v39, 0x10001, v39
	v_mul_u32_u24_e32 v40, 0x10001, v40
	v_pk_fma_f16 v24, v17, v37, v24
	v_pk_fma_f16 v32, v17, v41, v32
	v_mul_u32_u24_e32 v42, 0x10001, v18
	v_and_b32_e32 v18, 0xffff, v20
	v_pk_fma_f16 v29, v17, v38, v29
	v_pk_fma_f16 v31, v17, v39, v31
	;; [unrolled: 1-line block ×4, first 2 shown]
	v_mul_u32_u24_e32 v43, 0x10001, v18
	v_and_b32_e32 v18, 0xffff, v21
	s_delay_alu instid0(VALU_DEP_2) | instskip(NEXT) | instid1(VALU_DEP_2)
	v_pk_fma_f16 v30, v17, v43, v30
	v_mul_u32_u24_e32 v44, 0x10001, v18
	ds_load_b128 v[18:21], v139 offset:1232
	v_pk_fma_f16 v33, v17, v44, v33
	s_wait_dscnt 0x0
	v_dual_lshrrev_b32 v45, 16, v18 :: v_dual_lshrrev_b32 v46, 16, v19
	v_dual_lshrrev_b32 v47, 16, v20 :: v_dual_lshrrev_b32 v48, 16, v21
	v_and_b32_e32 v18, 0xffff, v18
	v_and_b32_e32 v19, 0xffff, v19
	;; [unrolled: 1-line block ×4, first 2 shown]
	v_mul_u32_u24_e32 v45, 0x10001, v45
	v_mul_u32_u24_e32 v18, 0x10001, v18
	;; [unrolled: 1-line block ×8, first 2 shown]
	v_pk_fma_f16 v35, v17, v18, v35
	v_pk_fma_f16 v26, v17, v45, v26
	;; [unrolled: 1-line block ×8, first 2 shown]
	ds_load_2addr_b32 v[16:17], v141 offset0:192 offset1:224
	ds_load_b128 v[18:21], v139 offset:224
	s_wait_dscnt 0x0
	v_dual_lshrrev_b32 v38, 16, v18 :: v_dual_lshrrev_b32 v39, 16, v19
	v_and_b32_e32 v18, 0xffff, v18
	v_dual_lshrrev_b32 v40, 16, v20 :: v_dual_lshrrev_b32 v41, 16, v21
	s_delay_alu instid0(VALU_DEP_3) | instskip(NEXT) | instid1(VALU_DEP_4)
	v_mul_u32_u24_e32 v38, 0x10001, v38
	v_mul_u32_u24_e32 v39, 0x10001, v39
	s_delay_alu instid0(VALU_DEP_4)
	v_mul_u32_u24_e32 v42, 0x10001, v18
	v_and_b32_e32 v18, 0xffff, v19
	v_mul_u32_u24_e32 v40, 0x10001, v40
	v_mul_u32_u24_e32 v41, 0x10001, v41
	v_pk_fma_f16 v24, v16, v38, v24
	v_pk_fma_f16 v32, v16, v42, v32
	v_mul_u32_u24_e32 v43, 0x10001, v18
	v_and_b32_e32 v18, 0xffff, v20
	v_pk_fma_f16 v29, v16, v39, v29
	v_pk_fma_f16 v31, v16, v40, v31
	;; [unrolled: 1-line block ×4, first 2 shown]
	v_mul_u32_u24_e32 v44, 0x10001, v18
	v_and_b32_e32 v18, 0xffff, v21
	s_delay_alu instid0(VALU_DEP_2) | instskip(NEXT) | instid1(VALU_DEP_2)
	v_pk_fma_f16 v30, v16, v44, v30
	v_mul_u32_u24_e32 v45, 0x10001, v18
	ds_load_b128 v[18:21], v139 offset:1248
	v_pk_fma_f16 v33, v16, v45, v33
	s_wait_dscnt 0x0
	v_dual_lshrrev_b32 v46, 16, v18 :: v_dual_lshrrev_b32 v47, 16, v19
	v_dual_lshrrev_b32 v48, 16, v20 :: v_dual_lshrrev_b32 v49, 16, v21
	v_and_b32_e32 v18, 0xffff, v18
	v_and_b32_e32 v19, 0xffff, v19
	;; [unrolled: 1-line block ×4, first 2 shown]
	v_mul_u32_u24_e32 v46, 0x10001, v46
	v_mul_u32_u24_e32 v18, 0x10001, v18
	;; [unrolled: 1-line block ×8, first 2 shown]
	v_pk_fma_f16 v35, v16, v18, v35
	v_pk_fma_f16 v36, v16, v19, v36
	;; [unrolled: 1-line block ×4, first 2 shown]
	ds_load_b128 v[18:21], v139 offset:240
	v_pk_fma_f16 v26, v16, v46, v26
	v_pk_fma_f16 v27, v16, v47, v27
	;; [unrolled: 1-line block ×4, first 2 shown]
	s_wait_dscnt 0x0
	v_dual_lshrrev_b32 v37, 16, v18 :: v_dual_lshrrev_b32 v38, 16, v19
	v_and_b32_e32 v18, 0xffff, v18
	v_dual_lshrrev_b32 v39, 16, v20 :: v_dual_lshrrev_b32 v40, 16, v21
	s_delay_alu instid0(VALU_DEP_3) | instskip(NEXT) | instid1(VALU_DEP_4)
	v_mul_u32_u24_e32 v37, 0x10001, v37
	v_mul_u32_u24_e32 v38, 0x10001, v38
	s_delay_alu instid0(VALU_DEP_4)
	v_mul_u32_u24_e32 v41, 0x10001, v18
	v_and_b32_e32 v18, 0xffff, v19
	v_mul_u32_u24_e32 v39, 0x10001, v39
	v_mul_u32_u24_e32 v40, 0x10001, v40
	v_pk_fma_f16 v24, v17, v37, v24
	v_pk_fma_f16 v32, v17, v41, v32
	v_mul_u32_u24_e32 v42, 0x10001, v18
	v_and_b32_e32 v18, 0xffff, v20
	v_pk_fma_f16 v29, v17, v38, v29
	v_pk_fma_f16 v31, v17, v39, v31
	;; [unrolled: 1-line block ×4, first 2 shown]
	v_mul_u32_u24_e32 v43, 0x10001, v18
	v_and_b32_e32 v18, 0xffff, v21
	s_delay_alu instid0(VALU_DEP_2) | instskip(NEXT) | instid1(VALU_DEP_2)
	v_pk_fma_f16 v30, v17, v43, v30
	v_mul_u32_u24_e32 v44, 0x10001, v18
	ds_load_b128 v[18:21], v139 offset:1264
	v_pk_fma_f16 v33, v17, v44, v33
	s_wait_dscnt 0x0
	v_dual_lshrrev_b32 v45, 16, v18 :: v_dual_lshrrev_b32 v46, 16, v19
	v_dual_lshrrev_b32 v47, 16, v20 :: v_dual_lshrrev_b32 v48, 16, v21
	v_and_b32_e32 v18, 0xffff, v18
	v_and_b32_e32 v19, 0xffff, v19
	;; [unrolled: 1-line block ×4, first 2 shown]
	v_mul_u32_u24_e32 v45, 0x10001, v45
	v_mul_u32_u24_e32 v18, 0x10001, v18
	;; [unrolled: 1-line block ×8, first 2 shown]
	v_pk_fma_f16 v35, v17, v18, v35
	v_pk_fma_f16 v26, v17, v45, v26
	;; [unrolled: 1-line block ×8, first 2 shown]
	ds_load_2addr_b32 v[20:21], v142 offset1:32
	ds_load_b128 v[16:19], v139 offset:256
	s_wait_dscnt 0x0
	v_dual_lshrrev_b32 v38, 16, v16 :: v_dual_lshrrev_b32 v39, 16, v17
	v_and_b32_e32 v16, 0xffff, v16
	v_dual_lshrrev_b32 v40, 16, v18 :: v_dual_lshrrev_b32 v41, 16, v19
	s_delay_alu instid0(VALU_DEP_3) | instskip(NEXT) | instid1(VALU_DEP_4)
	v_mul_u32_u24_e32 v38, 0x10001, v38
	v_mul_u32_u24_e32 v39, 0x10001, v39
	s_delay_alu instid0(VALU_DEP_4)
	v_mul_u32_u24_e32 v42, 0x10001, v16
	v_and_b32_e32 v16, 0xffff, v17
	v_mul_u32_u24_e32 v40, 0x10001, v40
	v_mul_u32_u24_e32 v41, 0x10001, v41
	v_pk_fma_f16 v24, v20, v38, v24
	v_pk_fma_f16 v32, v20, v42, v32
	v_mul_u32_u24_e32 v43, 0x10001, v16
	v_and_b32_e32 v16, 0xffff, v18
	v_pk_fma_f16 v29, v20, v39, v29
	v_pk_fma_f16 v31, v20, v40, v31
	;; [unrolled: 1-line block ×4, first 2 shown]
	v_mul_u32_u24_e32 v44, 0x10001, v16
	v_and_b32_e32 v16, 0xffff, v19
	s_delay_alu instid0(VALU_DEP_2) | instskip(NEXT) | instid1(VALU_DEP_2)
	v_pk_fma_f16 v30, v20, v44, v30
	v_mul_u32_u24_e32 v45, 0x10001, v16
	ds_load_b128 v[16:19], v139 offset:1280
	v_pk_fma_f16 v33, v20, v45, v33
	s_wait_dscnt 0x0
	v_dual_lshrrev_b32 v46, 16, v16 :: v_dual_lshrrev_b32 v47, 16, v17
	v_dual_lshrrev_b32 v48, 16, v18 :: v_dual_lshrrev_b32 v49, 16, v19
	v_and_b32_e32 v16, 0xffff, v16
	v_and_b32_e32 v17, 0xffff, v17
	;; [unrolled: 1-line block ×4, first 2 shown]
	v_mul_u32_u24_e32 v46, 0x10001, v46
	v_mul_u32_u24_e32 v16, 0x10001, v16
	;; [unrolled: 1-line block ×8, first 2 shown]
	v_pk_fma_f16 v35, v20, v16, v35
	v_pk_fma_f16 v36, v20, v17, v36
	;; [unrolled: 1-line block ×4, first 2 shown]
	ds_load_b128 v[16:19], v139 offset:272
	v_pk_fma_f16 v26, v20, v46, v26
	v_pk_fma_f16 v27, v20, v47, v27
	;; [unrolled: 1-line block ×4, first 2 shown]
	s_wait_dscnt 0x0
	v_dual_lshrrev_b32 v37, 16, v16 :: v_dual_lshrrev_b32 v38, 16, v17
	v_and_b32_e32 v16, 0xffff, v16
	v_dual_lshrrev_b32 v39, 16, v18 :: v_dual_lshrrev_b32 v40, 16, v19
	s_delay_alu instid0(VALU_DEP_3) | instskip(NEXT) | instid1(VALU_DEP_4)
	v_mul_u32_u24_e32 v37, 0x10001, v37
	v_mul_u32_u24_e32 v38, 0x10001, v38
	s_delay_alu instid0(VALU_DEP_4)
	v_mul_u32_u24_e32 v41, 0x10001, v16
	v_and_b32_e32 v16, 0xffff, v17
	v_mul_u32_u24_e32 v39, 0x10001, v39
	v_mul_u32_u24_e32 v40, 0x10001, v40
	v_pk_fma_f16 v24, v21, v37, v24
	v_pk_fma_f16 v32, v21, v41, v32
	v_mul_u32_u24_e32 v42, 0x10001, v16
	v_and_b32_e32 v16, 0xffff, v18
	v_pk_fma_f16 v29, v21, v38, v29
	v_pk_fma_f16 v31, v21, v39, v31
	;; [unrolled: 1-line block ×4, first 2 shown]
	v_mul_u32_u24_e32 v43, 0x10001, v16
	v_and_b32_e32 v16, 0xffff, v19
	s_delay_alu instid0(VALU_DEP_2) | instskip(NEXT) | instid1(VALU_DEP_2)
	v_pk_fma_f16 v30, v21, v43, v30
	v_mul_u32_u24_e32 v44, 0x10001, v16
	ds_load_b128 v[16:19], v139 offset:1296
	v_pk_fma_f16 v33, v21, v44, v33
	s_wait_dscnt 0x0
	v_dual_lshrrev_b32 v45, 16, v16 :: v_dual_lshrrev_b32 v46, 16, v17
	v_dual_lshrrev_b32 v47, 16, v18 :: v_dual_lshrrev_b32 v48, 16, v19
	v_and_b32_e32 v16, 0xffff, v16
	v_and_b32_e32 v17, 0xffff, v17
	;; [unrolled: 1-line block ×4, first 2 shown]
	v_mul_u32_u24_e32 v45, 0x10001, v45
	v_mul_u32_u24_e32 v16, 0x10001, v16
	;; [unrolled: 1-line block ×8, first 2 shown]
	v_pk_fma_f16 v35, v21, v16, v35
	v_pk_fma_f16 v26, v21, v45, v26
	;; [unrolled: 1-line block ×8, first 2 shown]
	ds_load_2addr_b32 v[20:21], v142 offset0:64 offset1:96
	ds_load_b128 v[16:19], v139 offset:288
	s_wait_dscnt 0x0
	v_dual_lshrrev_b32 v38, 16, v16 :: v_dual_lshrrev_b32 v39, 16, v17
	v_and_b32_e32 v16, 0xffff, v16
	v_dual_lshrrev_b32 v40, 16, v18 :: v_dual_lshrrev_b32 v41, 16, v19
	s_delay_alu instid0(VALU_DEP_3) | instskip(NEXT) | instid1(VALU_DEP_4)
	v_mul_u32_u24_e32 v38, 0x10001, v38
	v_mul_u32_u24_e32 v39, 0x10001, v39
	s_delay_alu instid0(VALU_DEP_4)
	v_mul_u32_u24_e32 v42, 0x10001, v16
	v_and_b32_e32 v16, 0xffff, v17
	v_mul_u32_u24_e32 v40, 0x10001, v40
	v_mul_u32_u24_e32 v41, 0x10001, v41
	v_pk_fma_f16 v24, v20, v38, v24
	v_pk_fma_f16 v32, v20, v42, v32
	v_mul_u32_u24_e32 v43, 0x10001, v16
	v_and_b32_e32 v16, 0xffff, v18
	v_pk_fma_f16 v29, v20, v39, v29
	v_pk_fma_f16 v31, v20, v40, v31
	;; [unrolled: 1-line block ×4, first 2 shown]
	v_mul_u32_u24_e32 v44, 0x10001, v16
	v_and_b32_e32 v16, 0xffff, v19
	s_delay_alu instid0(VALU_DEP_2) | instskip(NEXT) | instid1(VALU_DEP_2)
	v_pk_fma_f16 v30, v20, v44, v30
	v_mul_u32_u24_e32 v45, 0x10001, v16
	ds_load_b128 v[16:19], v139 offset:1312
	v_pk_fma_f16 v33, v20, v45, v33
	s_wait_dscnt 0x0
	v_dual_lshrrev_b32 v46, 16, v16 :: v_dual_lshrrev_b32 v47, 16, v17
	v_dual_lshrrev_b32 v48, 16, v18 :: v_dual_lshrrev_b32 v49, 16, v19
	v_and_b32_e32 v16, 0xffff, v16
	v_and_b32_e32 v17, 0xffff, v17
	;; [unrolled: 1-line block ×4, first 2 shown]
	v_mul_u32_u24_e32 v46, 0x10001, v46
	v_mul_u32_u24_e32 v16, 0x10001, v16
	;; [unrolled: 1-line block ×8, first 2 shown]
	v_pk_fma_f16 v35, v20, v16, v35
	v_pk_fma_f16 v36, v20, v17, v36
	;; [unrolled: 1-line block ×4, first 2 shown]
	ds_load_b128 v[16:19], v139 offset:304
	v_pk_fma_f16 v26, v20, v46, v26
	v_pk_fma_f16 v27, v20, v47, v27
	;; [unrolled: 1-line block ×4, first 2 shown]
	s_wait_dscnt 0x0
	v_dual_lshrrev_b32 v37, 16, v16 :: v_dual_lshrrev_b32 v38, 16, v17
	v_and_b32_e32 v16, 0xffff, v16
	v_dual_lshrrev_b32 v39, 16, v18 :: v_dual_lshrrev_b32 v40, 16, v19
	s_delay_alu instid0(VALU_DEP_3) | instskip(NEXT) | instid1(VALU_DEP_4)
	v_mul_u32_u24_e32 v37, 0x10001, v37
	v_mul_u32_u24_e32 v38, 0x10001, v38
	s_delay_alu instid0(VALU_DEP_4)
	v_mul_u32_u24_e32 v41, 0x10001, v16
	v_and_b32_e32 v16, 0xffff, v17
	v_mul_u32_u24_e32 v39, 0x10001, v39
	v_mul_u32_u24_e32 v40, 0x10001, v40
	v_pk_fma_f16 v24, v21, v37, v24
	v_pk_fma_f16 v32, v21, v41, v32
	v_mul_u32_u24_e32 v42, 0x10001, v16
	v_and_b32_e32 v16, 0xffff, v18
	v_pk_fma_f16 v29, v21, v38, v29
	v_pk_fma_f16 v31, v21, v39, v31
	;; [unrolled: 1-line block ×4, first 2 shown]
	v_mul_u32_u24_e32 v43, 0x10001, v16
	v_and_b32_e32 v16, 0xffff, v19
	s_delay_alu instid0(VALU_DEP_2) | instskip(NEXT) | instid1(VALU_DEP_2)
	v_pk_fma_f16 v30, v21, v43, v30
	v_mul_u32_u24_e32 v44, 0x10001, v16
	ds_load_b128 v[16:19], v139 offset:1328
	v_pk_fma_f16 v33, v21, v44, v33
	s_wait_dscnt 0x0
	v_dual_lshrrev_b32 v45, 16, v16 :: v_dual_lshrrev_b32 v46, 16, v17
	v_dual_lshrrev_b32 v47, 16, v18 :: v_dual_lshrrev_b32 v48, 16, v19
	v_and_b32_e32 v16, 0xffff, v16
	v_and_b32_e32 v17, 0xffff, v17
	;; [unrolled: 1-line block ×4, first 2 shown]
	v_mul_u32_u24_e32 v45, 0x10001, v45
	v_mul_u32_u24_e32 v16, 0x10001, v16
	;; [unrolled: 1-line block ×8, first 2 shown]
	v_pk_fma_f16 v35, v21, v16, v35
	v_pk_fma_f16 v26, v21, v45, v26
	;; [unrolled: 1-line block ×8, first 2 shown]
	ds_load_2addr_b32 v[20:21], v142 offset0:128 offset1:160
	ds_load_b128 v[16:19], v139 offset:320
	s_wait_dscnt 0x0
	v_dual_lshrrev_b32 v38, 16, v16 :: v_dual_lshrrev_b32 v39, 16, v17
	v_and_b32_e32 v16, 0xffff, v16
	v_dual_lshrrev_b32 v40, 16, v18 :: v_dual_lshrrev_b32 v41, 16, v19
	s_delay_alu instid0(VALU_DEP_3) | instskip(NEXT) | instid1(VALU_DEP_4)
	v_mul_u32_u24_e32 v38, 0x10001, v38
	v_mul_u32_u24_e32 v39, 0x10001, v39
	s_delay_alu instid0(VALU_DEP_4)
	v_mul_u32_u24_e32 v42, 0x10001, v16
	v_and_b32_e32 v16, 0xffff, v17
	v_mul_u32_u24_e32 v40, 0x10001, v40
	v_mul_u32_u24_e32 v41, 0x10001, v41
	v_pk_fma_f16 v24, v20, v38, v24
	v_pk_fma_f16 v32, v20, v42, v32
	v_mul_u32_u24_e32 v43, 0x10001, v16
	v_and_b32_e32 v16, 0xffff, v18
	v_pk_fma_f16 v29, v20, v39, v29
	v_pk_fma_f16 v31, v20, v40, v31
	;; [unrolled: 1-line block ×4, first 2 shown]
	v_mul_u32_u24_e32 v44, 0x10001, v16
	v_and_b32_e32 v16, 0xffff, v19
	s_delay_alu instid0(VALU_DEP_2) | instskip(NEXT) | instid1(VALU_DEP_2)
	v_pk_fma_f16 v30, v20, v44, v30
	v_mul_u32_u24_e32 v45, 0x10001, v16
	ds_load_b128 v[16:19], v139 offset:1344
	v_pk_fma_f16 v33, v20, v45, v33
	s_wait_dscnt 0x0
	v_dual_lshrrev_b32 v46, 16, v16 :: v_dual_lshrrev_b32 v47, 16, v17
	v_dual_lshrrev_b32 v48, 16, v18 :: v_dual_lshrrev_b32 v49, 16, v19
	v_and_b32_e32 v16, 0xffff, v16
	v_and_b32_e32 v17, 0xffff, v17
	;; [unrolled: 1-line block ×4, first 2 shown]
	v_mul_u32_u24_e32 v46, 0x10001, v46
	v_mul_u32_u24_e32 v16, 0x10001, v16
	v_mul_u32_u24_e32 v17, 0x10001, v17
	v_mul_u32_u24_e32 v18, 0x10001, v18
	v_mul_u32_u24_e32 v19, 0x10001, v19
	v_mul_u32_u24_e32 v47, 0x10001, v47
	v_mul_u32_u24_e32 v48, 0x10001, v48
	v_mul_u32_u24_e32 v49, 0x10001, v49
	v_pk_fma_f16 v35, v20, v16, v35
	v_pk_fma_f16 v36, v20, v17, v36
	;; [unrolled: 1-line block ×4, first 2 shown]
	ds_load_b128 v[16:19], v139 offset:336
	v_pk_fma_f16 v26, v20, v46, v26
	v_pk_fma_f16 v27, v20, v47, v27
	;; [unrolled: 1-line block ×4, first 2 shown]
	s_wait_dscnt 0x0
	v_dual_lshrrev_b32 v37, 16, v16 :: v_dual_lshrrev_b32 v38, 16, v17
	v_and_b32_e32 v16, 0xffff, v16
	v_dual_lshrrev_b32 v39, 16, v18 :: v_dual_lshrrev_b32 v40, 16, v19
	s_delay_alu instid0(VALU_DEP_3) | instskip(NEXT) | instid1(VALU_DEP_4)
	v_mul_u32_u24_e32 v37, 0x10001, v37
	v_mul_u32_u24_e32 v38, 0x10001, v38
	s_delay_alu instid0(VALU_DEP_4)
	v_mul_u32_u24_e32 v41, 0x10001, v16
	v_and_b32_e32 v16, 0xffff, v17
	v_mul_u32_u24_e32 v39, 0x10001, v39
	v_mul_u32_u24_e32 v40, 0x10001, v40
	v_pk_fma_f16 v24, v21, v37, v24
	v_pk_fma_f16 v32, v21, v41, v32
	v_mul_u32_u24_e32 v42, 0x10001, v16
	v_and_b32_e32 v16, 0xffff, v18
	v_pk_fma_f16 v29, v21, v38, v29
	v_pk_fma_f16 v31, v21, v39, v31
	;; [unrolled: 1-line block ×4, first 2 shown]
	v_mul_u32_u24_e32 v43, 0x10001, v16
	v_and_b32_e32 v16, 0xffff, v19
	s_delay_alu instid0(VALU_DEP_2) | instskip(NEXT) | instid1(VALU_DEP_2)
	v_pk_fma_f16 v30, v21, v43, v30
	v_mul_u32_u24_e32 v44, 0x10001, v16
	ds_load_b128 v[16:19], v139 offset:1360
	v_pk_fma_f16 v33, v21, v44, v33
	s_wait_dscnt 0x0
	v_dual_lshrrev_b32 v45, 16, v16 :: v_dual_lshrrev_b32 v46, 16, v17
	v_dual_lshrrev_b32 v47, 16, v18 :: v_dual_lshrrev_b32 v48, 16, v19
	v_and_b32_e32 v16, 0xffff, v16
	v_and_b32_e32 v17, 0xffff, v17
	;; [unrolled: 1-line block ×4, first 2 shown]
	v_mul_u32_u24_e32 v45, 0x10001, v45
	v_mul_u32_u24_e32 v16, 0x10001, v16
	;; [unrolled: 1-line block ×8, first 2 shown]
	v_pk_fma_f16 v35, v21, v16, v35
	v_pk_fma_f16 v26, v21, v45, v26
	;; [unrolled: 1-line block ×8, first 2 shown]
	ds_load_2addr_b32 v[20:21], v142 offset0:192 offset1:224
	ds_load_b128 v[16:19], v139 offset:352
	s_wait_dscnt 0x0
	v_dual_lshrrev_b32 v38, 16, v16 :: v_dual_lshrrev_b32 v39, 16, v17
	v_and_b32_e32 v16, 0xffff, v16
	v_dual_lshrrev_b32 v40, 16, v18 :: v_dual_lshrrev_b32 v41, 16, v19
	s_delay_alu instid0(VALU_DEP_3) | instskip(NEXT) | instid1(VALU_DEP_4)
	v_mul_u32_u24_e32 v38, 0x10001, v38
	v_mul_u32_u24_e32 v39, 0x10001, v39
	s_delay_alu instid0(VALU_DEP_4)
	v_mul_u32_u24_e32 v42, 0x10001, v16
	v_and_b32_e32 v16, 0xffff, v17
	v_mul_u32_u24_e32 v40, 0x10001, v40
	v_mul_u32_u24_e32 v41, 0x10001, v41
	v_pk_fma_f16 v24, v20, v38, v24
	v_pk_fma_f16 v32, v20, v42, v32
	v_mul_u32_u24_e32 v43, 0x10001, v16
	v_and_b32_e32 v16, 0xffff, v18
	v_pk_fma_f16 v29, v20, v39, v29
	v_pk_fma_f16 v31, v20, v40, v31
	;; [unrolled: 1-line block ×4, first 2 shown]
	v_mul_u32_u24_e32 v44, 0x10001, v16
	v_and_b32_e32 v16, 0xffff, v19
	s_delay_alu instid0(VALU_DEP_2) | instskip(NEXT) | instid1(VALU_DEP_2)
	v_pk_fma_f16 v30, v20, v44, v30
	v_mul_u32_u24_e32 v45, 0x10001, v16
	ds_load_b128 v[16:19], v139 offset:1376
	v_pk_fma_f16 v33, v20, v45, v33
	s_wait_dscnt 0x0
	v_dual_lshrrev_b32 v46, 16, v16 :: v_dual_lshrrev_b32 v47, 16, v17
	v_dual_lshrrev_b32 v48, 16, v18 :: v_dual_lshrrev_b32 v49, 16, v19
	v_and_b32_e32 v16, 0xffff, v16
	v_and_b32_e32 v17, 0xffff, v17
	;; [unrolled: 1-line block ×4, first 2 shown]
	v_mul_u32_u24_e32 v46, 0x10001, v46
	v_mul_u32_u24_e32 v16, 0x10001, v16
	;; [unrolled: 1-line block ×8, first 2 shown]
	v_pk_fma_f16 v35, v20, v16, v35
	v_pk_fma_f16 v36, v20, v17, v36
	;; [unrolled: 1-line block ×4, first 2 shown]
	ds_load_b128 v[16:19], v139 offset:368
	v_pk_fma_f16 v26, v20, v46, v26
	v_pk_fma_f16 v27, v20, v47, v27
	;; [unrolled: 1-line block ×4, first 2 shown]
	s_wait_dscnt 0x0
	v_dual_lshrrev_b32 v37, 16, v16 :: v_dual_lshrrev_b32 v38, 16, v17
	v_and_b32_e32 v16, 0xffff, v16
	v_dual_lshrrev_b32 v39, 16, v18 :: v_dual_lshrrev_b32 v40, 16, v19
	s_delay_alu instid0(VALU_DEP_3) | instskip(NEXT) | instid1(VALU_DEP_4)
	v_mul_u32_u24_e32 v37, 0x10001, v37
	v_mul_u32_u24_e32 v38, 0x10001, v38
	s_delay_alu instid0(VALU_DEP_4)
	v_mul_u32_u24_e32 v41, 0x10001, v16
	v_and_b32_e32 v16, 0xffff, v17
	v_mul_u32_u24_e32 v39, 0x10001, v39
	v_mul_u32_u24_e32 v40, 0x10001, v40
	v_pk_fma_f16 v24, v21, v37, v24
	v_pk_fma_f16 v32, v21, v41, v32
	v_mul_u32_u24_e32 v42, 0x10001, v16
	v_and_b32_e32 v16, 0xffff, v18
	v_pk_fma_f16 v29, v21, v38, v29
	v_pk_fma_f16 v31, v21, v39, v31
	;; [unrolled: 1-line block ×4, first 2 shown]
	v_mul_u32_u24_e32 v43, 0x10001, v16
	v_and_b32_e32 v16, 0xffff, v19
	s_delay_alu instid0(VALU_DEP_2) | instskip(NEXT) | instid1(VALU_DEP_2)
	v_pk_fma_f16 v30, v21, v43, v30
	v_mul_u32_u24_e32 v44, 0x10001, v16
	ds_load_b128 v[16:19], v139 offset:1392
	v_pk_fma_f16 v33, v21, v44, v33
	s_wait_dscnt 0x0
	v_dual_lshrrev_b32 v45, 16, v16 :: v_dual_lshrrev_b32 v46, 16, v17
	v_dual_lshrrev_b32 v47, 16, v18 :: v_dual_lshrrev_b32 v48, 16, v19
	v_and_b32_e32 v16, 0xffff, v16
	v_and_b32_e32 v17, 0xffff, v17
	;; [unrolled: 1-line block ×4, first 2 shown]
	v_mul_u32_u24_e32 v45, 0x10001, v45
	v_mul_u32_u24_e32 v16, 0x10001, v16
	v_mul_u32_u24_e32 v17, 0x10001, v17
	v_mul_u32_u24_e32 v46, 0x10001, v46
	v_mul_u32_u24_e32 v18, 0x10001, v18
	v_mul_u32_u24_e32 v47, 0x10001, v47
	v_mul_u32_u24_e32 v19, 0x10001, v19
	v_mul_u32_u24_e32 v48, 0x10001, v48
	v_pk_fma_f16 v35, v21, v16, v35
	v_pk_fma_f16 v26, v21, v45, v26
	;; [unrolled: 1-line block ×8, first 2 shown]
	ds_load_2addr_b32 v[20:21], v143 offset1:32
	ds_load_b128 v[16:19], v139 offset:384
	s_wait_dscnt 0x0
	v_dual_lshrrev_b32 v38, 16, v16 :: v_dual_lshrrev_b32 v39, 16, v17
	v_and_b32_e32 v16, 0xffff, v16
	v_dual_lshrrev_b32 v40, 16, v18 :: v_dual_lshrrev_b32 v41, 16, v19
	s_delay_alu instid0(VALU_DEP_3) | instskip(NEXT) | instid1(VALU_DEP_4)
	v_mul_u32_u24_e32 v38, 0x10001, v38
	v_mul_u32_u24_e32 v39, 0x10001, v39
	s_delay_alu instid0(VALU_DEP_4)
	v_mul_u32_u24_e32 v42, 0x10001, v16
	v_and_b32_e32 v16, 0xffff, v17
	v_mul_u32_u24_e32 v40, 0x10001, v40
	v_mul_u32_u24_e32 v41, 0x10001, v41
	v_pk_fma_f16 v24, v20, v38, v24
	v_pk_fma_f16 v32, v20, v42, v32
	v_mul_u32_u24_e32 v43, 0x10001, v16
	v_and_b32_e32 v16, 0xffff, v18
	v_pk_fma_f16 v29, v20, v39, v29
	v_pk_fma_f16 v31, v20, v40, v31
	;; [unrolled: 1-line block ×4, first 2 shown]
	v_mul_u32_u24_e32 v44, 0x10001, v16
	v_and_b32_e32 v16, 0xffff, v19
	s_delay_alu instid0(VALU_DEP_2) | instskip(NEXT) | instid1(VALU_DEP_2)
	v_pk_fma_f16 v30, v20, v44, v30
	v_mul_u32_u24_e32 v45, 0x10001, v16
	ds_load_b128 v[16:19], v139 offset:1408
	v_pk_fma_f16 v33, v20, v45, v33
	s_wait_dscnt 0x0
	v_dual_lshrrev_b32 v46, 16, v16 :: v_dual_lshrrev_b32 v47, 16, v17
	v_dual_lshrrev_b32 v48, 16, v18 :: v_dual_lshrrev_b32 v49, 16, v19
	v_and_b32_e32 v16, 0xffff, v16
	v_and_b32_e32 v17, 0xffff, v17
	;; [unrolled: 1-line block ×4, first 2 shown]
	v_mul_u32_u24_e32 v46, 0x10001, v46
	v_mul_u32_u24_e32 v16, 0x10001, v16
	;; [unrolled: 1-line block ×8, first 2 shown]
	v_pk_fma_f16 v35, v20, v16, v35
	v_pk_fma_f16 v36, v20, v17, v36
	;; [unrolled: 1-line block ×4, first 2 shown]
	ds_load_b128 v[16:19], v139 offset:400
	v_pk_fma_f16 v26, v20, v46, v26
	v_pk_fma_f16 v27, v20, v47, v27
	;; [unrolled: 1-line block ×4, first 2 shown]
	s_wait_dscnt 0x0
	v_dual_lshrrev_b32 v37, 16, v16 :: v_dual_lshrrev_b32 v38, 16, v17
	v_and_b32_e32 v16, 0xffff, v16
	v_dual_lshrrev_b32 v39, 16, v18 :: v_dual_lshrrev_b32 v40, 16, v19
	s_delay_alu instid0(VALU_DEP_3) | instskip(NEXT) | instid1(VALU_DEP_4)
	v_mul_u32_u24_e32 v37, 0x10001, v37
	v_mul_u32_u24_e32 v38, 0x10001, v38
	s_delay_alu instid0(VALU_DEP_4)
	v_mul_u32_u24_e32 v41, 0x10001, v16
	v_and_b32_e32 v16, 0xffff, v17
	v_mul_u32_u24_e32 v39, 0x10001, v39
	v_mul_u32_u24_e32 v40, 0x10001, v40
	v_pk_fma_f16 v24, v21, v37, v24
	v_pk_fma_f16 v32, v21, v41, v32
	v_mul_u32_u24_e32 v42, 0x10001, v16
	v_and_b32_e32 v16, 0xffff, v18
	v_pk_fma_f16 v29, v21, v38, v29
	v_pk_fma_f16 v31, v21, v39, v31
	;; [unrolled: 1-line block ×4, first 2 shown]
	v_mul_u32_u24_e32 v43, 0x10001, v16
	v_and_b32_e32 v16, 0xffff, v19
	s_delay_alu instid0(VALU_DEP_2) | instskip(NEXT) | instid1(VALU_DEP_2)
	v_pk_fma_f16 v30, v21, v43, v30
	v_mul_u32_u24_e32 v44, 0x10001, v16
	ds_load_b128 v[16:19], v139 offset:1424
	v_pk_fma_f16 v33, v21, v44, v33
	s_wait_dscnt 0x0
	v_dual_lshrrev_b32 v45, 16, v16 :: v_dual_lshrrev_b32 v46, 16, v17
	v_dual_lshrrev_b32 v47, 16, v18 :: v_dual_lshrrev_b32 v48, 16, v19
	v_and_b32_e32 v16, 0xffff, v16
	v_and_b32_e32 v17, 0xffff, v17
	;; [unrolled: 1-line block ×4, first 2 shown]
	v_mul_u32_u24_e32 v45, 0x10001, v45
	v_mul_u32_u24_e32 v16, 0x10001, v16
	v_mul_u32_u24_e32 v17, 0x10001, v17
	v_mul_u32_u24_e32 v46, 0x10001, v46
	v_mul_u32_u24_e32 v18, 0x10001, v18
	v_mul_u32_u24_e32 v47, 0x10001, v47
	v_mul_u32_u24_e32 v19, 0x10001, v19
	v_mul_u32_u24_e32 v48, 0x10001, v48
	v_pk_fma_f16 v35, v21, v16, v35
	v_pk_fma_f16 v26, v21, v45, v26
	;; [unrolled: 1-line block ×8, first 2 shown]
	ds_load_2addr_b32 v[20:21], v143 offset0:64 offset1:96
	ds_load_b128 v[16:19], v139 offset:416
	s_wait_dscnt 0x0
	v_dual_lshrrev_b32 v38, 16, v16 :: v_dual_lshrrev_b32 v39, 16, v17
	v_and_b32_e32 v16, 0xffff, v16
	v_dual_lshrrev_b32 v40, 16, v18 :: v_dual_lshrrev_b32 v41, 16, v19
	s_delay_alu instid0(VALU_DEP_3) | instskip(NEXT) | instid1(VALU_DEP_4)
	v_mul_u32_u24_e32 v38, 0x10001, v38
	v_mul_u32_u24_e32 v39, 0x10001, v39
	s_delay_alu instid0(VALU_DEP_4)
	v_mul_u32_u24_e32 v42, 0x10001, v16
	v_and_b32_e32 v16, 0xffff, v17
	v_mul_u32_u24_e32 v40, 0x10001, v40
	v_mul_u32_u24_e32 v41, 0x10001, v41
	v_pk_fma_f16 v24, v20, v38, v24
	v_pk_fma_f16 v32, v20, v42, v32
	v_mul_u32_u24_e32 v43, 0x10001, v16
	v_and_b32_e32 v16, 0xffff, v18
	v_pk_fma_f16 v29, v20, v39, v29
	v_pk_fma_f16 v31, v20, v40, v31
	v_pk_fma_f16 v34, v20, v41, v34
	v_pk_fma_f16 v25, v20, v43, v25
	v_mul_u32_u24_e32 v44, 0x10001, v16
	v_and_b32_e32 v16, 0xffff, v19
	s_delay_alu instid0(VALU_DEP_2) | instskip(NEXT) | instid1(VALU_DEP_2)
	v_pk_fma_f16 v30, v20, v44, v30
	v_mul_u32_u24_e32 v45, 0x10001, v16
	ds_load_b128 v[16:19], v139 offset:1440
	v_pk_fma_f16 v33, v20, v45, v33
	s_wait_dscnt 0x0
	v_dual_lshrrev_b32 v46, 16, v16 :: v_dual_lshrrev_b32 v47, 16, v17
	v_dual_lshrrev_b32 v48, 16, v18 :: v_dual_lshrrev_b32 v49, 16, v19
	v_and_b32_e32 v16, 0xffff, v16
	v_and_b32_e32 v17, 0xffff, v17
	v_and_b32_e32 v18, 0xffff, v18
	v_and_b32_e32 v19, 0xffff, v19
	v_mul_u32_u24_e32 v46, 0x10001, v46
	v_mul_u32_u24_e32 v16, 0x10001, v16
	;; [unrolled: 1-line block ×8, first 2 shown]
	v_pk_fma_f16 v35, v20, v16, v35
	v_pk_fma_f16 v36, v20, v17, v36
	;; [unrolled: 1-line block ×4, first 2 shown]
	ds_load_b128 v[16:19], v139 offset:432
	v_pk_fma_f16 v26, v20, v46, v26
	v_pk_fma_f16 v27, v20, v47, v27
	v_pk_fma_f16 v28, v20, v48, v28
	v_pk_fma_f16 v20, v20, v49, v37
	s_wait_dscnt 0x0
	v_dual_lshrrev_b32 v37, 16, v16 :: v_dual_lshrrev_b32 v38, 16, v17
	v_and_b32_e32 v16, 0xffff, v16
	v_dual_lshrrev_b32 v39, 16, v18 :: v_dual_lshrrev_b32 v40, 16, v19
	s_delay_alu instid0(VALU_DEP_3) | instskip(NEXT) | instid1(VALU_DEP_4)
	v_mul_u32_u24_e32 v37, 0x10001, v37
	v_mul_u32_u24_e32 v38, 0x10001, v38
	s_delay_alu instid0(VALU_DEP_4)
	v_mul_u32_u24_e32 v41, 0x10001, v16
	v_and_b32_e32 v16, 0xffff, v17
	v_mul_u32_u24_e32 v39, 0x10001, v39
	v_mul_u32_u24_e32 v40, 0x10001, v40
	v_pk_fma_f16 v24, v21, v37, v24
	v_pk_fma_f16 v32, v21, v41, v32
	v_mul_u32_u24_e32 v42, 0x10001, v16
	v_and_b32_e32 v16, 0xffff, v18
	v_pk_fma_f16 v29, v21, v38, v29
	v_pk_fma_f16 v31, v21, v39, v31
	;; [unrolled: 1-line block ×4, first 2 shown]
	v_mul_u32_u24_e32 v43, 0x10001, v16
	v_and_b32_e32 v16, 0xffff, v19
	s_delay_alu instid0(VALU_DEP_2) | instskip(NEXT) | instid1(VALU_DEP_2)
	v_pk_fma_f16 v30, v21, v43, v30
	v_mul_u32_u24_e32 v44, 0x10001, v16
	ds_load_b128 v[16:19], v139 offset:1456
	v_pk_fma_f16 v33, v21, v44, v33
	s_wait_dscnt 0x0
	v_dual_lshrrev_b32 v45, 16, v16 :: v_dual_lshrrev_b32 v46, 16, v17
	v_dual_lshrrev_b32 v47, 16, v18 :: v_dual_lshrrev_b32 v48, 16, v19
	v_and_b32_e32 v16, 0xffff, v16
	v_and_b32_e32 v17, 0xffff, v17
	;; [unrolled: 1-line block ×4, first 2 shown]
	v_mul_u32_u24_e32 v45, 0x10001, v45
	v_mul_u32_u24_e32 v16, 0x10001, v16
	;; [unrolled: 1-line block ×8, first 2 shown]
	v_pk_fma_f16 v35, v21, v16, v35
	v_pk_fma_f16 v26, v21, v45, v26
	;; [unrolled: 1-line block ×8, first 2 shown]
	ds_load_2addr_b32 v[20:21], v143 offset0:128 offset1:160
	ds_load_b128 v[16:19], v139 offset:448
	s_wait_dscnt 0x0
	v_dual_lshrrev_b32 v38, 16, v16 :: v_dual_lshrrev_b32 v39, 16, v17
	v_and_b32_e32 v16, 0xffff, v16
	v_dual_lshrrev_b32 v40, 16, v18 :: v_dual_lshrrev_b32 v41, 16, v19
	s_delay_alu instid0(VALU_DEP_3) | instskip(NEXT) | instid1(VALU_DEP_4)
	v_mul_u32_u24_e32 v38, 0x10001, v38
	v_mul_u32_u24_e32 v39, 0x10001, v39
	s_delay_alu instid0(VALU_DEP_4)
	v_mul_u32_u24_e32 v42, 0x10001, v16
	v_and_b32_e32 v16, 0xffff, v17
	v_mul_u32_u24_e32 v40, 0x10001, v40
	v_mul_u32_u24_e32 v41, 0x10001, v41
	v_pk_fma_f16 v24, v20, v38, v24
	v_pk_fma_f16 v32, v20, v42, v32
	v_mul_u32_u24_e32 v43, 0x10001, v16
	v_and_b32_e32 v16, 0xffff, v18
	v_pk_fma_f16 v29, v20, v39, v29
	v_pk_fma_f16 v31, v20, v40, v31
	;; [unrolled: 1-line block ×4, first 2 shown]
	v_mul_u32_u24_e32 v44, 0x10001, v16
	v_and_b32_e32 v16, 0xffff, v19
	s_delay_alu instid0(VALU_DEP_2) | instskip(NEXT) | instid1(VALU_DEP_2)
	v_pk_fma_f16 v30, v20, v44, v30
	v_mul_u32_u24_e32 v45, 0x10001, v16
	ds_load_b128 v[16:19], v139 offset:1472
	v_pk_fma_f16 v33, v20, v45, v33
	s_wait_dscnt 0x0
	v_dual_lshrrev_b32 v46, 16, v16 :: v_dual_lshrrev_b32 v47, 16, v17
	v_dual_lshrrev_b32 v48, 16, v18 :: v_dual_lshrrev_b32 v49, 16, v19
	v_and_b32_e32 v16, 0xffff, v16
	v_and_b32_e32 v17, 0xffff, v17
	;; [unrolled: 1-line block ×4, first 2 shown]
	v_mul_u32_u24_e32 v46, 0x10001, v46
	v_mul_u32_u24_e32 v16, 0x10001, v16
	v_mul_u32_u24_e32 v17, 0x10001, v17
	v_mul_u32_u24_e32 v18, 0x10001, v18
	v_mul_u32_u24_e32 v19, 0x10001, v19
	v_mul_u32_u24_e32 v47, 0x10001, v47
	v_mul_u32_u24_e32 v48, 0x10001, v48
	v_mul_u32_u24_e32 v49, 0x10001, v49
	v_pk_fma_f16 v35, v20, v16, v35
	v_pk_fma_f16 v36, v20, v17, v36
	;; [unrolled: 1-line block ×4, first 2 shown]
	ds_load_b128 v[16:19], v139 offset:464
	v_pk_fma_f16 v26, v20, v46, v26
	v_pk_fma_f16 v27, v20, v47, v27
	v_pk_fma_f16 v28, v20, v48, v28
	v_pk_fma_f16 v20, v20, v49, v37
	s_wait_dscnt 0x0
	v_dual_lshrrev_b32 v37, 16, v16 :: v_dual_lshrrev_b32 v38, 16, v17
	v_and_b32_e32 v16, 0xffff, v16
	v_dual_lshrrev_b32 v39, 16, v18 :: v_dual_lshrrev_b32 v40, 16, v19
	s_delay_alu instid0(VALU_DEP_3) | instskip(NEXT) | instid1(VALU_DEP_4)
	v_mul_u32_u24_e32 v37, 0x10001, v37
	v_mul_u32_u24_e32 v38, 0x10001, v38
	s_delay_alu instid0(VALU_DEP_4)
	v_mul_u32_u24_e32 v41, 0x10001, v16
	v_and_b32_e32 v16, 0xffff, v17
	v_mul_u32_u24_e32 v39, 0x10001, v39
	v_mul_u32_u24_e32 v40, 0x10001, v40
	v_pk_fma_f16 v24, v21, v37, v24
	v_pk_fma_f16 v32, v21, v41, v32
	v_mul_u32_u24_e32 v42, 0x10001, v16
	v_and_b32_e32 v16, 0xffff, v18
	v_pk_fma_f16 v29, v21, v38, v29
	v_pk_fma_f16 v31, v21, v39, v31
	;; [unrolled: 1-line block ×4, first 2 shown]
	v_mul_u32_u24_e32 v43, 0x10001, v16
	v_and_b32_e32 v16, 0xffff, v19
	s_delay_alu instid0(VALU_DEP_2) | instskip(NEXT) | instid1(VALU_DEP_2)
	v_pk_fma_f16 v30, v21, v43, v30
	v_mul_u32_u24_e32 v44, 0x10001, v16
	ds_load_b128 v[16:19], v139 offset:1488
	v_pk_fma_f16 v33, v21, v44, v33
	s_wait_dscnt 0x0
	v_dual_lshrrev_b32 v45, 16, v16 :: v_dual_lshrrev_b32 v46, 16, v17
	v_dual_lshrrev_b32 v47, 16, v18 :: v_dual_lshrrev_b32 v48, 16, v19
	v_and_b32_e32 v16, 0xffff, v16
	v_and_b32_e32 v17, 0xffff, v17
	;; [unrolled: 1-line block ×4, first 2 shown]
	v_mul_u32_u24_e32 v45, 0x10001, v45
	v_mul_u32_u24_e32 v16, 0x10001, v16
	;; [unrolled: 1-line block ×8, first 2 shown]
	v_pk_fma_f16 v35, v21, v16, v35
	v_pk_fma_f16 v26, v21, v45, v26
	;; [unrolled: 1-line block ×8, first 2 shown]
	ds_load_2addr_b32 v[20:21], v143 offset0:192 offset1:224
	ds_load_b128 v[16:19], v139 offset:480
	s_wait_dscnt 0x0
	v_dual_lshrrev_b32 v38, 16, v16 :: v_dual_lshrrev_b32 v39, 16, v17
	v_and_b32_e32 v16, 0xffff, v16
	v_dual_lshrrev_b32 v40, 16, v18 :: v_dual_lshrrev_b32 v41, 16, v19
	s_delay_alu instid0(VALU_DEP_3) | instskip(NEXT) | instid1(VALU_DEP_4)
	v_mul_u32_u24_e32 v38, 0x10001, v38
	v_mul_u32_u24_e32 v39, 0x10001, v39
	s_delay_alu instid0(VALU_DEP_4)
	v_mul_u32_u24_e32 v42, 0x10001, v16
	v_and_b32_e32 v16, 0xffff, v17
	v_mul_u32_u24_e32 v40, 0x10001, v40
	v_mul_u32_u24_e32 v41, 0x10001, v41
	v_pk_fma_f16 v24, v20, v38, v24
	v_pk_fma_f16 v32, v20, v42, v32
	v_mul_u32_u24_e32 v43, 0x10001, v16
	v_and_b32_e32 v16, 0xffff, v18
	v_pk_fma_f16 v29, v20, v39, v29
	v_pk_fma_f16 v31, v20, v40, v31
	;; [unrolled: 1-line block ×4, first 2 shown]
	v_mul_u32_u24_e32 v44, 0x10001, v16
	v_and_b32_e32 v16, 0xffff, v19
	s_delay_alu instid0(VALU_DEP_2) | instskip(NEXT) | instid1(VALU_DEP_2)
	v_pk_fma_f16 v30, v20, v44, v30
	v_mul_u32_u24_e32 v45, 0x10001, v16
	ds_load_b128 v[16:19], v139 offset:1504
	v_pk_fma_f16 v33, v20, v45, v33
	s_wait_dscnt 0x0
	v_dual_lshrrev_b32 v46, 16, v16 :: v_dual_lshrrev_b32 v47, 16, v17
	v_dual_lshrrev_b32 v48, 16, v18 :: v_dual_lshrrev_b32 v49, 16, v19
	v_and_b32_e32 v16, 0xffff, v16
	v_and_b32_e32 v17, 0xffff, v17
	;; [unrolled: 1-line block ×4, first 2 shown]
	v_mul_u32_u24_e32 v46, 0x10001, v46
	v_mul_u32_u24_e32 v16, 0x10001, v16
	;; [unrolled: 1-line block ×8, first 2 shown]
	v_pk_fma_f16 v35, v20, v16, v35
	v_pk_fma_f16 v36, v20, v17, v36
	;; [unrolled: 1-line block ×4, first 2 shown]
	ds_load_b128 v[16:19], v139 offset:496
	v_pk_fma_f16 v26, v20, v46, v26
	v_pk_fma_f16 v27, v20, v47, v27
	v_pk_fma_f16 v28, v20, v48, v28
	v_pk_fma_f16 v20, v20, v49, v37
	s_wait_dscnt 0x0
	v_dual_lshrrev_b32 v37, 16, v16 :: v_dual_lshrrev_b32 v38, 16, v17
	v_and_b32_e32 v16, 0xffff, v16
	v_dual_lshrrev_b32 v39, 16, v18 :: v_dual_lshrrev_b32 v40, 16, v19
	s_delay_alu instid0(VALU_DEP_3) | instskip(NEXT) | instid1(VALU_DEP_4)
	v_mul_u32_u24_e32 v37, 0x10001, v37
	v_mul_u32_u24_e32 v38, 0x10001, v38
	s_delay_alu instid0(VALU_DEP_4)
	v_mul_u32_u24_e32 v41, 0x10001, v16
	v_and_b32_e32 v16, 0xffff, v17
	v_mul_u32_u24_e32 v39, 0x10001, v39
	v_mul_u32_u24_e32 v40, 0x10001, v40
	v_pk_fma_f16 v24, v21, v37, v24
	v_pk_fma_f16 v32, v21, v41, v32
	v_mul_u32_u24_e32 v42, 0x10001, v16
	v_and_b32_e32 v16, 0xffff, v18
	v_pk_fma_f16 v29, v21, v38, v29
	v_pk_fma_f16 v31, v21, v39, v31
	;; [unrolled: 1-line block ×4, first 2 shown]
	v_mul_u32_u24_e32 v43, 0x10001, v16
	v_and_b32_e32 v16, 0xffff, v19
	s_delay_alu instid0(VALU_DEP_2) | instskip(NEXT) | instid1(VALU_DEP_2)
	v_pk_fma_f16 v30, v21, v43, v30
	v_mul_u32_u24_e32 v44, 0x10001, v16
	ds_load_b128 v[16:19], v139 offset:1520
	v_pk_fma_f16 v33, v21, v44, v33
	s_wait_dscnt 0x0
	v_dual_lshrrev_b32 v45, 16, v16 :: v_dual_lshrrev_b32 v46, 16, v17
	v_dual_lshrrev_b32 v47, 16, v18 :: v_dual_lshrrev_b32 v48, 16, v19
	v_and_b32_e32 v16, 0xffff, v16
	v_and_b32_e32 v17, 0xffff, v17
	;; [unrolled: 1-line block ×4, first 2 shown]
	v_mul_u32_u24_e32 v45, 0x10001, v45
	v_mul_u32_u24_e32 v16, 0x10001, v16
	;; [unrolled: 1-line block ×8, first 2 shown]
	v_pk_fma_f16 v35, v21, v16, v35
	v_pk_fma_f16 v26, v21, v45, v26
	;; [unrolled: 1-line block ×8, first 2 shown]
	ds_load_2addr_b32 v[20:21], v144 offset1:32
	ds_load_b128 v[16:19], v139 offset:512
	s_wait_dscnt 0x0
	v_dual_lshrrev_b32 v38, 16, v16 :: v_dual_lshrrev_b32 v39, 16, v17
	v_and_b32_e32 v16, 0xffff, v16
	v_dual_lshrrev_b32 v40, 16, v18 :: v_dual_lshrrev_b32 v41, 16, v19
	s_delay_alu instid0(VALU_DEP_3) | instskip(NEXT) | instid1(VALU_DEP_4)
	v_mul_u32_u24_e32 v38, 0x10001, v38
	v_mul_u32_u24_e32 v39, 0x10001, v39
	s_delay_alu instid0(VALU_DEP_4)
	v_mul_u32_u24_e32 v42, 0x10001, v16
	v_and_b32_e32 v16, 0xffff, v17
	v_mul_u32_u24_e32 v40, 0x10001, v40
	v_mul_u32_u24_e32 v41, 0x10001, v41
	v_pk_fma_f16 v24, v20, v38, v24
	v_pk_fma_f16 v32, v20, v42, v32
	v_mul_u32_u24_e32 v43, 0x10001, v16
	v_and_b32_e32 v16, 0xffff, v18
	v_pk_fma_f16 v29, v20, v39, v29
	v_pk_fma_f16 v31, v20, v40, v31
	;; [unrolled: 1-line block ×4, first 2 shown]
	v_mul_u32_u24_e32 v44, 0x10001, v16
	v_and_b32_e32 v16, 0xffff, v19
	s_delay_alu instid0(VALU_DEP_2) | instskip(NEXT) | instid1(VALU_DEP_2)
	v_pk_fma_f16 v30, v20, v44, v30
	v_mul_u32_u24_e32 v45, 0x10001, v16
	ds_load_b128 v[16:19], v139 offset:1536
	v_pk_fma_f16 v33, v20, v45, v33
	s_wait_dscnt 0x0
	v_dual_lshrrev_b32 v46, 16, v16 :: v_dual_lshrrev_b32 v47, 16, v17
	v_dual_lshrrev_b32 v48, 16, v18 :: v_dual_lshrrev_b32 v49, 16, v19
	v_and_b32_e32 v16, 0xffff, v16
	v_and_b32_e32 v17, 0xffff, v17
	;; [unrolled: 1-line block ×4, first 2 shown]
	v_mul_u32_u24_e32 v46, 0x10001, v46
	v_mul_u32_u24_e32 v16, 0x10001, v16
	;; [unrolled: 1-line block ×6, first 2 shown]
	v_pk_fma_f16 v35, v20, v16, v35
	v_pk_fma_f16 v36, v20, v17, v36
	;; [unrolled: 1-line block ×4, first 2 shown]
	ds_load_b128 v[16:19], v139 offset:528
	v_mul_u32_u24_e32 v48, 0x10001, v48
	v_mul_u32_u24_e32 v49, 0x10001, v49
	v_pk_fma_f16 v26, v20, v46, v26
	v_pk_fma_f16 v27, v20, v47, v27
	s_delay_alu instid0(VALU_DEP_4) | instskip(NEXT) | instid1(VALU_DEP_4)
	v_pk_fma_f16 v28, v20, v48, v28
	v_pk_fma_f16 v20, v20, v49, v37
	s_wait_dscnt 0x0
	v_dual_lshrrev_b32 v37, 16, v16 :: v_dual_lshrrev_b32 v38, 16, v17
	v_and_b32_e32 v16, 0xffff, v16
	v_dual_lshrrev_b32 v39, 16, v18 :: v_dual_lshrrev_b32 v40, 16, v19
	s_delay_alu instid0(VALU_DEP_3) | instskip(NEXT) | instid1(VALU_DEP_4)
	v_mul_u32_u24_e32 v37, 0x10001, v37
	v_mul_u32_u24_e32 v38, 0x10001, v38
	s_delay_alu instid0(VALU_DEP_4)
	v_mul_u32_u24_e32 v41, 0x10001, v16
	v_and_b32_e32 v16, 0xffff, v17
	v_mul_u32_u24_e32 v39, 0x10001, v39
	v_mul_u32_u24_e32 v40, 0x10001, v40
	v_pk_fma_f16 v24, v21, v37, v24
	v_pk_fma_f16 v32, v21, v41, v32
	v_mul_u32_u24_e32 v42, 0x10001, v16
	v_and_b32_e32 v16, 0xffff, v18
	v_pk_fma_f16 v29, v21, v38, v29
	v_pk_fma_f16 v31, v21, v39, v31
	;; [unrolled: 1-line block ×4, first 2 shown]
	v_mul_u32_u24_e32 v43, 0x10001, v16
	v_and_b32_e32 v16, 0xffff, v19
	s_delay_alu instid0(VALU_DEP_2) | instskip(NEXT) | instid1(VALU_DEP_2)
	v_pk_fma_f16 v30, v21, v43, v30
	v_mul_u32_u24_e32 v44, 0x10001, v16
	ds_load_b128 v[16:19], v139 offset:1552
	v_pk_fma_f16 v33, v21, v44, v33
	s_wait_dscnt 0x0
	v_dual_lshrrev_b32 v45, 16, v16 :: v_dual_lshrrev_b32 v46, 16, v17
	v_dual_lshrrev_b32 v47, 16, v18 :: v_dual_lshrrev_b32 v48, 16, v19
	v_and_b32_e32 v16, 0xffff, v16
	v_and_b32_e32 v17, 0xffff, v17
	v_and_b32_e32 v18, 0xffff, v18
	v_and_b32_e32 v19, 0xffff, v19
	v_mul_u32_u24_e32 v45, 0x10001, v45
	v_mul_u32_u24_e32 v16, 0x10001, v16
	;; [unrolled: 1-line block ×8, first 2 shown]
	v_pk_fma_f16 v35, v21, v16, v35
	v_pk_fma_f16 v26, v21, v45, v26
	;; [unrolled: 1-line block ×8, first 2 shown]
	ds_load_2addr_b32 v[20:21], v144 offset0:64 offset1:96
	ds_load_b128 v[16:19], v139 offset:544
	s_wait_dscnt 0x0
	v_dual_lshrrev_b32 v38, 16, v16 :: v_dual_lshrrev_b32 v39, 16, v17
	v_and_b32_e32 v16, 0xffff, v16
	v_dual_lshrrev_b32 v40, 16, v18 :: v_dual_lshrrev_b32 v41, 16, v19
	s_delay_alu instid0(VALU_DEP_3) | instskip(NEXT) | instid1(VALU_DEP_4)
	v_mul_u32_u24_e32 v38, 0x10001, v38
	v_mul_u32_u24_e32 v39, 0x10001, v39
	s_delay_alu instid0(VALU_DEP_4)
	v_mul_u32_u24_e32 v42, 0x10001, v16
	v_and_b32_e32 v16, 0xffff, v17
	v_mul_u32_u24_e32 v40, 0x10001, v40
	v_mul_u32_u24_e32 v41, 0x10001, v41
	v_pk_fma_f16 v24, v20, v38, v24
	v_pk_fma_f16 v32, v20, v42, v32
	v_mul_u32_u24_e32 v43, 0x10001, v16
	v_and_b32_e32 v16, 0xffff, v18
	v_pk_fma_f16 v29, v20, v39, v29
	v_pk_fma_f16 v31, v20, v40, v31
	;; [unrolled: 1-line block ×4, first 2 shown]
	v_mul_u32_u24_e32 v44, 0x10001, v16
	v_and_b32_e32 v16, 0xffff, v19
	s_delay_alu instid0(VALU_DEP_2) | instskip(NEXT) | instid1(VALU_DEP_2)
	v_pk_fma_f16 v30, v20, v44, v30
	v_mul_u32_u24_e32 v45, 0x10001, v16
	ds_load_b128 v[16:19], v139 offset:1568
	v_pk_fma_f16 v33, v20, v45, v33
	s_wait_dscnt 0x0
	v_dual_lshrrev_b32 v46, 16, v16 :: v_dual_lshrrev_b32 v47, 16, v17
	v_dual_lshrrev_b32 v48, 16, v18 :: v_dual_lshrrev_b32 v49, 16, v19
	v_and_b32_e32 v16, 0xffff, v16
	v_and_b32_e32 v17, 0xffff, v17
	;; [unrolled: 1-line block ×4, first 2 shown]
	v_mul_u32_u24_e32 v46, 0x10001, v46
	v_mul_u32_u24_e32 v16, 0x10001, v16
	;; [unrolled: 1-line block ×6, first 2 shown]
	v_pk_fma_f16 v35, v20, v16, v35
	v_pk_fma_f16 v36, v20, v17, v36
	;; [unrolled: 1-line block ×4, first 2 shown]
	ds_load_b128 v[16:19], v139 offset:560
	v_mul_u32_u24_e32 v48, 0x10001, v48
	v_mul_u32_u24_e32 v49, 0x10001, v49
	v_pk_fma_f16 v26, v20, v46, v26
	v_pk_fma_f16 v27, v20, v47, v27
	s_delay_alu instid0(VALU_DEP_4) | instskip(NEXT) | instid1(VALU_DEP_4)
	v_pk_fma_f16 v28, v20, v48, v28
	v_pk_fma_f16 v20, v20, v49, v37
	s_wait_dscnt 0x0
	v_dual_lshrrev_b32 v37, 16, v16 :: v_dual_lshrrev_b32 v38, 16, v17
	v_and_b32_e32 v16, 0xffff, v16
	v_dual_lshrrev_b32 v39, 16, v18 :: v_dual_lshrrev_b32 v40, 16, v19
	s_delay_alu instid0(VALU_DEP_3) | instskip(NEXT) | instid1(VALU_DEP_4)
	v_mul_u32_u24_e32 v37, 0x10001, v37
	v_mul_u32_u24_e32 v38, 0x10001, v38
	s_delay_alu instid0(VALU_DEP_4)
	v_mul_u32_u24_e32 v41, 0x10001, v16
	v_and_b32_e32 v16, 0xffff, v17
	v_mul_u32_u24_e32 v39, 0x10001, v39
	v_mul_u32_u24_e32 v40, 0x10001, v40
	v_pk_fma_f16 v24, v21, v37, v24
	v_pk_fma_f16 v32, v21, v41, v32
	v_mul_u32_u24_e32 v42, 0x10001, v16
	v_and_b32_e32 v16, 0xffff, v18
	v_pk_fma_f16 v29, v21, v38, v29
	v_pk_fma_f16 v31, v21, v39, v31
	;; [unrolled: 1-line block ×4, first 2 shown]
	v_mul_u32_u24_e32 v43, 0x10001, v16
	v_and_b32_e32 v16, 0xffff, v19
	s_delay_alu instid0(VALU_DEP_2) | instskip(NEXT) | instid1(VALU_DEP_2)
	v_pk_fma_f16 v30, v21, v43, v30
	v_mul_u32_u24_e32 v44, 0x10001, v16
	ds_load_b128 v[16:19], v139 offset:1584
	v_pk_fma_f16 v33, v21, v44, v33
	s_wait_dscnt 0x0
	v_dual_lshrrev_b32 v45, 16, v16 :: v_dual_lshrrev_b32 v46, 16, v17
	v_dual_lshrrev_b32 v47, 16, v18 :: v_dual_lshrrev_b32 v48, 16, v19
	v_and_b32_e32 v16, 0xffff, v16
	v_and_b32_e32 v17, 0xffff, v17
	;; [unrolled: 1-line block ×4, first 2 shown]
	v_mul_u32_u24_e32 v45, 0x10001, v45
	v_mul_u32_u24_e32 v16, 0x10001, v16
	;; [unrolled: 1-line block ×8, first 2 shown]
	v_pk_fma_f16 v35, v21, v16, v35
	v_pk_fma_f16 v26, v21, v45, v26
	;; [unrolled: 1-line block ×8, first 2 shown]
	ds_load_2addr_b32 v[20:21], v144 offset0:128 offset1:160
	ds_load_b128 v[16:19], v139 offset:576
	s_wait_dscnt 0x0
	v_dual_lshrrev_b32 v38, 16, v16 :: v_dual_lshrrev_b32 v39, 16, v17
	v_and_b32_e32 v16, 0xffff, v16
	v_dual_lshrrev_b32 v40, 16, v18 :: v_dual_lshrrev_b32 v41, 16, v19
	s_delay_alu instid0(VALU_DEP_3) | instskip(NEXT) | instid1(VALU_DEP_4)
	v_mul_u32_u24_e32 v38, 0x10001, v38
	v_mul_u32_u24_e32 v39, 0x10001, v39
	s_delay_alu instid0(VALU_DEP_4)
	v_mul_u32_u24_e32 v42, 0x10001, v16
	v_and_b32_e32 v16, 0xffff, v17
	v_mul_u32_u24_e32 v40, 0x10001, v40
	v_mul_u32_u24_e32 v41, 0x10001, v41
	v_pk_fma_f16 v24, v20, v38, v24
	v_pk_fma_f16 v32, v20, v42, v32
	v_mul_u32_u24_e32 v43, 0x10001, v16
	v_and_b32_e32 v16, 0xffff, v18
	v_pk_fma_f16 v29, v20, v39, v29
	v_pk_fma_f16 v31, v20, v40, v31
	;; [unrolled: 1-line block ×4, first 2 shown]
	v_mul_u32_u24_e32 v44, 0x10001, v16
	v_and_b32_e32 v16, 0xffff, v19
	s_delay_alu instid0(VALU_DEP_2) | instskip(NEXT) | instid1(VALU_DEP_2)
	v_pk_fma_f16 v30, v20, v44, v30
	v_mul_u32_u24_e32 v45, 0x10001, v16
	ds_load_b128 v[16:19], v139 offset:1600
	v_pk_fma_f16 v33, v20, v45, v33
	s_wait_dscnt 0x0
	v_dual_lshrrev_b32 v46, 16, v16 :: v_dual_lshrrev_b32 v47, 16, v17
	v_dual_lshrrev_b32 v48, 16, v18 :: v_dual_lshrrev_b32 v49, 16, v19
	v_and_b32_e32 v16, 0xffff, v16
	v_and_b32_e32 v17, 0xffff, v17
	;; [unrolled: 1-line block ×4, first 2 shown]
	v_mul_u32_u24_e32 v46, 0x10001, v46
	v_mul_u32_u24_e32 v16, 0x10001, v16
	;; [unrolled: 1-line block ×6, first 2 shown]
	v_pk_fma_f16 v35, v20, v16, v35
	v_pk_fma_f16 v36, v20, v17, v36
	;; [unrolled: 1-line block ×4, first 2 shown]
	ds_load_b128 v[16:19], v139 offset:592
	v_mul_u32_u24_e32 v48, 0x10001, v48
	v_mul_u32_u24_e32 v49, 0x10001, v49
	v_pk_fma_f16 v26, v20, v46, v26
	v_pk_fma_f16 v27, v20, v47, v27
	s_delay_alu instid0(VALU_DEP_4) | instskip(NEXT) | instid1(VALU_DEP_4)
	v_pk_fma_f16 v28, v20, v48, v28
	v_pk_fma_f16 v20, v20, v49, v37
	s_wait_dscnt 0x0
	v_dual_lshrrev_b32 v37, 16, v16 :: v_dual_lshrrev_b32 v38, 16, v17
	v_and_b32_e32 v16, 0xffff, v16
	v_dual_lshrrev_b32 v39, 16, v18 :: v_dual_lshrrev_b32 v40, 16, v19
	s_delay_alu instid0(VALU_DEP_3) | instskip(NEXT) | instid1(VALU_DEP_4)
	v_mul_u32_u24_e32 v37, 0x10001, v37
	v_mul_u32_u24_e32 v38, 0x10001, v38
	s_delay_alu instid0(VALU_DEP_4)
	v_mul_u32_u24_e32 v41, 0x10001, v16
	v_and_b32_e32 v16, 0xffff, v17
	v_mul_u32_u24_e32 v39, 0x10001, v39
	v_mul_u32_u24_e32 v40, 0x10001, v40
	v_pk_fma_f16 v24, v21, v37, v24
	v_pk_fma_f16 v32, v21, v41, v32
	v_mul_u32_u24_e32 v42, 0x10001, v16
	v_and_b32_e32 v16, 0xffff, v18
	v_pk_fma_f16 v29, v21, v38, v29
	v_pk_fma_f16 v31, v21, v39, v31
	;; [unrolled: 1-line block ×4, first 2 shown]
	v_mul_u32_u24_e32 v43, 0x10001, v16
	v_and_b32_e32 v16, 0xffff, v19
	s_delay_alu instid0(VALU_DEP_2) | instskip(NEXT) | instid1(VALU_DEP_2)
	v_pk_fma_f16 v30, v21, v43, v30
	v_mul_u32_u24_e32 v44, 0x10001, v16
	ds_load_b128 v[16:19], v139 offset:1616
	v_pk_fma_f16 v33, v21, v44, v33
	s_wait_dscnt 0x0
	v_dual_lshrrev_b32 v45, 16, v16 :: v_dual_lshrrev_b32 v46, 16, v17
	v_dual_lshrrev_b32 v47, 16, v18 :: v_dual_lshrrev_b32 v48, 16, v19
	v_and_b32_e32 v16, 0xffff, v16
	v_and_b32_e32 v17, 0xffff, v17
	;; [unrolled: 1-line block ×4, first 2 shown]
	v_mul_u32_u24_e32 v45, 0x10001, v45
	v_mul_u32_u24_e32 v16, 0x10001, v16
	;; [unrolled: 1-line block ×8, first 2 shown]
	v_pk_fma_f16 v35, v21, v16, v35
	v_pk_fma_f16 v26, v21, v45, v26
	;; [unrolled: 1-line block ×8, first 2 shown]
	ds_load_2addr_b32 v[20:21], v144 offset0:192 offset1:224
	ds_load_b128 v[16:19], v139 offset:608
	s_wait_dscnt 0x0
	v_dual_lshrrev_b32 v38, 16, v16 :: v_dual_lshrrev_b32 v39, 16, v17
	v_and_b32_e32 v16, 0xffff, v16
	v_dual_lshrrev_b32 v40, 16, v18 :: v_dual_lshrrev_b32 v41, 16, v19
	s_delay_alu instid0(VALU_DEP_3) | instskip(NEXT) | instid1(VALU_DEP_4)
	v_mul_u32_u24_e32 v38, 0x10001, v38
	v_mul_u32_u24_e32 v39, 0x10001, v39
	s_delay_alu instid0(VALU_DEP_4)
	v_mul_u32_u24_e32 v42, 0x10001, v16
	v_and_b32_e32 v16, 0xffff, v17
	v_mul_u32_u24_e32 v40, 0x10001, v40
	v_mul_u32_u24_e32 v41, 0x10001, v41
	v_pk_fma_f16 v24, v20, v38, v24
	v_pk_fma_f16 v32, v20, v42, v32
	v_mul_u32_u24_e32 v43, 0x10001, v16
	v_and_b32_e32 v16, 0xffff, v18
	v_pk_fma_f16 v29, v20, v39, v29
	v_pk_fma_f16 v31, v20, v40, v31
	;; [unrolled: 1-line block ×4, first 2 shown]
	v_mul_u32_u24_e32 v44, 0x10001, v16
	v_and_b32_e32 v16, 0xffff, v19
	s_delay_alu instid0(VALU_DEP_2) | instskip(NEXT) | instid1(VALU_DEP_2)
	v_pk_fma_f16 v30, v20, v44, v30
	v_mul_u32_u24_e32 v45, 0x10001, v16
	ds_load_b128 v[16:19], v139 offset:1632
	v_pk_fma_f16 v33, v20, v45, v33
	s_wait_dscnt 0x0
	v_dual_lshrrev_b32 v46, 16, v16 :: v_dual_lshrrev_b32 v47, 16, v17
	v_dual_lshrrev_b32 v48, 16, v18 :: v_dual_lshrrev_b32 v49, 16, v19
	v_and_b32_e32 v16, 0xffff, v16
	v_and_b32_e32 v17, 0xffff, v17
	v_and_b32_e32 v18, 0xffff, v18
	v_and_b32_e32 v19, 0xffff, v19
	v_mul_u32_u24_e32 v46, 0x10001, v46
	v_mul_u32_u24_e32 v16, 0x10001, v16
	;; [unrolled: 1-line block ×6, first 2 shown]
	v_pk_fma_f16 v35, v20, v16, v35
	v_pk_fma_f16 v36, v20, v17, v36
	;; [unrolled: 1-line block ×4, first 2 shown]
	ds_load_b128 v[16:19], v139 offset:624
	v_mul_u32_u24_e32 v48, 0x10001, v48
	v_mul_u32_u24_e32 v49, 0x10001, v49
	v_pk_fma_f16 v26, v20, v46, v26
	v_pk_fma_f16 v27, v20, v47, v27
	s_delay_alu instid0(VALU_DEP_4) | instskip(NEXT) | instid1(VALU_DEP_4)
	v_pk_fma_f16 v28, v20, v48, v28
	v_pk_fma_f16 v20, v20, v49, v37
	s_wait_dscnt 0x0
	v_dual_lshrrev_b32 v37, 16, v16 :: v_dual_lshrrev_b32 v38, 16, v17
	v_and_b32_e32 v16, 0xffff, v16
	v_dual_lshrrev_b32 v39, 16, v18 :: v_dual_lshrrev_b32 v40, 16, v19
	s_delay_alu instid0(VALU_DEP_3) | instskip(NEXT) | instid1(VALU_DEP_4)
	v_mul_u32_u24_e32 v37, 0x10001, v37
	v_mul_u32_u24_e32 v38, 0x10001, v38
	s_delay_alu instid0(VALU_DEP_4)
	v_mul_u32_u24_e32 v41, 0x10001, v16
	v_and_b32_e32 v16, 0xffff, v17
	v_mul_u32_u24_e32 v39, 0x10001, v39
	v_mul_u32_u24_e32 v40, 0x10001, v40
	v_pk_fma_f16 v24, v21, v37, v24
	v_pk_fma_f16 v32, v21, v41, v32
	v_mul_u32_u24_e32 v42, 0x10001, v16
	v_and_b32_e32 v16, 0xffff, v18
	v_pk_fma_f16 v29, v21, v38, v29
	v_pk_fma_f16 v31, v21, v39, v31
	;; [unrolled: 1-line block ×4, first 2 shown]
	v_mul_u32_u24_e32 v43, 0x10001, v16
	v_and_b32_e32 v16, 0xffff, v19
	s_delay_alu instid0(VALU_DEP_2) | instskip(NEXT) | instid1(VALU_DEP_2)
	v_pk_fma_f16 v30, v21, v43, v30
	v_mul_u32_u24_e32 v44, 0x10001, v16
	ds_load_b128 v[16:19], v139 offset:1648
	v_pk_fma_f16 v33, v21, v44, v33
	s_wait_dscnt 0x0
	v_dual_lshrrev_b32 v45, 16, v16 :: v_dual_lshrrev_b32 v46, 16, v17
	v_dual_lshrrev_b32 v47, 16, v18 :: v_dual_lshrrev_b32 v48, 16, v19
	v_and_b32_e32 v16, 0xffff, v16
	v_and_b32_e32 v17, 0xffff, v17
	;; [unrolled: 1-line block ×4, first 2 shown]
	v_mul_u32_u24_e32 v45, 0x10001, v45
	v_mul_u32_u24_e32 v16, 0x10001, v16
	;; [unrolled: 1-line block ×8, first 2 shown]
	v_pk_fma_f16 v35, v21, v16, v35
	v_pk_fma_f16 v26, v21, v45, v26
	;; [unrolled: 1-line block ×8, first 2 shown]
	ds_load_2addr_b32 v[20:21], v145 offset1:32
	ds_load_b128 v[16:19], v139 offset:640
	s_wait_dscnt 0x0
	v_dual_lshrrev_b32 v38, 16, v16 :: v_dual_lshrrev_b32 v39, 16, v17
	v_and_b32_e32 v16, 0xffff, v16
	v_dual_lshrrev_b32 v40, 16, v18 :: v_dual_lshrrev_b32 v41, 16, v19
	s_delay_alu instid0(VALU_DEP_3) | instskip(NEXT) | instid1(VALU_DEP_4)
	v_mul_u32_u24_e32 v38, 0x10001, v38
	v_mul_u32_u24_e32 v39, 0x10001, v39
	s_delay_alu instid0(VALU_DEP_4)
	v_mul_u32_u24_e32 v42, 0x10001, v16
	v_and_b32_e32 v16, 0xffff, v17
	v_mul_u32_u24_e32 v40, 0x10001, v40
	v_mul_u32_u24_e32 v41, 0x10001, v41
	v_pk_fma_f16 v24, v20, v38, v24
	v_pk_fma_f16 v32, v20, v42, v32
	v_mul_u32_u24_e32 v43, 0x10001, v16
	v_and_b32_e32 v16, 0xffff, v18
	v_pk_fma_f16 v29, v20, v39, v29
	v_pk_fma_f16 v31, v20, v40, v31
	v_pk_fma_f16 v34, v20, v41, v34
	v_pk_fma_f16 v25, v20, v43, v25
	v_mul_u32_u24_e32 v44, 0x10001, v16
	v_and_b32_e32 v16, 0xffff, v19
	s_delay_alu instid0(VALU_DEP_2) | instskip(NEXT) | instid1(VALU_DEP_2)
	v_pk_fma_f16 v30, v20, v44, v30
	v_mul_u32_u24_e32 v45, 0x10001, v16
	ds_load_b128 v[16:19], v139 offset:1664
	v_pk_fma_f16 v33, v20, v45, v33
	s_wait_dscnt 0x0
	v_dual_lshrrev_b32 v46, 16, v16 :: v_dual_lshrrev_b32 v47, 16, v17
	v_dual_lshrrev_b32 v48, 16, v18 :: v_dual_lshrrev_b32 v49, 16, v19
	v_and_b32_e32 v16, 0xffff, v16
	v_and_b32_e32 v17, 0xffff, v17
	;; [unrolled: 1-line block ×4, first 2 shown]
	v_mul_u32_u24_e32 v46, 0x10001, v46
	v_mul_u32_u24_e32 v16, 0x10001, v16
	;; [unrolled: 1-line block ×6, first 2 shown]
	v_pk_fma_f16 v35, v20, v16, v35
	v_pk_fma_f16 v36, v20, v17, v36
	;; [unrolled: 1-line block ×4, first 2 shown]
	ds_load_b128 v[16:19], v139 offset:656
	v_mul_u32_u24_e32 v48, 0x10001, v48
	v_mul_u32_u24_e32 v49, 0x10001, v49
	v_pk_fma_f16 v26, v20, v46, v26
	v_pk_fma_f16 v27, v20, v47, v27
	s_delay_alu instid0(VALU_DEP_4) | instskip(NEXT) | instid1(VALU_DEP_4)
	v_pk_fma_f16 v28, v20, v48, v28
	v_pk_fma_f16 v20, v20, v49, v37
	s_wait_dscnt 0x0
	v_dual_lshrrev_b32 v37, 16, v16 :: v_dual_lshrrev_b32 v38, 16, v17
	v_and_b32_e32 v16, 0xffff, v16
	v_dual_lshrrev_b32 v39, 16, v18 :: v_dual_lshrrev_b32 v40, 16, v19
	s_delay_alu instid0(VALU_DEP_3) | instskip(NEXT) | instid1(VALU_DEP_4)
	v_mul_u32_u24_e32 v37, 0x10001, v37
	v_mul_u32_u24_e32 v38, 0x10001, v38
	s_delay_alu instid0(VALU_DEP_4)
	v_mul_u32_u24_e32 v41, 0x10001, v16
	v_and_b32_e32 v16, 0xffff, v17
	v_mul_u32_u24_e32 v39, 0x10001, v39
	v_mul_u32_u24_e32 v40, 0x10001, v40
	v_pk_fma_f16 v24, v21, v37, v24
	v_pk_fma_f16 v32, v21, v41, v32
	v_mul_u32_u24_e32 v42, 0x10001, v16
	v_and_b32_e32 v16, 0xffff, v18
	v_pk_fma_f16 v29, v21, v38, v29
	v_pk_fma_f16 v31, v21, v39, v31
	;; [unrolled: 1-line block ×4, first 2 shown]
	v_mul_u32_u24_e32 v43, 0x10001, v16
	v_and_b32_e32 v16, 0xffff, v19
	s_delay_alu instid0(VALU_DEP_2) | instskip(NEXT) | instid1(VALU_DEP_2)
	v_pk_fma_f16 v30, v21, v43, v30
	v_mul_u32_u24_e32 v44, 0x10001, v16
	ds_load_b128 v[16:19], v139 offset:1680
	v_pk_fma_f16 v33, v21, v44, v33
	s_wait_dscnt 0x0
	v_dual_lshrrev_b32 v45, 16, v16 :: v_dual_lshrrev_b32 v46, 16, v17
	v_dual_lshrrev_b32 v47, 16, v18 :: v_dual_lshrrev_b32 v48, 16, v19
	v_and_b32_e32 v16, 0xffff, v16
	v_and_b32_e32 v17, 0xffff, v17
	;; [unrolled: 1-line block ×4, first 2 shown]
	v_mul_u32_u24_e32 v45, 0x10001, v45
	v_mul_u32_u24_e32 v16, 0x10001, v16
	v_mul_u32_u24_e32 v17, 0x10001, v17
	v_mul_u32_u24_e32 v46, 0x10001, v46
	v_mul_u32_u24_e32 v18, 0x10001, v18
	v_mul_u32_u24_e32 v47, 0x10001, v47
	v_mul_u32_u24_e32 v19, 0x10001, v19
	v_mul_u32_u24_e32 v48, 0x10001, v48
	v_pk_fma_f16 v35, v21, v16, v35
	v_pk_fma_f16 v26, v21, v45, v26
	;; [unrolled: 1-line block ×8, first 2 shown]
	ds_load_2addr_b32 v[20:21], v145 offset0:64 offset1:96
	ds_load_b128 v[16:19], v139 offset:672
	s_wait_dscnt 0x0
	v_dual_lshrrev_b32 v38, 16, v16 :: v_dual_lshrrev_b32 v39, 16, v17
	v_and_b32_e32 v16, 0xffff, v16
	v_dual_lshrrev_b32 v40, 16, v18 :: v_dual_lshrrev_b32 v41, 16, v19
	s_delay_alu instid0(VALU_DEP_3) | instskip(NEXT) | instid1(VALU_DEP_4)
	v_mul_u32_u24_e32 v38, 0x10001, v38
	v_mul_u32_u24_e32 v39, 0x10001, v39
	s_delay_alu instid0(VALU_DEP_4)
	v_mul_u32_u24_e32 v42, 0x10001, v16
	v_and_b32_e32 v16, 0xffff, v17
	v_mul_u32_u24_e32 v40, 0x10001, v40
	v_mul_u32_u24_e32 v41, 0x10001, v41
	v_pk_fma_f16 v24, v20, v38, v24
	v_pk_fma_f16 v32, v20, v42, v32
	v_mul_u32_u24_e32 v43, 0x10001, v16
	v_and_b32_e32 v16, 0xffff, v18
	v_pk_fma_f16 v29, v20, v39, v29
	v_pk_fma_f16 v31, v20, v40, v31
	;; [unrolled: 1-line block ×4, first 2 shown]
	v_mul_u32_u24_e32 v44, 0x10001, v16
	v_and_b32_e32 v16, 0xffff, v19
	s_delay_alu instid0(VALU_DEP_2) | instskip(NEXT) | instid1(VALU_DEP_2)
	v_pk_fma_f16 v30, v20, v44, v30
	v_mul_u32_u24_e32 v45, 0x10001, v16
	ds_load_b128 v[16:19], v139 offset:1696
	v_pk_fma_f16 v33, v20, v45, v33
	s_wait_dscnt 0x0
	v_dual_lshrrev_b32 v46, 16, v16 :: v_dual_lshrrev_b32 v47, 16, v17
	v_dual_lshrrev_b32 v48, 16, v18 :: v_dual_lshrrev_b32 v49, 16, v19
	v_and_b32_e32 v16, 0xffff, v16
	v_and_b32_e32 v17, 0xffff, v17
	v_and_b32_e32 v18, 0xffff, v18
	v_and_b32_e32 v19, 0xffff, v19
	v_mul_u32_u24_e32 v46, 0x10001, v46
	v_mul_u32_u24_e32 v16, 0x10001, v16
	;; [unrolled: 1-line block ×6, first 2 shown]
	v_pk_fma_f16 v35, v20, v16, v35
	v_pk_fma_f16 v36, v20, v17, v36
	;; [unrolled: 1-line block ×4, first 2 shown]
	ds_load_b128 v[16:19], v139 offset:688
	v_mul_u32_u24_e32 v48, 0x10001, v48
	v_mul_u32_u24_e32 v49, 0x10001, v49
	v_pk_fma_f16 v26, v20, v46, v26
	v_pk_fma_f16 v27, v20, v47, v27
	s_delay_alu instid0(VALU_DEP_4) | instskip(NEXT) | instid1(VALU_DEP_4)
	v_pk_fma_f16 v28, v20, v48, v28
	v_pk_fma_f16 v20, v20, v49, v37
	s_wait_dscnt 0x0
	v_dual_lshrrev_b32 v37, 16, v16 :: v_dual_lshrrev_b32 v38, 16, v17
	v_and_b32_e32 v16, 0xffff, v16
	v_dual_lshrrev_b32 v39, 16, v18 :: v_dual_lshrrev_b32 v40, 16, v19
	s_delay_alu instid0(VALU_DEP_3) | instskip(NEXT) | instid1(VALU_DEP_4)
	v_mul_u32_u24_e32 v37, 0x10001, v37
	v_mul_u32_u24_e32 v38, 0x10001, v38
	s_delay_alu instid0(VALU_DEP_4)
	v_mul_u32_u24_e32 v41, 0x10001, v16
	v_and_b32_e32 v16, 0xffff, v17
	v_mul_u32_u24_e32 v39, 0x10001, v39
	v_mul_u32_u24_e32 v40, 0x10001, v40
	v_pk_fma_f16 v24, v21, v37, v24
	v_pk_fma_f16 v32, v21, v41, v32
	v_mul_u32_u24_e32 v42, 0x10001, v16
	v_and_b32_e32 v16, 0xffff, v18
	v_pk_fma_f16 v29, v21, v38, v29
	v_pk_fma_f16 v31, v21, v39, v31
	;; [unrolled: 1-line block ×4, first 2 shown]
	v_mul_u32_u24_e32 v43, 0x10001, v16
	v_and_b32_e32 v16, 0xffff, v19
	s_delay_alu instid0(VALU_DEP_2) | instskip(NEXT) | instid1(VALU_DEP_2)
	v_pk_fma_f16 v30, v21, v43, v30
	v_mul_u32_u24_e32 v44, 0x10001, v16
	ds_load_b128 v[16:19], v139 offset:1712
	v_pk_fma_f16 v33, v21, v44, v33
	s_wait_dscnt 0x0
	v_dual_lshrrev_b32 v45, 16, v16 :: v_dual_lshrrev_b32 v46, 16, v17
	v_dual_lshrrev_b32 v47, 16, v18 :: v_dual_lshrrev_b32 v48, 16, v19
	v_and_b32_e32 v16, 0xffff, v16
	v_and_b32_e32 v17, 0xffff, v17
	;; [unrolled: 1-line block ×4, first 2 shown]
	v_mul_u32_u24_e32 v45, 0x10001, v45
	v_mul_u32_u24_e32 v16, 0x10001, v16
	;; [unrolled: 1-line block ×8, first 2 shown]
	v_pk_fma_f16 v35, v21, v16, v35
	v_pk_fma_f16 v26, v21, v45, v26
	;; [unrolled: 1-line block ×8, first 2 shown]
	ds_load_2addr_b32 v[20:21], v145 offset0:128 offset1:160
	ds_load_b128 v[16:19], v139 offset:704
	s_wait_dscnt 0x0
	v_dual_lshrrev_b32 v38, 16, v16 :: v_dual_lshrrev_b32 v39, 16, v17
	v_and_b32_e32 v16, 0xffff, v16
	v_dual_lshrrev_b32 v40, 16, v18 :: v_dual_lshrrev_b32 v41, 16, v19
	s_delay_alu instid0(VALU_DEP_3) | instskip(NEXT) | instid1(VALU_DEP_4)
	v_mul_u32_u24_e32 v38, 0x10001, v38
	v_mul_u32_u24_e32 v39, 0x10001, v39
	s_delay_alu instid0(VALU_DEP_4)
	v_mul_u32_u24_e32 v42, 0x10001, v16
	v_and_b32_e32 v16, 0xffff, v17
	v_mul_u32_u24_e32 v40, 0x10001, v40
	v_mul_u32_u24_e32 v41, 0x10001, v41
	v_pk_fma_f16 v24, v20, v38, v24
	v_pk_fma_f16 v32, v20, v42, v32
	v_mul_u32_u24_e32 v43, 0x10001, v16
	v_and_b32_e32 v16, 0xffff, v18
	v_pk_fma_f16 v29, v20, v39, v29
	v_pk_fma_f16 v31, v20, v40, v31
	;; [unrolled: 1-line block ×4, first 2 shown]
	v_mul_u32_u24_e32 v44, 0x10001, v16
	v_and_b32_e32 v16, 0xffff, v19
	s_delay_alu instid0(VALU_DEP_2) | instskip(NEXT) | instid1(VALU_DEP_2)
	v_pk_fma_f16 v30, v20, v44, v30
	v_mul_u32_u24_e32 v45, 0x10001, v16
	ds_load_b128 v[16:19], v139 offset:1728
	v_pk_fma_f16 v33, v20, v45, v33
	s_wait_dscnt 0x0
	v_dual_lshrrev_b32 v46, 16, v16 :: v_dual_lshrrev_b32 v47, 16, v17
	v_dual_lshrrev_b32 v48, 16, v18 :: v_dual_lshrrev_b32 v49, 16, v19
	v_and_b32_e32 v16, 0xffff, v16
	v_and_b32_e32 v17, 0xffff, v17
	;; [unrolled: 1-line block ×4, first 2 shown]
	v_mul_u32_u24_e32 v46, 0x10001, v46
	v_mul_u32_u24_e32 v16, 0x10001, v16
	;; [unrolled: 1-line block ×6, first 2 shown]
	v_pk_fma_f16 v35, v20, v16, v35
	v_pk_fma_f16 v36, v20, v17, v36
	;; [unrolled: 1-line block ×4, first 2 shown]
	ds_load_b128 v[16:19], v139 offset:720
	v_mul_u32_u24_e32 v48, 0x10001, v48
	v_mul_u32_u24_e32 v49, 0x10001, v49
	v_pk_fma_f16 v26, v20, v46, v26
	v_pk_fma_f16 v27, v20, v47, v27
	s_delay_alu instid0(VALU_DEP_4) | instskip(NEXT) | instid1(VALU_DEP_4)
	v_pk_fma_f16 v28, v20, v48, v28
	v_pk_fma_f16 v20, v20, v49, v37
	s_wait_dscnt 0x0
	v_dual_lshrrev_b32 v37, 16, v16 :: v_dual_lshrrev_b32 v38, 16, v17
	v_and_b32_e32 v16, 0xffff, v16
	v_dual_lshrrev_b32 v39, 16, v18 :: v_dual_lshrrev_b32 v40, 16, v19
	s_delay_alu instid0(VALU_DEP_3) | instskip(NEXT) | instid1(VALU_DEP_4)
	v_mul_u32_u24_e32 v37, 0x10001, v37
	v_mul_u32_u24_e32 v38, 0x10001, v38
	s_delay_alu instid0(VALU_DEP_4)
	v_mul_u32_u24_e32 v41, 0x10001, v16
	v_and_b32_e32 v16, 0xffff, v17
	v_mul_u32_u24_e32 v39, 0x10001, v39
	v_mul_u32_u24_e32 v40, 0x10001, v40
	v_pk_fma_f16 v24, v21, v37, v24
	v_pk_fma_f16 v32, v21, v41, v32
	v_mul_u32_u24_e32 v42, 0x10001, v16
	v_and_b32_e32 v16, 0xffff, v18
	v_pk_fma_f16 v29, v21, v38, v29
	v_pk_fma_f16 v31, v21, v39, v31
	;; [unrolled: 1-line block ×4, first 2 shown]
	v_mul_u32_u24_e32 v43, 0x10001, v16
	v_and_b32_e32 v16, 0xffff, v19
	s_delay_alu instid0(VALU_DEP_2) | instskip(NEXT) | instid1(VALU_DEP_2)
	v_pk_fma_f16 v30, v21, v43, v30
	v_mul_u32_u24_e32 v44, 0x10001, v16
	ds_load_b128 v[16:19], v139 offset:1744
	v_pk_fma_f16 v33, v21, v44, v33
	s_wait_dscnt 0x0
	v_dual_lshrrev_b32 v45, 16, v16 :: v_dual_lshrrev_b32 v46, 16, v17
	v_dual_lshrrev_b32 v47, 16, v18 :: v_dual_lshrrev_b32 v48, 16, v19
	v_and_b32_e32 v16, 0xffff, v16
	v_and_b32_e32 v17, 0xffff, v17
	;; [unrolled: 1-line block ×4, first 2 shown]
	v_mul_u32_u24_e32 v45, 0x10001, v45
	v_mul_u32_u24_e32 v16, 0x10001, v16
	v_mul_u32_u24_e32 v17, 0x10001, v17
	v_mul_u32_u24_e32 v46, 0x10001, v46
	v_mul_u32_u24_e32 v18, 0x10001, v18
	v_mul_u32_u24_e32 v47, 0x10001, v47
	v_mul_u32_u24_e32 v19, 0x10001, v19
	v_mul_u32_u24_e32 v48, 0x10001, v48
	v_pk_fma_f16 v35, v21, v16, v35
	v_pk_fma_f16 v26, v21, v45, v26
	;; [unrolled: 1-line block ×8, first 2 shown]
	ds_load_2addr_b32 v[20:21], v145 offset0:192 offset1:224
	ds_load_b128 v[16:19], v139 offset:736
	s_wait_dscnt 0x0
	v_dual_lshrrev_b32 v38, 16, v16 :: v_dual_lshrrev_b32 v39, 16, v17
	v_and_b32_e32 v16, 0xffff, v16
	v_dual_lshrrev_b32 v40, 16, v18 :: v_dual_lshrrev_b32 v41, 16, v19
	s_delay_alu instid0(VALU_DEP_3) | instskip(NEXT) | instid1(VALU_DEP_4)
	v_mul_u32_u24_e32 v38, 0x10001, v38
	v_mul_u32_u24_e32 v39, 0x10001, v39
	s_delay_alu instid0(VALU_DEP_4)
	v_mul_u32_u24_e32 v42, 0x10001, v16
	v_and_b32_e32 v16, 0xffff, v17
	v_mul_u32_u24_e32 v40, 0x10001, v40
	v_mul_u32_u24_e32 v41, 0x10001, v41
	v_pk_fma_f16 v24, v20, v38, v24
	v_pk_fma_f16 v32, v20, v42, v32
	v_mul_u32_u24_e32 v43, 0x10001, v16
	v_and_b32_e32 v16, 0xffff, v18
	v_pk_fma_f16 v29, v20, v39, v29
	v_pk_fma_f16 v31, v20, v40, v31
	;; [unrolled: 1-line block ×4, first 2 shown]
	v_mul_u32_u24_e32 v44, 0x10001, v16
	v_and_b32_e32 v16, 0xffff, v19
	s_delay_alu instid0(VALU_DEP_2) | instskip(NEXT) | instid1(VALU_DEP_2)
	v_pk_fma_f16 v30, v20, v44, v30
	v_mul_u32_u24_e32 v45, 0x10001, v16
	ds_load_b128 v[16:19], v139 offset:1760
	v_pk_fma_f16 v33, v20, v45, v33
	s_wait_dscnt 0x0
	v_dual_lshrrev_b32 v46, 16, v16 :: v_dual_lshrrev_b32 v47, 16, v17
	v_dual_lshrrev_b32 v48, 16, v18 :: v_dual_lshrrev_b32 v49, 16, v19
	v_and_b32_e32 v16, 0xffff, v16
	v_and_b32_e32 v17, 0xffff, v17
	;; [unrolled: 1-line block ×4, first 2 shown]
	v_mul_u32_u24_e32 v46, 0x10001, v46
	v_mul_u32_u24_e32 v16, 0x10001, v16
	;; [unrolled: 1-line block ×6, first 2 shown]
	v_pk_fma_f16 v35, v20, v16, v35
	v_pk_fma_f16 v36, v20, v17, v36
	;; [unrolled: 1-line block ×4, first 2 shown]
	ds_load_b128 v[16:19], v139 offset:752
	v_mul_u32_u24_e32 v48, 0x10001, v48
	v_mul_u32_u24_e32 v49, 0x10001, v49
	v_pk_fma_f16 v26, v20, v46, v26
	v_pk_fma_f16 v27, v20, v47, v27
	s_delay_alu instid0(VALU_DEP_4) | instskip(NEXT) | instid1(VALU_DEP_4)
	v_pk_fma_f16 v28, v20, v48, v28
	v_pk_fma_f16 v20, v20, v49, v37
	s_wait_dscnt 0x0
	v_dual_lshrrev_b32 v37, 16, v16 :: v_dual_lshrrev_b32 v38, 16, v17
	v_and_b32_e32 v16, 0xffff, v16
	v_dual_lshrrev_b32 v39, 16, v18 :: v_dual_lshrrev_b32 v40, 16, v19
	s_delay_alu instid0(VALU_DEP_3) | instskip(NEXT) | instid1(VALU_DEP_4)
	v_mul_u32_u24_e32 v37, 0x10001, v37
	v_mul_u32_u24_e32 v38, 0x10001, v38
	s_delay_alu instid0(VALU_DEP_4)
	v_mul_u32_u24_e32 v41, 0x10001, v16
	v_and_b32_e32 v16, 0xffff, v17
	v_mul_u32_u24_e32 v39, 0x10001, v39
	v_mul_u32_u24_e32 v40, 0x10001, v40
	v_pk_fma_f16 v24, v21, v37, v24
	v_pk_fma_f16 v32, v21, v41, v32
	v_mul_u32_u24_e32 v42, 0x10001, v16
	v_and_b32_e32 v16, 0xffff, v18
	v_pk_fma_f16 v29, v21, v38, v29
	v_pk_fma_f16 v31, v21, v39, v31
	;; [unrolled: 1-line block ×4, first 2 shown]
	v_mul_u32_u24_e32 v43, 0x10001, v16
	v_and_b32_e32 v16, 0xffff, v19
	s_delay_alu instid0(VALU_DEP_2) | instskip(NEXT) | instid1(VALU_DEP_2)
	v_pk_fma_f16 v30, v21, v43, v30
	v_mul_u32_u24_e32 v44, 0x10001, v16
	ds_load_b128 v[16:19], v139 offset:1776
	v_pk_fma_f16 v33, v21, v44, v33
	s_wait_dscnt 0x0
	v_dual_lshrrev_b32 v45, 16, v16 :: v_dual_lshrrev_b32 v46, 16, v17
	v_dual_lshrrev_b32 v47, 16, v18 :: v_dual_lshrrev_b32 v48, 16, v19
	v_and_b32_e32 v16, 0xffff, v16
	v_and_b32_e32 v17, 0xffff, v17
	;; [unrolled: 1-line block ×4, first 2 shown]
	v_mul_u32_u24_e32 v45, 0x10001, v45
	v_mul_u32_u24_e32 v16, 0x10001, v16
	v_mul_u32_u24_e32 v17, 0x10001, v17
	v_mul_u32_u24_e32 v46, 0x10001, v46
	v_mul_u32_u24_e32 v18, 0x10001, v18
	v_mul_u32_u24_e32 v47, 0x10001, v47
	v_mul_u32_u24_e32 v19, 0x10001, v19
	v_mul_u32_u24_e32 v48, 0x10001, v48
	v_pk_fma_f16 v35, v21, v16, v35
	v_pk_fma_f16 v37, v21, v45, v26
	;; [unrolled: 1-line block ×8, first 2 shown]
	ds_load_2addr_b32 v[20:21], v146 offset1:32
	ds_load_b128 v[16:19], v139 offset:768
	s_wait_dscnt 0x0
	v_dual_lshrrev_b32 v22, 16, v16 :: v_dual_lshrrev_b32 v23, 16, v17
	v_and_b32_e32 v16, 0xffff, v16
	v_dual_lshrrev_b32 v26, 16, v18 :: v_dual_lshrrev_b32 v27, 16, v19
	s_delay_alu instid0(VALU_DEP_3) | instskip(NEXT) | instid1(VALU_DEP_4)
	v_mul_u32_u24_e32 v43, 0x10001, v22
	v_mul_u32_u24_e32 v45, 0x10001, v23
	s_delay_alu instid0(VALU_DEP_4) | instskip(SKIP_3) | instid1(VALU_DEP_3)
	v_mul_u32_u24_e32 v28, 0x10001, v16
	v_and_b32_e32 v16, 0xffff, v17
	v_mul_u32_u24_e32 v47, 0x10001, v26
	v_mul_u32_u24_e32 v49, 0x10001, v27
	v_mul_u32_u24_e32 v44, 0x10001, v16
	v_and_b32_e32 v16, 0xffff, v18
	s_delay_alu instid0(VALU_DEP_1) | instskip(SKIP_1) | instid1(VALU_DEP_1)
	v_mul_u32_u24_e32 v46, 0x10001, v16
	v_and_b32_e32 v16, 0xffff, v19
	v_mul_u32_u24_e32 v48, 0x10001, v16
	ds_load_b128 v[16:19], v139 offset:1792
	s_wait_dscnt 0x0
	v_dual_lshrrev_b32 v22, 16, v16 :: v_dual_lshrrev_b32 v23, 16, v17
	v_dual_lshrrev_b32 v26, 16, v18 :: v_dual_lshrrev_b32 v27, 16, v19
	v_and_b32_e32 v16, 0xffff, v16
	v_and_b32_e32 v17, 0xffff, v17
	v_and_b32_e32 v18, 0xffff, v18
	v_and_b32_e32 v19, 0xffff, v19
	v_mul_u32_u24_e32 v50, 0x10001, v22
	v_mul_u32_u24_e32 v16, 0x10001, v16
	;; [unrolled: 1-line block ×7, first 2 shown]
	v_pk_fma_f16 v22, v20, v28, v32
	v_pk_fma_f16 v23, v20, v43, v24
	;; [unrolled: 1-line block ×10, first 2 shown]
	ds_load_b128 v[16:19], v139 offset:784
	v_pk_fma_f16 v28, v20, v48, v33
	v_pk_fma_f16 v33, v20, v51, v38
	v_mul_u32_u24_e32 v53, 0x10001, v27
	v_pk_fma_f16 v27, v20, v47, v31
	v_pk_fma_f16 v31, v20, v50, v37
	;; [unrolled: 1-line block ×3, first 2 shown]
	s_delay_alu instid0(VALU_DEP_4) | instskip(SKIP_4) | instid1(VALU_DEP_3)
	v_pk_fma_f16 v20, v20, v53, v42
	s_wait_dscnt 0x0
	v_dual_lshrrev_b32 v38, 16, v16 :: v_dual_lshrrev_b32 v40, 16, v17
	v_and_b32_e32 v16, 0xffff, v16
	v_dual_lshrrev_b32 v42, 16, v18 :: v_dual_lshrrev_b32 v44, 16, v19
	v_mul_u32_u24_e32 v38, 0x10001, v38
	s_delay_alu instid0(VALU_DEP_4) | instskip(NEXT) | instid1(VALU_DEP_4)
	v_mul_u32_u24_e32 v40, 0x10001, v40
	v_mul_u32_u24_e32 v37, 0x10001, v16
	v_and_b32_e32 v16, 0xffff, v17
	v_mul_u32_u24_e32 v42, 0x10001, v42
	v_mul_u32_u24_e32 v44, 0x10001, v44
	v_pk_fma_f16 v23, v21, v38, v23
	v_pk_fma_f16 v22, v21, v37, v22
	v_mul_u32_u24_e32 v39, 0x10001, v16
	v_and_b32_e32 v16, 0xffff, v18
	v_pk_fma_f16 v25, v21, v40, v25
	v_pk_fma_f16 v27, v21, v42, v27
	;; [unrolled: 1-line block ×4, first 2 shown]
	v_mul_u32_u24_e32 v41, 0x10001, v16
	v_and_b32_e32 v16, 0xffff, v19
	s_delay_alu instid0(VALU_DEP_2) | instskip(NEXT) | instid1(VALU_DEP_2)
	v_pk_fma_f16 v26, v21, v41, v26
	v_mul_u32_u24_e32 v43, 0x10001, v16
	ds_load_b128 v[16:19], v139 offset:1808
	v_pk_fma_f16 v28, v21, v43, v28
	s_wait_dscnt 0x0
	v_dual_lshrrev_b32 v45, 16, v16 :: v_dual_lshrrev_b32 v46, 16, v17
	v_dual_lshrrev_b32 v47, 16, v18 :: v_dual_lshrrev_b32 v48, 16, v19
	v_and_b32_e32 v16, 0xffff, v16
	v_and_b32_e32 v17, 0xffff, v17
	;; [unrolled: 1-line block ×4, first 2 shown]
	v_mul_u32_u24_e32 v45, 0x10001, v45
	v_mul_u32_u24_e32 v16, 0x10001, v16
	;; [unrolled: 1-line block ×8, first 2 shown]
	v_pk_fma_f16 v30, v21, v16, v30
	v_pk_fma_f16 v31, v21, v45, v31
	v_pk_fma_f16 v32, v21, v17, v32
	v_pk_fma_f16 v33, v21, v46, v33
	v_pk_fma_f16 v34, v21, v18, v34
	v_pk_fma_f16 v35, v21, v47, v35
	v_pk_fma_f16 v36, v21, v19, v36
	v_pk_fma_f16 v37, v21, v48, v20
	ds_load_2addr_b32 v[16:17], v146 offset0:64 offset1:96
	ds_load_b128 v[18:21], v139 offset:800
	s_wait_dscnt 0x0
	v_dual_lshrrev_b32 v38, 16, v18 :: v_dual_lshrrev_b32 v39, 16, v19
	v_and_b32_e32 v18, 0xffff, v18
	v_dual_lshrrev_b32 v40, 16, v20 :: v_dual_lshrrev_b32 v41, 16, v21
	s_delay_alu instid0(VALU_DEP_3) | instskip(NEXT) | instid1(VALU_DEP_4)
	v_mul_u32_u24_e32 v38, 0x10001, v38
	v_mul_u32_u24_e32 v39, 0x10001, v39
	s_delay_alu instid0(VALU_DEP_4) | instskip(SKIP_3) | instid1(VALU_DEP_3)
	v_mul_u32_u24_e32 v42, 0x10001, v18
	v_and_b32_e32 v18, 0xffff, v19
	v_mul_u32_u24_e32 v40, 0x10001, v40
	v_mul_u32_u24_e32 v41, 0x10001, v41
	;; [unrolled: 1-line block ×3, first 2 shown]
	v_and_b32_e32 v18, 0xffff, v20
	s_delay_alu instid0(VALU_DEP_1) | instskip(SKIP_1) | instid1(VALU_DEP_1)
	v_mul_u32_u24_e32 v44, 0x10001, v18
	v_and_b32_e32 v18, 0xffff, v21
	v_mul_u32_u24_e32 v45, 0x10001, v18
	ds_load_b128 v[18:21], v139 offset:1824
	s_wait_dscnt 0x0
	v_dual_lshrrev_b32 v46, 16, v18 :: v_dual_lshrrev_b32 v47, 16, v19
	v_and_b32_e32 v18, 0xffff, v18
	v_dual_lshrrev_b32 v48, 16, v20 :: v_dual_lshrrev_b32 v49, 16, v21
	s_delay_alu instid0(VALU_DEP_3) | instskip(NEXT) | instid1(VALU_DEP_4)
	v_mul_u32_u24_e32 v46, 0x10001, v46
	v_mul_u32_u24_e32 v47, 0x10001, v47
	s_delay_alu instid0(VALU_DEP_4)
	v_mul_u32_u24_e32 v50, 0x10001, v18
	v_and_b32_e32 v18, 0xffff, v19
	v_mul_u32_u24_e32 v48, 0x10001, v48
	v_mul_u32_u24_e32 v49, 0x10001, v49
	v_pk_fma_f16 v19, v16, v38, v23
	v_pk_fma_f16 v23, v16, v40, v27
	v_mul_u32_u24_e32 v51, 0x10001, v18
	v_and_b32_e32 v18, 0xffff, v20
	v_pk_fma_f16 v20, v16, v43, v24
	v_pk_fma_f16 v24, v16, v45, v28
	;; [unrolled: 1-line block ×4, first 2 shown]
	v_mul_u32_u24_e32 v52, 0x10001, v18
	v_and_b32_e32 v18, 0xffff, v21
	v_pk_fma_f16 v21, v16, v39, v25
	v_pk_fma_f16 v25, v16, v41, v29
	;; [unrolled: 1-line block ×4, first 2 shown]
	v_mul_u32_u24_e32 v53, 0x10001, v18
	v_pk_fma_f16 v18, v16, v42, v22
	v_pk_fma_f16 v22, v16, v44, v26
	;; [unrolled: 1-line block ×6, first 2 shown]
	ds_load_b128 v[34:37], v139 offset:816
	s_wait_dscnt 0x0
	v_dual_lshrrev_b32 v33, 16, v34 :: v_dual_lshrrev_b32 v38, 16, v35
	v_and_b32_e32 v34, 0xffff, v34
	v_dual_lshrrev_b32 v39, 16, v36 :: v_dual_lshrrev_b32 v40, 16, v37
	s_delay_alu instid0(VALU_DEP_3) | instskip(NEXT) | instid1(VALU_DEP_4)
	v_mul_u32_u24_e32 v33, 0x10001, v33
	v_mul_u32_u24_e32 v38, 0x10001, v38
	s_delay_alu instid0(VALU_DEP_4)
	v_mul_u32_u24_e32 v41, 0x10001, v34
	v_and_b32_e32 v34, 0xffff, v35
	v_mul_u32_u24_e32 v39, 0x10001, v39
	v_mul_u32_u24_e32 v40, 0x10001, v40
	v_pk_fma_f16 v33, v17, v33, v19
	v_pk_fma_f16 v41, v17, v41, v18
	v_mul_u32_u24_e32 v42, 0x10001, v34
	v_and_b32_e32 v34, 0xffff, v36
	v_pk_fma_f16 v38, v17, v38, v21
	v_pk_fma_f16 v23, v17, v39, v23
	v_pk_fma_f16 v25, v17, v40, v25
	v_pk_fma_f16 v42, v17, v42, v20
	v_mul_u32_u24_e32 v43, 0x10001, v34
	v_and_b32_e32 v34, 0xffff, v37
	s_delay_alu instid0(VALU_DEP_2) | instskip(NEXT) | instid1(VALU_DEP_2)
	v_pk_fma_f16 v22, v17, v43, v22
	v_mul_u32_u24_e32 v44, 0x10001, v34
	ds_load_b128 v[34:37], v139 offset:1840
	v_pk_fma_f16 v24, v17, v44, v24
	s_wait_dscnt 0x0
	v_dual_lshrrev_b32 v45, 16, v34 :: v_dual_lshrrev_b32 v46, 16, v35
	v_dual_lshrrev_b32 v47, 16, v36 :: v_dual_lshrrev_b32 v48, 16, v37
	v_and_b32_e32 v34, 0xffff, v34
	v_and_b32_e32 v35, 0xffff, v35
	;; [unrolled: 1-line block ×4, first 2 shown]
	v_mul_u32_u24_e32 v45, 0x10001, v45
	v_mul_u32_u24_e32 v34, 0x10001, v34
	;; [unrolled: 1-line block ×8, first 2 shown]
	v_pk_fma_f16 v26, v17, v34, v26
	v_pk_fma_f16 v27, v17, v45, v27
	;; [unrolled: 1-line block ×8, first 2 shown]
	ds_load_2addr_b32 v[16:17], v146 offset0:128 offset1:160
	ds_load_b128 v[18:21], v139 offset:832
	s_wait_dscnt 0x0
	v_dual_lshrrev_b32 v35, 16, v18 :: v_dual_lshrrev_b32 v36, 16, v19
	v_and_b32_e32 v18, 0xffff, v18
	v_dual_lshrrev_b32 v37, 16, v20 :: v_dual_lshrrev_b32 v39, 16, v21
	s_delay_alu instid0(VALU_DEP_3) | instskip(NEXT) | instid1(VALU_DEP_4)
	v_mul_u32_u24_e32 v35, 0x10001, v35
	v_mul_u32_u24_e32 v36, 0x10001, v36
	s_delay_alu instid0(VALU_DEP_4) | instskip(SKIP_3) | instid1(VALU_DEP_3)
	v_mul_u32_u24_e32 v40, 0x10001, v18
	v_and_b32_e32 v18, 0xffff, v19
	v_mul_u32_u24_e32 v37, 0x10001, v37
	v_mul_u32_u24_e32 v39, 0x10001, v39
	;; [unrolled: 1-line block ×3, first 2 shown]
	v_and_b32_e32 v18, 0xffff, v20
	s_delay_alu instid0(VALU_DEP_4) | instskip(NEXT) | instid1(VALU_DEP_4)
	v_pk_fma_f16 v23, v16, v37, v23
	v_pk_fma_f16 v25, v16, v39, v25
	s_delay_alu instid0(VALU_DEP_3) | instskip(SKIP_1) | instid1(VALU_DEP_2)
	v_mul_u32_u24_e32 v44, 0x10001, v18
	v_and_b32_e32 v18, 0xffff, v21
	v_pk_fma_f16 v22, v16, v44, v22
	s_delay_alu instid0(VALU_DEP_2)
	v_mul_u32_u24_e32 v45, 0x10001, v18
	ds_load_b128 v[18:21], v139 offset:1856
	v_pk_fma_f16 v24, v16, v45, v24
	s_wait_dscnt 0x0
	v_dual_lshrrev_b32 v46, 16, v18 :: v_dual_lshrrev_b32 v47, 16, v19
	v_and_b32_e32 v18, 0xffff, v18
	v_dual_lshrrev_b32 v48, 16, v20 :: v_dual_lshrrev_b32 v49, 16, v21
	s_delay_alu instid0(VALU_DEP_3) | instskip(NEXT) | instid1(VALU_DEP_4)
	v_mul_u32_u24_e32 v46, 0x10001, v46
	v_mul_u32_u24_e32 v47, 0x10001, v47
	s_delay_alu instid0(VALU_DEP_4)
	v_mul_u32_u24_e32 v50, 0x10001, v18
	v_and_b32_e32 v18, 0xffff, v19
	v_mul_u32_u24_e32 v48, 0x10001, v48
	v_mul_u32_u24_e32 v49, 0x10001, v49
	v_pk_fma_f16 v19, v16, v35, v33
	v_pk_fma_f16 v26, v16, v50, v26
	v_mul_u32_u24_e32 v51, 0x10001, v18
	v_and_b32_e32 v18, 0xffff, v20
	v_pk_fma_f16 v20, v16, v43, v42
	v_pk_fma_f16 v27, v16, v46, v27
	;; [unrolled: 1-line block ×4, first 2 shown]
	v_mul_u32_u24_e32 v52, 0x10001, v18
	v_and_b32_e32 v18, 0xffff, v21
	v_pk_fma_f16 v21, v16, v36, v38
	v_pk_fma_f16 v31, v16, v48, v31
	s_delay_alu instid0(VALU_DEP_4) | instskip(NEXT) | instid1(VALU_DEP_4)
	v_pk_fma_f16 v30, v16, v52, v30
	v_mul_u32_u24_e32 v53, 0x10001, v18
	v_pk_fma_f16 v18, v16, v40, v41
	s_delay_alu instid0(VALU_DEP_2)
	v_pk_fma_f16 v32, v16, v53, v32
	v_pk_fma_f16 v16, v16, v49, v34
	ds_load_b128 v[34:37], v139 offset:848
	s_wait_dscnt 0x0
	v_dual_lshrrev_b32 v33, 16, v34 :: v_dual_lshrrev_b32 v38, 16, v35
	v_and_b32_e32 v34, 0xffff, v34
	v_dual_lshrrev_b32 v39, 16, v36 :: v_dual_lshrrev_b32 v40, 16, v37
	s_delay_alu instid0(VALU_DEP_3) | instskip(NEXT) | instid1(VALU_DEP_4)
	v_mul_u32_u24_e32 v33, 0x10001, v33
	v_mul_u32_u24_e32 v38, 0x10001, v38
	s_delay_alu instid0(VALU_DEP_4)
	v_mul_u32_u24_e32 v41, 0x10001, v34
	v_and_b32_e32 v34, 0xffff, v35
	v_mul_u32_u24_e32 v39, 0x10001, v39
	v_mul_u32_u24_e32 v40, 0x10001, v40
	v_pk_fma_f16 v33, v17, v33, v19
	v_pk_fma_f16 v41, v17, v41, v18
	v_mul_u32_u24_e32 v42, 0x10001, v34
	v_and_b32_e32 v34, 0xffff, v36
	v_pk_fma_f16 v38, v17, v38, v21
	v_pk_fma_f16 v23, v17, v39, v23
	;; [unrolled: 1-line block ×4, first 2 shown]
	v_mul_u32_u24_e32 v43, 0x10001, v34
	v_and_b32_e32 v34, 0xffff, v37
	s_delay_alu instid0(VALU_DEP_2) | instskip(NEXT) | instid1(VALU_DEP_2)
	v_pk_fma_f16 v22, v17, v43, v22
	v_mul_u32_u24_e32 v44, 0x10001, v34
	ds_load_b128 v[34:37], v139 offset:1872
	v_pk_fma_f16 v24, v17, v44, v24
	s_wait_dscnt 0x0
	v_dual_lshrrev_b32 v45, 16, v34 :: v_dual_lshrrev_b32 v46, 16, v35
	v_dual_lshrrev_b32 v47, 16, v36 :: v_dual_lshrrev_b32 v48, 16, v37
	v_and_b32_e32 v34, 0xffff, v34
	v_and_b32_e32 v35, 0xffff, v35
	;; [unrolled: 1-line block ×4, first 2 shown]
	v_mul_u32_u24_e32 v45, 0x10001, v45
	v_mul_u32_u24_e32 v34, 0x10001, v34
	;; [unrolled: 1-line block ×8, first 2 shown]
	v_pk_fma_f16 v26, v17, v34, v26
	v_pk_fma_f16 v27, v17, v45, v27
	;; [unrolled: 1-line block ×8, first 2 shown]
	ds_load_2addr_b32 v[16:17], v146 offset0:192 offset1:224
	ds_load_b128 v[18:21], v139 offset:864
	s_wait_dscnt 0x0
	v_dual_lshrrev_b32 v35, 16, v18 :: v_dual_lshrrev_b32 v36, 16, v19
	v_and_b32_e32 v18, 0xffff, v18
	v_dual_lshrrev_b32 v37, 16, v20 :: v_dual_lshrrev_b32 v39, 16, v21
	s_delay_alu instid0(VALU_DEP_3) | instskip(NEXT) | instid1(VALU_DEP_4)
	v_mul_u32_u24_e32 v35, 0x10001, v35
	v_mul_u32_u24_e32 v36, 0x10001, v36
	s_delay_alu instid0(VALU_DEP_4) | instskip(SKIP_3) | instid1(VALU_DEP_3)
	v_mul_u32_u24_e32 v40, 0x10001, v18
	v_and_b32_e32 v18, 0xffff, v19
	v_mul_u32_u24_e32 v37, 0x10001, v37
	v_mul_u32_u24_e32 v39, 0x10001, v39
	;; [unrolled: 1-line block ×3, first 2 shown]
	v_and_b32_e32 v18, 0xffff, v20
	s_delay_alu instid0(VALU_DEP_4) | instskip(NEXT) | instid1(VALU_DEP_4)
	v_pk_fma_f16 v23, v16, v37, v23
	v_pk_fma_f16 v25, v16, v39, v25
	s_delay_alu instid0(VALU_DEP_3) | instskip(SKIP_1) | instid1(VALU_DEP_2)
	v_mul_u32_u24_e32 v44, 0x10001, v18
	v_and_b32_e32 v18, 0xffff, v21
	v_pk_fma_f16 v22, v16, v44, v22
	s_delay_alu instid0(VALU_DEP_2)
	v_mul_u32_u24_e32 v45, 0x10001, v18
	ds_load_b128 v[18:21], v139 offset:1888
	v_pk_fma_f16 v24, v16, v45, v24
	s_wait_dscnt 0x0
	v_dual_lshrrev_b32 v46, 16, v18 :: v_dual_lshrrev_b32 v47, 16, v19
	v_and_b32_e32 v18, 0xffff, v18
	v_dual_lshrrev_b32 v48, 16, v20 :: v_dual_lshrrev_b32 v49, 16, v21
	s_delay_alu instid0(VALU_DEP_3) | instskip(NEXT) | instid1(VALU_DEP_4)
	v_mul_u32_u24_e32 v46, 0x10001, v46
	v_mul_u32_u24_e32 v47, 0x10001, v47
	s_delay_alu instid0(VALU_DEP_4)
	v_mul_u32_u24_e32 v50, 0x10001, v18
	v_and_b32_e32 v18, 0xffff, v19
	v_mul_u32_u24_e32 v48, 0x10001, v48
	v_mul_u32_u24_e32 v49, 0x10001, v49
	v_pk_fma_f16 v19, v16, v35, v33
	v_pk_fma_f16 v26, v16, v50, v26
	v_mul_u32_u24_e32 v51, 0x10001, v18
	v_and_b32_e32 v18, 0xffff, v20
	v_pk_fma_f16 v20, v16, v43, v42
	v_pk_fma_f16 v27, v16, v46, v27
	;; [unrolled: 1-line block ×4, first 2 shown]
	v_mul_u32_u24_e32 v52, 0x10001, v18
	v_and_b32_e32 v18, 0xffff, v21
	v_pk_fma_f16 v21, v16, v36, v38
	v_pk_fma_f16 v31, v16, v48, v31
	s_delay_alu instid0(VALU_DEP_4) | instskip(NEXT) | instid1(VALU_DEP_4)
	v_pk_fma_f16 v30, v16, v52, v30
	v_mul_u32_u24_e32 v53, 0x10001, v18
	v_pk_fma_f16 v18, v16, v40, v41
	s_delay_alu instid0(VALU_DEP_2)
	v_pk_fma_f16 v32, v16, v53, v32
	v_pk_fma_f16 v16, v16, v49, v34
	ds_load_b128 v[34:37], v139 offset:880
	s_wait_dscnt 0x0
	v_dual_lshrrev_b32 v33, 16, v34 :: v_dual_lshrrev_b32 v38, 16, v35
	v_and_b32_e32 v34, 0xffff, v34
	v_dual_lshrrev_b32 v39, 16, v36 :: v_dual_lshrrev_b32 v40, 16, v37
	s_delay_alu instid0(VALU_DEP_3) | instskip(NEXT) | instid1(VALU_DEP_4)
	v_mul_u32_u24_e32 v33, 0x10001, v33
	v_mul_u32_u24_e32 v38, 0x10001, v38
	s_delay_alu instid0(VALU_DEP_4)
	v_mul_u32_u24_e32 v41, 0x10001, v34
	v_and_b32_e32 v34, 0xffff, v35
	v_mul_u32_u24_e32 v39, 0x10001, v39
	v_mul_u32_u24_e32 v40, 0x10001, v40
	v_pk_fma_f16 v33, v17, v33, v19
	v_pk_fma_f16 v41, v17, v41, v18
	v_mul_u32_u24_e32 v42, 0x10001, v34
	v_and_b32_e32 v34, 0xffff, v36
	v_pk_fma_f16 v38, v17, v38, v21
	v_pk_fma_f16 v23, v17, v39, v23
	;; [unrolled: 1-line block ×4, first 2 shown]
	v_mul_u32_u24_e32 v43, 0x10001, v34
	v_and_b32_e32 v34, 0xffff, v37
	s_delay_alu instid0(VALU_DEP_2) | instskip(NEXT) | instid1(VALU_DEP_2)
	v_pk_fma_f16 v22, v17, v43, v22
	v_mul_u32_u24_e32 v44, 0x10001, v34
	ds_load_b128 v[34:37], v139 offset:1904
	v_pk_fma_f16 v24, v17, v44, v24
	s_wait_dscnt 0x0
	v_dual_lshrrev_b32 v45, 16, v34 :: v_dual_lshrrev_b32 v46, 16, v35
	v_dual_lshrrev_b32 v47, 16, v36 :: v_dual_lshrrev_b32 v48, 16, v37
	v_and_b32_e32 v34, 0xffff, v34
	v_and_b32_e32 v35, 0xffff, v35
	;; [unrolled: 1-line block ×4, first 2 shown]
	v_mul_u32_u24_e32 v45, 0x10001, v45
	v_mul_u32_u24_e32 v34, 0x10001, v34
	;; [unrolled: 1-line block ×8, first 2 shown]
	v_pk_fma_f16 v26, v17, v34, v26
	v_pk_fma_f16 v27, v17, v45, v27
	;; [unrolled: 1-line block ×8, first 2 shown]
	ds_load_2addr_b32 v[16:17], v147 offset1:32
	ds_load_b128 v[18:21], v139 offset:896
	s_wait_dscnt 0x0
	v_dual_lshrrev_b32 v35, 16, v18 :: v_dual_lshrrev_b32 v36, 16, v19
	v_and_b32_e32 v18, 0xffff, v18
	v_dual_lshrrev_b32 v37, 16, v20 :: v_dual_lshrrev_b32 v39, 16, v21
	s_delay_alu instid0(VALU_DEP_3) | instskip(NEXT) | instid1(VALU_DEP_4)
	v_mul_u32_u24_e32 v35, 0x10001, v35
	v_mul_u32_u24_e32 v36, 0x10001, v36
	s_delay_alu instid0(VALU_DEP_4) | instskip(SKIP_3) | instid1(VALU_DEP_3)
	v_mul_u32_u24_e32 v40, 0x10001, v18
	v_and_b32_e32 v18, 0xffff, v19
	v_mul_u32_u24_e32 v37, 0x10001, v37
	v_mul_u32_u24_e32 v39, 0x10001, v39
	;; [unrolled: 1-line block ×3, first 2 shown]
	v_and_b32_e32 v18, 0xffff, v20
	s_delay_alu instid0(VALU_DEP_4) | instskip(NEXT) | instid1(VALU_DEP_4)
	v_pk_fma_f16 v23, v16, v37, v23
	v_pk_fma_f16 v25, v16, v39, v25
	s_delay_alu instid0(VALU_DEP_3) | instskip(SKIP_1) | instid1(VALU_DEP_2)
	v_mul_u32_u24_e32 v44, 0x10001, v18
	v_and_b32_e32 v18, 0xffff, v21
	v_pk_fma_f16 v22, v16, v44, v22
	s_delay_alu instid0(VALU_DEP_2)
	v_mul_u32_u24_e32 v45, 0x10001, v18
	ds_load_b128 v[18:21], v139 offset:1920
	v_pk_fma_f16 v24, v16, v45, v24
	s_wait_dscnt 0x0
	v_dual_lshrrev_b32 v46, 16, v18 :: v_dual_lshrrev_b32 v47, 16, v19
	v_and_b32_e32 v18, 0xffff, v18
	v_dual_lshrrev_b32 v48, 16, v20 :: v_dual_lshrrev_b32 v49, 16, v21
	s_delay_alu instid0(VALU_DEP_3) | instskip(NEXT) | instid1(VALU_DEP_4)
	v_mul_u32_u24_e32 v46, 0x10001, v46
	v_mul_u32_u24_e32 v47, 0x10001, v47
	s_delay_alu instid0(VALU_DEP_4)
	v_mul_u32_u24_e32 v50, 0x10001, v18
	v_and_b32_e32 v18, 0xffff, v19
	v_mul_u32_u24_e32 v48, 0x10001, v48
	v_mul_u32_u24_e32 v49, 0x10001, v49
	v_pk_fma_f16 v19, v16, v35, v33
	v_pk_fma_f16 v26, v16, v50, v26
	v_mul_u32_u24_e32 v51, 0x10001, v18
	v_and_b32_e32 v18, 0xffff, v20
	v_pk_fma_f16 v20, v16, v43, v42
	v_pk_fma_f16 v27, v16, v46, v27
	;; [unrolled: 1-line block ×4, first 2 shown]
	v_mul_u32_u24_e32 v52, 0x10001, v18
	v_and_b32_e32 v18, 0xffff, v21
	v_pk_fma_f16 v21, v16, v36, v38
	v_pk_fma_f16 v31, v16, v48, v31
	s_delay_alu instid0(VALU_DEP_4) | instskip(NEXT) | instid1(VALU_DEP_4)
	v_pk_fma_f16 v30, v16, v52, v30
	v_mul_u32_u24_e32 v53, 0x10001, v18
	v_pk_fma_f16 v18, v16, v40, v41
	s_delay_alu instid0(VALU_DEP_2)
	v_pk_fma_f16 v32, v16, v53, v32
	v_pk_fma_f16 v16, v16, v49, v34
	ds_load_b128 v[34:37], v139 offset:912
	s_wait_dscnt 0x0
	v_dual_lshrrev_b32 v33, 16, v34 :: v_dual_lshrrev_b32 v38, 16, v35
	v_and_b32_e32 v34, 0xffff, v34
	v_dual_lshrrev_b32 v39, 16, v36 :: v_dual_lshrrev_b32 v40, 16, v37
	s_delay_alu instid0(VALU_DEP_3) | instskip(NEXT) | instid1(VALU_DEP_4)
	v_mul_u32_u24_e32 v33, 0x10001, v33
	v_mul_u32_u24_e32 v38, 0x10001, v38
	s_delay_alu instid0(VALU_DEP_4)
	v_mul_u32_u24_e32 v41, 0x10001, v34
	v_and_b32_e32 v34, 0xffff, v35
	v_mul_u32_u24_e32 v39, 0x10001, v39
	v_mul_u32_u24_e32 v40, 0x10001, v40
	v_pk_fma_f16 v33, v17, v33, v19
	v_pk_fma_f16 v41, v17, v41, v18
	v_mul_u32_u24_e32 v42, 0x10001, v34
	v_and_b32_e32 v34, 0xffff, v36
	v_pk_fma_f16 v38, v17, v38, v21
	v_pk_fma_f16 v23, v17, v39, v23
	;; [unrolled: 1-line block ×4, first 2 shown]
	v_mul_u32_u24_e32 v43, 0x10001, v34
	v_and_b32_e32 v34, 0xffff, v37
	s_delay_alu instid0(VALU_DEP_2) | instskip(NEXT) | instid1(VALU_DEP_2)
	v_pk_fma_f16 v22, v17, v43, v22
	v_mul_u32_u24_e32 v44, 0x10001, v34
	ds_load_b128 v[34:37], v139 offset:1936
	v_pk_fma_f16 v24, v17, v44, v24
	s_wait_dscnt 0x0
	v_dual_lshrrev_b32 v45, 16, v34 :: v_dual_lshrrev_b32 v46, 16, v35
	v_dual_lshrrev_b32 v47, 16, v36 :: v_dual_lshrrev_b32 v48, 16, v37
	v_and_b32_e32 v34, 0xffff, v34
	v_and_b32_e32 v35, 0xffff, v35
	;; [unrolled: 1-line block ×4, first 2 shown]
	v_mul_u32_u24_e32 v45, 0x10001, v45
	v_mul_u32_u24_e32 v34, 0x10001, v34
	;; [unrolled: 1-line block ×8, first 2 shown]
	v_pk_fma_f16 v26, v17, v34, v26
	v_pk_fma_f16 v27, v17, v45, v27
	;; [unrolled: 1-line block ×8, first 2 shown]
	ds_load_2addr_b32 v[16:17], v147 offset0:64 offset1:96
	ds_load_b128 v[18:21], v139 offset:928
	s_wait_dscnt 0x0
	v_dual_lshrrev_b32 v35, 16, v18 :: v_dual_lshrrev_b32 v36, 16, v19
	v_and_b32_e32 v18, 0xffff, v18
	v_dual_lshrrev_b32 v37, 16, v20 :: v_dual_lshrrev_b32 v39, 16, v21
	s_delay_alu instid0(VALU_DEP_3) | instskip(NEXT) | instid1(VALU_DEP_4)
	v_mul_u32_u24_e32 v35, 0x10001, v35
	v_mul_u32_u24_e32 v36, 0x10001, v36
	s_delay_alu instid0(VALU_DEP_4) | instskip(SKIP_3) | instid1(VALU_DEP_3)
	v_mul_u32_u24_e32 v40, 0x10001, v18
	v_and_b32_e32 v18, 0xffff, v19
	v_mul_u32_u24_e32 v37, 0x10001, v37
	v_mul_u32_u24_e32 v39, 0x10001, v39
	;; [unrolled: 1-line block ×3, first 2 shown]
	v_and_b32_e32 v18, 0xffff, v20
	s_delay_alu instid0(VALU_DEP_4) | instskip(NEXT) | instid1(VALU_DEP_4)
	v_pk_fma_f16 v23, v16, v37, v23
	v_pk_fma_f16 v25, v16, v39, v25
	s_delay_alu instid0(VALU_DEP_3) | instskip(SKIP_1) | instid1(VALU_DEP_2)
	v_mul_u32_u24_e32 v44, 0x10001, v18
	v_and_b32_e32 v18, 0xffff, v21
	v_pk_fma_f16 v22, v16, v44, v22
	s_delay_alu instid0(VALU_DEP_2)
	v_mul_u32_u24_e32 v45, 0x10001, v18
	ds_load_b128 v[18:21], v139 offset:1952
	v_pk_fma_f16 v24, v16, v45, v24
	s_wait_dscnt 0x0
	v_dual_lshrrev_b32 v46, 16, v18 :: v_dual_lshrrev_b32 v47, 16, v19
	v_and_b32_e32 v18, 0xffff, v18
	v_dual_lshrrev_b32 v48, 16, v20 :: v_dual_lshrrev_b32 v49, 16, v21
	s_delay_alu instid0(VALU_DEP_3) | instskip(NEXT) | instid1(VALU_DEP_4)
	v_mul_u32_u24_e32 v46, 0x10001, v46
	v_mul_u32_u24_e32 v47, 0x10001, v47
	s_delay_alu instid0(VALU_DEP_4)
	v_mul_u32_u24_e32 v50, 0x10001, v18
	v_and_b32_e32 v18, 0xffff, v19
	v_mul_u32_u24_e32 v48, 0x10001, v48
	v_mul_u32_u24_e32 v49, 0x10001, v49
	v_pk_fma_f16 v19, v16, v35, v33
	v_pk_fma_f16 v26, v16, v50, v26
	v_mul_u32_u24_e32 v51, 0x10001, v18
	v_and_b32_e32 v18, 0xffff, v20
	v_pk_fma_f16 v20, v16, v43, v42
	v_pk_fma_f16 v27, v16, v46, v27
	v_pk_fma_f16 v29, v16, v47, v29
	v_pk_fma_f16 v28, v16, v51, v28
	v_mul_u32_u24_e32 v52, 0x10001, v18
	v_and_b32_e32 v18, 0xffff, v21
	v_pk_fma_f16 v21, v16, v36, v38
	v_pk_fma_f16 v31, v16, v48, v31
	s_delay_alu instid0(VALU_DEP_4) | instskip(NEXT) | instid1(VALU_DEP_4)
	v_pk_fma_f16 v30, v16, v52, v30
	v_mul_u32_u24_e32 v53, 0x10001, v18
	v_pk_fma_f16 v18, v16, v40, v41
	s_delay_alu instid0(VALU_DEP_2)
	v_pk_fma_f16 v32, v16, v53, v32
	v_pk_fma_f16 v16, v16, v49, v34
	ds_load_b128 v[34:37], v139 offset:944
	s_wait_dscnt 0x0
	v_dual_lshrrev_b32 v33, 16, v34 :: v_dual_lshrrev_b32 v38, 16, v35
	v_and_b32_e32 v34, 0xffff, v34
	v_dual_lshrrev_b32 v39, 16, v36 :: v_dual_lshrrev_b32 v40, 16, v37
	s_delay_alu instid0(VALU_DEP_3) | instskip(NEXT) | instid1(VALU_DEP_4)
	v_mul_u32_u24_e32 v33, 0x10001, v33
	v_mul_u32_u24_e32 v38, 0x10001, v38
	s_delay_alu instid0(VALU_DEP_4)
	v_mul_u32_u24_e32 v41, 0x10001, v34
	v_and_b32_e32 v34, 0xffff, v35
	v_mul_u32_u24_e32 v39, 0x10001, v39
	v_mul_u32_u24_e32 v40, 0x10001, v40
	v_pk_fma_f16 v33, v17, v33, v19
	v_pk_fma_f16 v41, v17, v41, v18
	v_mul_u32_u24_e32 v42, 0x10001, v34
	v_and_b32_e32 v34, 0xffff, v36
	v_pk_fma_f16 v38, v17, v38, v21
	v_pk_fma_f16 v23, v17, v39, v23
	;; [unrolled: 1-line block ×4, first 2 shown]
	v_mul_u32_u24_e32 v43, 0x10001, v34
	v_and_b32_e32 v34, 0xffff, v37
	s_delay_alu instid0(VALU_DEP_2) | instskip(NEXT) | instid1(VALU_DEP_2)
	v_pk_fma_f16 v22, v17, v43, v22
	v_mul_u32_u24_e32 v44, 0x10001, v34
	ds_load_b128 v[34:37], v139 offset:1968
	v_pk_fma_f16 v24, v17, v44, v24
	s_wait_dscnt 0x0
	v_dual_lshrrev_b32 v45, 16, v34 :: v_dual_lshrrev_b32 v46, 16, v35
	v_dual_lshrrev_b32 v47, 16, v36 :: v_dual_lshrrev_b32 v48, 16, v37
	v_and_b32_e32 v34, 0xffff, v34
	v_and_b32_e32 v35, 0xffff, v35
	;; [unrolled: 1-line block ×4, first 2 shown]
	v_mul_u32_u24_e32 v45, 0x10001, v45
	v_mul_u32_u24_e32 v34, 0x10001, v34
	;; [unrolled: 1-line block ×8, first 2 shown]
	v_pk_fma_f16 v26, v17, v34, v26
	v_pk_fma_f16 v27, v17, v45, v27
	;; [unrolled: 1-line block ×8, first 2 shown]
	ds_load_2addr_b32 v[16:17], v147 offset0:128 offset1:160
	ds_load_b128 v[18:21], v139 offset:960
	s_wait_dscnt 0x0
	v_dual_lshrrev_b32 v35, 16, v18 :: v_dual_lshrrev_b32 v36, 16, v19
	v_and_b32_e32 v18, 0xffff, v18
	v_dual_lshrrev_b32 v37, 16, v20 :: v_dual_lshrrev_b32 v39, 16, v21
	s_delay_alu instid0(VALU_DEP_3) | instskip(NEXT) | instid1(VALU_DEP_4)
	v_mul_u32_u24_e32 v35, 0x10001, v35
	v_mul_u32_u24_e32 v36, 0x10001, v36
	s_delay_alu instid0(VALU_DEP_4) | instskip(SKIP_3) | instid1(VALU_DEP_3)
	v_mul_u32_u24_e32 v40, 0x10001, v18
	v_and_b32_e32 v18, 0xffff, v19
	v_mul_u32_u24_e32 v37, 0x10001, v37
	v_mul_u32_u24_e32 v39, 0x10001, v39
	;; [unrolled: 1-line block ×3, first 2 shown]
	v_and_b32_e32 v18, 0xffff, v20
	s_delay_alu instid0(VALU_DEP_4) | instskip(NEXT) | instid1(VALU_DEP_4)
	v_pk_fma_f16 v23, v16, v37, v23
	v_pk_fma_f16 v25, v16, v39, v25
	s_delay_alu instid0(VALU_DEP_3) | instskip(SKIP_1) | instid1(VALU_DEP_2)
	v_mul_u32_u24_e32 v44, 0x10001, v18
	v_and_b32_e32 v18, 0xffff, v21
	v_pk_fma_f16 v22, v16, v44, v22
	s_delay_alu instid0(VALU_DEP_2)
	v_mul_u32_u24_e32 v45, 0x10001, v18
	ds_load_b128 v[18:21], v139 offset:1984
	v_pk_fma_f16 v24, v16, v45, v24
	s_wait_dscnt 0x0
	v_dual_lshrrev_b32 v46, 16, v18 :: v_dual_lshrrev_b32 v47, 16, v19
	v_and_b32_e32 v18, 0xffff, v18
	v_dual_lshrrev_b32 v48, 16, v20 :: v_dual_lshrrev_b32 v49, 16, v21
	s_delay_alu instid0(VALU_DEP_3) | instskip(NEXT) | instid1(VALU_DEP_4)
	v_mul_u32_u24_e32 v46, 0x10001, v46
	v_mul_u32_u24_e32 v47, 0x10001, v47
	s_delay_alu instid0(VALU_DEP_4)
	v_mul_u32_u24_e32 v50, 0x10001, v18
	v_and_b32_e32 v18, 0xffff, v19
	v_mul_u32_u24_e32 v48, 0x10001, v48
	v_mul_u32_u24_e32 v49, 0x10001, v49
	v_pk_fma_f16 v19, v16, v35, v33
	v_pk_fma_f16 v26, v16, v50, v26
	v_mul_u32_u24_e32 v51, 0x10001, v18
	v_and_b32_e32 v18, 0xffff, v20
	v_pk_fma_f16 v20, v16, v43, v42
	v_pk_fma_f16 v27, v16, v46, v27
	;; [unrolled: 1-line block ×4, first 2 shown]
	v_mul_u32_u24_e32 v52, 0x10001, v18
	v_and_b32_e32 v18, 0xffff, v21
	v_pk_fma_f16 v21, v16, v36, v38
	v_pk_fma_f16 v31, v16, v48, v31
	s_delay_alu instid0(VALU_DEP_4) | instskip(NEXT) | instid1(VALU_DEP_4)
	v_pk_fma_f16 v30, v16, v52, v30
	v_mul_u32_u24_e32 v53, 0x10001, v18
	v_pk_fma_f16 v18, v16, v40, v41
	s_delay_alu instid0(VALU_DEP_2)
	v_pk_fma_f16 v32, v16, v53, v32
	v_pk_fma_f16 v16, v16, v49, v34
	ds_load_b128 v[34:37], v139 offset:976
	s_wait_dscnt 0x0
	v_dual_lshrrev_b32 v33, 16, v34 :: v_dual_lshrrev_b32 v38, 16, v35
	v_and_b32_e32 v34, 0xffff, v34
	v_dual_lshrrev_b32 v39, 16, v36 :: v_dual_lshrrev_b32 v40, 16, v37
	s_delay_alu instid0(VALU_DEP_3) | instskip(NEXT) | instid1(VALU_DEP_4)
	v_mul_u32_u24_e32 v33, 0x10001, v33
	v_mul_u32_u24_e32 v38, 0x10001, v38
	s_delay_alu instid0(VALU_DEP_4)
	v_mul_u32_u24_e32 v41, 0x10001, v34
	v_and_b32_e32 v34, 0xffff, v35
	v_mul_u32_u24_e32 v39, 0x10001, v39
	v_mul_u32_u24_e32 v40, 0x10001, v40
	v_pk_fma_f16 v33, v17, v33, v19
	v_pk_fma_f16 v41, v17, v41, v18
	v_mul_u32_u24_e32 v42, 0x10001, v34
	v_and_b32_e32 v34, 0xffff, v36
	v_pk_fma_f16 v38, v17, v38, v21
	v_pk_fma_f16 v39, v17, v39, v23
	;; [unrolled: 1-line block ×4, first 2 shown]
	v_mul_u32_u24_e32 v43, 0x10001, v34
	v_and_b32_e32 v34, 0xffff, v37
	s_delay_alu instid0(VALU_DEP_2) | instskip(NEXT) | instid1(VALU_DEP_2)
	v_pk_fma_f16 v43, v17, v43, v22
	v_mul_u32_u24_e32 v44, 0x10001, v34
	ds_load_b128 v[34:37], v139 offset:2000
	v_pk_fma_f16 v44, v17, v44, v24
	s_wait_dscnt 0x0
	v_dual_lshrrev_b32 v45, 16, v34 :: v_dual_lshrrev_b32 v46, 16, v35
	v_dual_lshrrev_b32 v47, 16, v36 :: v_dual_lshrrev_b32 v48, 16, v37
	v_and_b32_e32 v34, 0xffff, v34
	v_and_b32_e32 v35, 0xffff, v35
	;; [unrolled: 1-line block ×4, first 2 shown]
	v_mul_u32_u24_e32 v45, 0x10001, v45
	v_mul_u32_u24_e32 v34, 0x10001, v34
	;; [unrolled: 1-line block ×8, first 2 shown]
	v_pk_fma_f16 v34, v17, v34, v26
	v_pk_fma_f16 v45, v17, v45, v27
	;; [unrolled: 1-line block ×8, first 2 shown]
	ds_load_2addr_b32 v[20:21], v147 offset0:192 offset1:224
	ds_load_b128 v[16:19], v139 offset:992
	s_wait_dscnt 0x0
	v_dual_lshrrev_b32 v22, 16, v16 :: v_dual_lshrrev_b32 v23, 16, v17
	v_and_b32_e32 v16, 0xffff, v16
	v_dual_lshrrev_b32 v24, 16, v18 :: v_dual_lshrrev_b32 v25, 16, v19
	s_delay_alu instid0(VALU_DEP_3) | instskip(NEXT) | instid1(VALU_DEP_4)
	v_mul_u32_u24_e32 v27, 0x10001, v22
	v_mul_u32_u24_e32 v29, 0x10001, v23
	s_delay_alu instid0(VALU_DEP_4) | instskip(SKIP_3) | instid1(VALU_DEP_3)
	v_mul_u32_u24_e32 v26, 0x10001, v16
	v_and_b32_e32 v16, 0xffff, v17
	v_mul_u32_u24_e32 v31, 0x10001, v24
	v_mul_u32_u24_e32 v49, 0x10001, v25
	;; [unrolled: 1-line block ×3, first 2 shown]
	v_and_b32_e32 v16, 0xffff, v18
	s_delay_alu instid0(VALU_DEP_1) | instskip(SKIP_1) | instid1(VALU_DEP_1)
	v_mul_u32_u24_e32 v30, 0x10001, v16
	v_and_b32_e32 v16, 0xffff, v19
	v_mul_u32_u24_e32 v32, 0x10001, v16
	ds_load_b128 v[16:19], v139 offset:2016
	s_wait_dscnt 0x0
	v_dual_lshrrev_b32 v22, 16, v16 :: v_dual_lshrrev_b32 v23, 16, v17
	v_dual_lshrrev_b32 v24, 16, v18 :: v_dual_lshrrev_b32 v25, 16, v19
	v_and_b32_e32 v16, 0xffff, v16
	v_and_b32_e32 v17, 0xffff, v17
	;; [unrolled: 1-line block ×4, first 2 shown]
	v_mul_u32_u24_e32 v50, 0x10001, v22
	v_mul_u32_u24_e32 v16, 0x10001, v16
	;; [unrolled: 1-line block ×6, first 2 shown]
	v_pk_fma_f16 v22, v20, v26, v41
	v_pk_fma_f16 v24, v20, v28, v42
	;; [unrolled: 1-line block ×8, first 2 shown]
	ds_load_b128 v[16:19], v139 offset:1008
	v_mul_u32_u24_e32 v53, 0x10001, v25
	v_pk_fma_f16 v25, v20, v29, v38
	v_mul_u32_u24_e32 v51, 0x10001, v23
	v_pk_fma_f16 v23, v20, v27, v33
	v_pk_fma_f16 v27, v20, v31, v39
	;; [unrolled: 1-line block ×7, first 2 shown]
	s_wait_dscnt 0x0
	v_dual_lshrrev_b32 v38, 16, v16 :: v_dual_lshrrev_b32 v40, 16, v17
	v_and_b32_e32 v16, 0xffff, v16
	v_dual_lshrrev_b32 v42, 16, v18 :: v_dual_lshrrev_b32 v44, 16, v19
	s_delay_alu instid0(VALU_DEP_3) | instskip(NEXT) | instid1(VALU_DEP_4)
	v_mul_u32_u24_e32 v38, 0x10001, v38
	v_mul_u32_u24_e32 v40, 0x10001, v40
	s_delay_alu instid0(VALU_DEP_4)
	v_mul_u32_u24_e32 v37, 0x10001, v16
	v_and_b32_e32 v16, 0xffff, v17
	v_mul_u32_u24_e32 v42, 0x10001, v42
	v_mul_u32_u24_e32 v44, 0x10001, v44
	v_pk_fma_f16 v162, v21, v38, v23
	v_pk_fma_f16 v163, v21, v37, v22
	v_mul_u32_u24_e32 v39, 0x10001, v16
	v_and_b32_e32 v16, 0xffff, v18
	v_pk_fma_f16 v160, v21, v40, v25
	v_pk_fma_f16 v158, v21, v42, v27
	;; [unrolled: 1-line block ×4, first 2 shown]
	v_mul_u32_u24_e32 v41, 0x10001, v16
	v_and_b32_e32 v16, 0xffff, v19
	s_delay_alu instid0(VALU_DEP_2) | instskip(NEXT) | instid1(VALU_DEP_2)
	v_pk_fma_f16 v159, v21, v41, v26
	v_mul_u32_u24_e32 v43, 0x10001, v16
	ds_load_b128 v[16:19], v139 offset:2032
	s_wait_dscnt 0x0
	s_barrier_signal -1
	s_barrier_wait -1
	s_load_b32 s3, s[20:21], 0x4
	v_pk_fma_f16 v157, v21, v43, v28
	v_dual_lshrrev_b32 v45, 16, v16 :: v_dual_lshrrev_b32 v46, 16, v17
	v_dual_lshrrev_b32 v47, 16, v18 :: v_dual_lshrrev_b32 v48, 16, v19
	v_and_b32_e32 v16, 0xffff, v16
	v_and_b32_e32 v17, 0xffff, v17
	;; [unrolled: 1-line block ×4, first 2 shown]
	v_mul_u32_u24_e32 v45, 0x10001, v45
	v_mul_u32_u24_e32 v16, 0x10001, v16
	;; [unrolled: 1-line block ×8, first 2 shown]
	s_wait_kmcnt 0x0
	s_lshl_b32 s3, s3, 6
	v_pk_fma_f16 v155, v21, v16, v30
	v_pk_fma_f16 v154, v21, v45, v31
	;; [unrolled: 1-line block ×8, first 2 shown]
	s_add_co_i32 s4, s3, s4
	s_delay_alu instid0(SALU_CYCLE_1)
	s_cmp_ge_i32 s4, s30
	s_cbranch_scc0 .LBB0_9
; %bb.10:
	s_clause 0x11
	scratch_load_b32 v138, off, off offset:4
	scratch_load_b32 v139, off, off offset:8
	scratch_load_b32 v140, off, off offset:12
	scratch_load_b32 v141, off, off offset:16
	scratch_load_b32 v142, off, off offset:20
	scratch_load_b32 v143, off, off offset:24
	scratch_load_b32 v144, off, off offset:28
	scratch_load_b32 v145, off, off offset:32
	scratch_load_b32 v146, off, off offset:36
	scratch_load_b32 v147, off, off offset:40
	scratch_load_b32 v164, off, off offset:44
	scratch_load_b32 v165, off, off offset:48
	scratch_load_b32 v166, off, off offset:52
	scratch_load_b32 v167, off, off offset:56
	scratch_load_b32 v168, off, off offset:60
	scratch_load_b32 v169, off, off offset:64
	scratch_load_b32 v170, off, off offset:68
	scratch_load_b32 v171, off, off offset:72
	v_dual_mov_b32 v18, v129 :: v_dual_mov_b32 v51, 32
.LBB0_11:
	v_lshlrev_b32_e32 v62, 1, v122
	s_delay_alu instid0(VALU_DEP_2)
	v_cmp_lt_i32_e32 vcc_lo, v131, v51
	s_cmp_lg_u64 s[12:13], 0
	s_cselect_b32 s3, -1, 0
	s_cmp_eq_u32 s31, 0
	v_cndmask_b32_e32 v16, v18, v131, vcc_lo
	v_cmp_lt_i32_e32 vcc_lo, v130, v51
	s_cselect_b32 s4, -1, 0
	s_delay_alu instid0(SALU_CYCLE_1) | instskip(NEXT) | instid1(VALU_DEP_2)
	s_and_b32 s3, s4, s3
	v_dual_cndmask_b32 v28, v18, v130 :: v_dual_lshlrev_b32 v19, 2, v16
	v_cmp_lt_i32_e32 vcc_lo, v128, v51
	s_delay_alu instid0(VALU_DEP_2)
	v_lshlrev_b32_e32 v49, 2, v28
	ds_bpermute_b32 v16, v19, v86
	ds_bpermute_b32 v17, v19, v87
	;; [unrolled: 1-line block ×16, first 2 shown]
	v_cndmask_b32_e32 v19, v18, v128, vcc_lo
	v_cmp_lt_i32_e32 vcc_lo, v127, v51
	s_wait_dscnt 0xe
	v_pk_add_f32 v[16:17], v[86:87], v[16:17]
	v_cndmask_b32_e32 v50, v18, v127, vcc_lo
	s_wait_dscnt 0xc
	v_pk_add_f32 v[20:21], v[84:85], v[20:21]
	v_cmp_lt_i32_e32 vcc_lo, v126, v51
	s_wait_dscnt 0xa
	v_pk_add_f32 v[22:23], v[82:83], v[22:23]
	s_wait_dscnt 0x8
	v_pk_add_f32 v[24:25], v[80:81], v[24:25]
	v_lshlrev_b32_e32 v50, 2, v50
	s_wait_dscnt 0x6
	v_pk_add_f32 v[26:27], v[78:79], v[26:27]
	v_lshlrev_b32_e32 v19, 2, v19
	s_wait_dscnt 0x4
	v_pk_add_f32 v[28:29], v[76:77], v[28:29]
	ds_bpermute_b32 v34, v49, v16
	s_wait_dscnt 0x3
	v_pk_add_f32 v[30:31], v[74:75], v[30:31]
	ds_bpermute_b32 v35, v49, v17
	;; [unrolled: 3-line block ×3, first 2 shown]
	ds_bpermute_b32 v37, v49, v21
	ds_bpermute_b32 v38, v49, v22
	ds_bpermute_b32 v39, v49, v23
	ds_bpermute_b32 v40, v49, v24
	ds_bpermute_b32 v41, v49, v25
	ds_bpermute_b32 v42, v49, v26
	ds_bpermute_b32 v43, v49, v27
	ds_bpermute_b32 v44, v49, v28
	ds_bpermute_b32 v45, v49, v29
	ds_bpermute_b32 v46, v49, v30
	ds_bpermute_b32 v47, v49, v31
	ds_bpermute_b32 v48, v49, v32
	ds_bpermute_b32 v49, v49, v33
	v_cndmask_b32_e32 v51, v18, v126, vcc_lo
	s_and_b32 vcc_lo, exec_lo, s3
	s_wait_dscnt 0xe
	v_pk_add_f32 v[16:17], v[16:17], v[34:35]
	s_wait_dscnt 0xc
	v_pk_add_f32 v[20:21], v[20:21], v[36:37]
	;; [unrolled: 2-line block ×3, first 2 shown]
	ds_bpermute_b32 v34, v19, v16
	s_wait_dscnt 0x9
	v_pk_add_f32 v[24:25], v[24:25], v[40:41]
	ds_bpermute_b32 v35, v19, v17
	s_wait_dscnt 0x8
	v_pk_add_f32 v[26:27], v[26:27], v[42:43]
	;; [unrolled: 3-line block ×5, first 2 shown]
	ds_bpermute_b32 v39, v19, v23
	ds_bpermute_b32 v40, v19, v24
	;; [unrolled: 1-line block ×11, first 2 shown]
	s_wait_dscnt 0xe
	v_pk_add_f32 v[16:17], v[16:17], v[34:35]
	s_wait_dscnt 0xc
	v_pk_add_f32 v[20:21], v[20:21], v[36:37]
	ds_bpermute_b32 v34, v50, v16
	ds_bpermute_b32 v35, v50, v17
	s_wait_dscnt 0xc
	v_pk_add_f32 v[22:23], v[22:23], v[38:39]
	ds_bpermute_b32 v36, v50, v20
	s_wait_dscnt 0xb
	v_pk_add_f32 v[24:25], v[24:25], v[40:41]
	;; [unrolled: 3-line block ×6, first 2 shown]
	ds_bpermute_b32 v41, v50, v25
	ds_bpermute_b32 v42, v50, v26
	ds_bpermute_b32 v43, v50, v27
	ds_bpermute_b32 v32, v50, v28
	ds_bpermute_b32 v33, v50, v29
	ds_bpermute_b32 v44, v50, v30
	ds_bpermute_b32 v45, v50, v31
	ds_bpermute_b32 v46, v50, v18
	ds_bpermute_b32 v47, v50, v19
	v_lshlrev_b32_e32 v48, 2, v51
	s_wait_dscnt 0xe
	v_pk_add_f32 v[16:17], v[16:17], v[34:35]
	s_wait_dscnt 0xc
	v_pk_add_f32 v[20:21], v[20:21], v[36:37]
	ds_bpermute_b32 v34, v48, v16
	s_wait_dscnt 0xb
	v_pk_add_f32 v[22:23], v[22:23], v[38:39]
	ds_bpermute_b32 v35, v48, v17
	ds_bpermute_b32 v36, v48, v20
	;; [unrolled: 1-line block ×3, first 2 shown]
	s_wait_dscnt 0xc
	v_pk_add_f32 v[24:25], v[24:25], v[40:41]
	ds_bpermute_b32 v38, v48, v22
	s_wait_dscnt 0xb
	v_pk_add_f32 v[26:27], v[26:27], v[42:43]
	ds_bpermute_b32 v39, v48, v23
	;; [unrolled: 3-line block ×5, first 2 shown]
	ds_bpermute_b32 v33, v48, v27
	ds_bpermute_b32 v42, v48, v28
	;; [unrolled: 1-line block ×7, first 2 shown]
	s_wait_dscnt 0xe
	v_pk_add_f32 v[52:53], v[16:17], v[34:35]
	s_wait_dscnt 0xc
	v_pk_add_f32 v[50:51], v[20:21], v[36:37]
	;; [unrolled: 2-line block ×8, first 2 shown]
	s_cbranch_vccz .LBB0_13
; %bb.12:
	s_ashr_i32 s3, s2, 31
	v_dual_mov_b32 v16, 0 :: v_dual_max_num_f32 v17, v1, v1
	s_lshl_b64 s[4:5], s[2:3], 2
	v_dual_max_num_f32 v25, v9, v9 :: v_dual_max_num_f32 v26, v10, v10
	s_add_nc_u64 s[4:5], s[12:13], s[4:5]
	s_clause 0x1
	global_load_b128 v[34:37], v16, s[4:5]
	global_load_b128 v[30:33], v16, s[4:5] offset:16
	s_wait_xcnt 0x0
	v_dual_max_num_f32 v16, v0, v0 :: v_dual_max_num_f32 v18, v2, v2
	v_dual_max_num_f32 v27, v11, v11 :: v_dual_max_num_f32 v28, v12, v12
	;; [unrolled: 1-line block ×5, first 2 shown]
	s_wait_loadcnt 0x1
	v_dual_max_num_f32 v54, v34, v34 :: v_dual_max_num_f32 v55, v35, v35
	v_dual_max_num_f32 v56, v36, v36 :: v_dual_max_num_f32 v57, v37, v37
	s_wait_loadcnt 0x0
	v_dual_max_num_f32 v59, v30, v30 :: v_dual_max_num_f32 v29, v31, v31
	s_delay_alu instid0(VALU_DEP_3) | instskip(SKIP_3) | instid1(VALU_DEP_4)
	v_dual_max_num_f32 v16, v16, v54 :: v_dual_max_num_f32 v17, v17, v55
	v_dual_max_num_f32 v64, v32, v32 :: v_dual_max_num_f32 v63, v33, v33
	;; [unrolled: 1-line block ×4, first 2 shown]
	v_sub_f32_e32 v0, v0, v16
	v_dual_max_num_f32 v20, v20, v59 :: v_dual_max_num_f32 v21, v21, v29
	v_dual_max_num_f32 v22, v22, v64 :: v_dual_max_num_f32 v23, v23, v63
	;; [unrolled: 1-line block ×3, first 2 shown]
	v_dual_sub_f32 v54, v34, v16 :: v_dual_sub_f32 v1, v1, v17
	v_dual_sub_f32 v55, v35, v17 :: v_dual_sub_f32 v56, v2, v18
	v_dual_sub_f32 v57, v36, v18 :: v_dual_sub_f32 v79, v11, v27
	v_dual_sub_f32 v61, v37, v27 :: v_dual_mul_f32 v2, 0x3fb8aa3b, v0
	v_dual_sub_f32 v58, v3, v19 :: v_dual_sub_f32 v60, v37, v19
	v_dual_sub_f32 v65, v4, v20 :: v_dual_sub_f32 v66, v30, v20
	;; [unrolled: 1-line block ×4, first 2 shown]
	v_dual_mul_f32 v3, 0x3fb8aa3b, v54 :: v_dual_mul_f32 v4, 0x3fb8aa3b, v1
	v_mul_f32_e32 v5, 0x3fb8aa3b, v55
	v_dual_mul_f32 v88, 0x3fb8aa3b, v79 :: v_dual_mul_f32 v89, 0x3fb8aa3b, v61
	v_fma_f32 v90, 0x3fb8aa3b, v0, -v2
	v_rndne_f32_e32 v91, v2
	v_dual_sub_f32 v71, v7, v23 :: v_dual_sub_f32 v72, v33, v23
	v_dual_sub_f32 v73, v8, v24 :: v_dual_sub_f32 v74, v34, v24
	;; [unrolled: 1-line block ×3, first 2 shown]
	v_dual_mul_f32 v6, 0x3fb8aa3b, v56 :: v_dual_mul_f32 v7, 0x3fb8aa3b, v57
	v_dual_mul_f32 v36, 0x3fb8aa3b, v69 :: v_dual_mul_f32 v37, 0x3fb8aa3b, v70
	v_fma_f32 v92, 0x3fb8aa3b, v54, -v3
	v_rndne_f32_e32 v93, v3
	v_rndne_f32_e32 v97, v5
	;; [unrolled: 1-line block ×3, first 2 shown]
	v_fmac_f32_e32 v90, 0x32a5705f, v0
	v_dual_sub_f32 v2, v2, v91 :: v_dual_sub_f32 v75, v9, v25
	v_sub_f32_e32 v76, v35, v25
	v_dual_mul_f32 v8, 0x3fb8aa3b, v58 :: v_dual_mul_f32 v9, 0x3fb8aa3b, v60
	v_dual_mul_f32 v82, 0x3fb8aa3b, v73 :: v_dual_mul_f32 v83, 0x3fb8aa3b, v74
	v_fma_f32 v94, 0x3fb8aa3b, v1, -v4
	v_rndne_f32_e32 v95, v4
	v_fma_f32 v96, 0x3fb8aa3b, v55, -v5
	v_rndne_f32_e32 v101, v7
	v_fma_f32 v116, 0x3fb8aa3b, v70, -v37
	v_fma_f32 v135, 0x3fb8aa3b, v79, -v88
	v_dual_fmac_f32 v92, 0x32a5705f, v54 :: v_dual_sub_f32 v3, v3, v93
	v_dual_sub_f32 v5, v5, v97 :: v_dual_sub_f32 v88, v88, v136
	v_add_f32_e32 v2, v2, v90
	v_dual_mul_f32 v10, 0x3fb8aa3b, v65 :: v_dual_mul_f32 v11, 0x3fb8aa3b, v66
	v_dual_mul_f32 v80, 0x3fb8aa3b, v71 :: v_dual_mul_f32 v81, 0x3fb8aa3b, v72
	v_fma_f32 v100, 0x3fb8aa3b, v57, -v7
	v_rndne_f32_e32 v105, v9
	v_fma_f32 v125, 0x3fb8aa3b, v74, -v83
	v_rndne_f32_e32 v126, v83
	v_fmac_f32_e32 v94, 0x32a5705f, v1
	v_dual_sub_f32 v4, v4, v95 :: v_dual_sub_f32 v7, v7, v101
	v_dual_fmac_f32 v116, 0x32a5705f, v70 :: v_dual_add_f32 v3, v3, v92
	v_exp_f32_e32 v2, v2
	v_fma_f32 v114, 0x3fb8aa3b, v69, -v36
	v_cvt_i32_f32_e32 v91, v91
	v_dual_mul_f32 v34, 0x3fb8aa3b, v67 :: v_dual_mul_f32 v35, 0x3fb8aa3b, v68
	v_dual_mul_f32 v84, 0x3fb8aa3b, v75 :: v_dual_mul_f32 v85, 0x3fb8aa3b, v76
	v_fma_f32 v98, 0x3fb8aa3b, v56, -v6
	v_rndne_f32_e32 v99, v6
	v_fma_f32 v104, 0x3fb8aa3b, v60, -v9
	v_rndne_f32_e32 v109, v11
	v_fma_f32 v118, 0x3fb8aa3b, v71, -v80
	v_fmac_f32_e32 v96, 0x32a5705f, v55
	v_dual_fmac_f32 v100, 0x32a5705f, v57 :: v_dual_sub_f32 v83, v83, v126
	v_sub_f32_e32 v9, v9, v105
	v_fmac_f32_e32 v125, 0x32a5705f, v74
	s_delay_alu instid0(VALU_DEP_3)
	v_dual_add_f32 v4, v4, v94 :: v_dual_add_f32 v7, v7, v100
	v_exp_f32_e32 v3, v3
	v_cvt_i32_f32_e32 v93, v93
	v_dual_fmac_f32 v114, 0x32a5705f, v69 :: v_dual_fmac_f32 v135, 0x32a5705f, v79
	v_ldexp_f32 v2, v2, v91
	v_cmp_ngt_f32_e32 vcc_lo, 0xc2ce8ed0, v0
	v_fma_f32 v108, 0x3fb8aa3b, v66, -v11
	v_rndne_f32_e32 v113, v35
	v_rndne_f32_e32 v117, v37
	v_fma_f32 v127, 0x3fb8aa3b, v75, -v84
	v_fmac_f32_e32 v98, 0x32a5705f, v56
	v_dual_sub_f32 v6, v6, v99 :: v_dual_sub_f32 v11, v11, v109
	v_dual_fmac_f32 v118, 0x32a5705f, v71 :: v_dual_add_f32 v5, v5, v96
	v_exp_f32_e32 v4, v4
	v_cvt_i32_f32_e32 v95, v95
	v_dual_add_f32 v88, v88, v135 :: v_dual_cndmask_b32 v2, 0, v2, vcc_lo
	v_ldexp_f32 v3, v3, v93
	v_cmp_ngt_f32_e32 vcc_lo, 0xc2ce8ed0, v54
	v_dual_mul_f32 v86, 0x3fb8aa3b, v77 :: v_dual_mul_f32 v87, 0x3fb8aa3b, v78
	v_fma_f32 v102, 0x3fb8aa3b, v58, -v8
	v_rndne_f32_e32 v103, v8
	v_fma_f32 v112, 0x3fb8aa3b, v68, -v35
	v_dual_fmac_f32 v104, 0x32a5705f, v60 :: v_dual_fmac_f32 v127, 0x32a5705f, v75
	v_sub_f32_e32 v35, v35, v113
	v_dual_sub_f32 v37, v37, v117 :: v_dual_add_f32 v6, v6, v98
	s_delay_alu instid0(VALU_DEP_3)
	v_add_f32_e32 v9, v9, v104
	v_exp_f32_e32 v5, v5
	v_cvt_i32_f32_e32 v97, v97
	v_ldexp_f32 v4, v4, v95
	v_cndmask_b32_e32 v3, 0, v3, vcc_lo
	v_cmp_ngt_f32_e32 vcc_lo, 0xc2ce8ed0, v1
	v_rndne_f32_e32 v121, v81
	v_fma_f32 v123, 0x3fb8aa3b, v73, -v82
	v_fma_f32 v131, 0x3fb8aa3b, v77, -v86
	v_fmac_f32_e32 v102, 0x32a5705f, v58
	v_sub_f32_e32 v8, v8, v103
	v_exp_f32_e32 v6, v6
	v_cvt_i32_f32_e32 v99, v99
	v_ldexp_f32 v5, v5, v97
	v_cndmask_b32_e32 v4, 0, v4, vcc_lo
	v_cmp_ngt_f32_e32 vcc_lo, 0xc2ce8ed0, v55
	v_fma_f32 v106, 0x3fb8aa3b, v65, -v10
	v_rndne_f32_e32 v107, v10
	v_fma_f32 v120, 0x3fb8aa3b, v72, -v81
	v_dual_fmac_f32 v108, 0x32a5705f, v66 :: v_dual_fmac_f32 v131, 0x32a5705f, v77
	v_sub_f32_e32 v81, v81, v121
	v_dual_fmac_f32 v123, 0x32a5705f, v73 :: v_dual_add_f32 v8, v8, v102
	s_delay_alu instid0(VALU_DEP_3)
	v_add_f32_e32 v11, v11, v108
	v_exp_f32_e32 v7, v7
	v_cvt_i32_f32_e32 v101, v101
	v_ldexp_f32 v6, v6, v99
	v_cndmask_b32_e32 v5, 0, v5, vcc_lo
	v_cmp_ngt_f32_e32 vcc_lo, 0xc2ce8ed0, v56
	v_rndne_f32_e32 v128, v84
	v_fma_f32 v129, 0x3fb8aa3b, v76, -v85
	v_rndne_f32_e32 v134, v87
	v_fmac_f32_e32 v106, 0x32a5705f, v65
	s_delay_alu instid0(VALU_DEP_4)
	v_dual_sub_f32 v10, v10, v107 :: v_dual_sub_f32 v84, v84, v128
	v_exp_f32_e32 v8, v8
	v_cvt_i32_f32_e32 v103, v103
	v_ldexp_f32 v7, v7, v101
	v_cndmask_b32_e32 v6, 0, v6, vcc_lo
	v_cmp_ngt_f32_e32 vcc_lo, 0xc2ce8ed0, v57
	v_fma_f32 v110, 0x3fb8aa3b, v67, -v34
	v_rndne_f32_e32 v111, v34
	v_fma_f32 v133, 0x3fb8aa3b, v78, -v87
	v_dual_fmac_f32 v112, 0x32a5705f, v68 :: v_dual_sub_f32 v87, v87, v134
	v_dual_fmac_f32 v129, 0x32a5705f, v76 :: v_dual_add_f32 v10, v10, v106
	v_exp_f32_e32 v9, v9
	v_cvt_i32_f32_e32 v105, v105
	v_ldexp_f32 v8, v8, v103
	v_cndmask_b32_e32 v7, 0, v7, vcc_lo
	v_cmp_ngt_f32_e32 vcc_lo, 0xc2ce8ed0, v58
	v_rndne_f32_e32 v130, v85
	v_fmac_f32_e32 v110, 0x32a5705f, v67
	v_dual_sub_f32 v34, v34, v111 :: v_dual_fmac_f32 v133, 0x32a5705f, v78
	v_add_f32_e32 v35, v35, v112
	v_exp_f32_e32 v10, v10
	v_cvt_i32_f32_e32 v107, v107
	v_ldexp_f32 v9, v9, v105
	v_cndmask_b32_e32 v8, 0, v8, vcc_lo
	v_cmp_ngt_f32_e32 vcc_lo, 0xc2ce8ed0, v60
	v_rndne_f32_e32 v115, v36
	v_sub_f32_e32 v85, v85, v130
	v_dual_add_f32 v34, v34, v110 :: v_dual_add_f32 v37, v37, v116
	v_exp_f32_e32 v11, v11
	v_cvt_i32_f32_e32 v109, v109
	v_ldexp_f32 v10, v10, v107
	v_cndmask_b32_e32 v9, 0, v9, vcc_lo
	v_cmp_ngt_f32_e32 vcc_lo, 0xc2ce8ed0, v65
	v_rndne_f32_e32 v124, v82
	v_sub_f32_e32 v36, v36, v115
	v_exp_f32_e32 v34, v34
	v_cvt_i32_f32_e32 v111, v111
	v_ldexp_f32 v11, v11, v109
	v_cndmask_b32_e32 v10, 0, v10, vcc_lo
	v_cmp_ngt_f32_e32 vcc_lo, 0xc2ce8ed0, v66
	v_rndne_f32_e32 v119, v80
	v_dual_fmac_f32 v120, 0x32a5705f, v72 :: v_dual_add_f32 v83, v83, v125
	v_dual_sub_f32 v82, v82, v124 :: v_dual_add_f32 v36, v36, v114
	v_exp_f32_e32 v35, v35
	v_cvt_i32_f32_e32 v113, v113
	v_ldexp_f32 v34, v34, v111
	v_cndmask_b32_e32 v11, 0, v11, vcc_lo
	v_cmp_ngt_f32_e32 vcc_lo, 0xc2ce8ed0, v67
	v_rndne_f32_e32 v132, v86
	v_dual_sub_f32 v80, v80, v119 :: v_dual_add_f32 v81, v81, v120
	v_exp_f32_e32 v36, v36
	v_cvt_i32_f32_e32 v115, v115
	v_ldexp_f32 v35, v35, v113
	v_cndmask_b32_e32 v34, 0, v34, vcc_lo
	v_cmp_ngt_f32_e32 vcc_lo, 0xc2ce8ed0, v68
	v_dual_sub_f32 v86, v86, v132 :: v_dual_add_f32 v80, v80, v118
	v_add_f32_e32 v82, v82, v123
	v_exp_f32_e32 v37, v37
	v_cvt_i32_f32_e32 v117, v117
	v_ldexp_f32 v36, v36, v115
	v_cndmask_b32_e32 v35, 0, v35, vcc_lo
	v_cmp_ngt_f32_e32 vcc_lo, 0xc2ce8ed0, v69
	v_exp_f32_e32 v80, v80
	v_cvt_i32_f32_e32 v119, v119
	v_ldexp_f32 v37, v37, v117
	v_exp_f32_e32 v81, v81
	v_cndmask_b32_e32 v36, 0, v36, vcc_lo
	v_cmp_ngt_f32_e32 vcc_lo, 0xc2ce8ed0, v70
	v_cvt_i32_f32_e32 v121, v121
	v_ldexp_f32 v80, v80, v119
	v_exp_f32_e32 v82, v82
	v_cvt_i32_f32_e32 v124, v124
	v_cndmask_b32_e32 v37, 0, v37, vcc_lo
	v_cmp_ngt_f32_e32 vcc_lo, 0xc2ce8ed0, v71
	v_ldexp_f32 v81, v81, v121
	v_dual_add_f32 v84, v84, v127 :: v_dual_add_f32 v85, v85, v129
	v_exp_f32_e32 v83, v83
	v_cndmask_b32_e32 v80, 0, v80, vcc_lo
	v_cmp_ngt_f32_e32 vcc_lo, 0xc2ce8ed0, v72
	v_cvt_i32_f32_e32 v126, v126
	v_ldexp_f32 v82, v82, v124
	v_exp_f32_e32 v84, v84
	v_cvt_i32_f32_e32 v128, v128
	v_cndmask_b32_e32 v81, 0, v81, vcc_lo
	v_cmp_ngt_f32_e32 vcc_lo, 0xc2ce8ed0, v73
	v_ldexp_f32 v83, v83, v126
	v_dual_add_f32 v86, v86, v131 :: v_dual_add_f32 v87, v87, v133
	v_exp_f32_e32 v85, v85
	v_cndmask_b32_e32 v82, 0, v82, vcc_lo
	v_cmp_ngt_f32_e32 vcc_lo, 0xc2ce8ed0, v74
	v_cvt_i32_f32_e32 v130, v130
	v_ldexp_f32 v84, v84, v128
	v_exp_f32_e32 v86, v86
	v_cvt_i32_f32_e32 v132, v132
	v_cndmask_b32_e32 v83, 0, v83, vcc_lo
	v_cmp_ngt_f32_e32 vcc_lo, 0xc2ce8ed0, v75
	v_ldexp_f32 v85, v85, v130
	v_exp_f32_e32 v87, v87
	v_cvt_i32_f32_e32 v134, v134
	v_ldexp_f32 v86, v86, v132
	v_cndmask_b32_e32 v84, 0, v84, vcc_lo
	v_cmp_ngt_f32_e32 vcc_lo, 0xc2ce8ed0, v76
	v_fma_f32 v137, 0x3fb8aa3b, v61, -v89
	v_max_num_f32_e32 v28, v28, v59
	v_ldexp_f32 v87, v87, v134
	v_exp_f32_e32 v88, v88
	v_cndmask_b32_e32 v85, 0, v85, vcc_lo
	v_cmp_ngt_f32_e32 vcc_lo, 0xc2ce8ed0, v77
	v_fmac_f32_e32 v137, 0x32a5705f, v61
	v_cvt_i32_f32_e32 v136, v136
	v_dual_sub_f32 v12, v12, v28 :: v_dual_cndmask_b32 v86, 0, v86, vcc_lo
	v_cmp_ngt_f32_e32 vcc_lo, 0xc2ce8ed0, v78
	s_delay_alu instid0(VALU_DEP_3)
	v_ldexp_f32 v59, v88, v136
	v_cndmask_b32_e32 v87, 0, v87, vcc_lo
	v_cmp_nlt_f32_e32 vcc_lo, 0x42b17218, v0
	v_cndmask_b32_e32 v0, 0x7f800000, v2, vcc_lo
	v_cmp_nlt_f32_e32 vcc_lo, 0x42b17218, v54
	;; [unrolled: 2-line block ×9, first 2 shown]
	v_cvt_f16_f32_e32 v65, v0
	v_cndmask_b32_e32 v8, 0x7f800000, v10, vcc_lo
	v_cmp_nlt_f32_e32 vcc_lo, 0x42b17218, v66
	s_delay_alu instid0(VALU_DEP_3) | instskip(SKIP_3) | instid1(VALU_DEP_4)
	v_and_b32_e32 v65, 0xffff, v65
	v_cndmask_b32_e32 v10, 0x7f800000, v11, vcc_lo
	v_cmp_nlt_f32_e32 vcc_lo, 0x42b17218, v67
	v_cvt_f16_f32_e32 v67, v4
	v_mul_u32_u24_e32 v65, 0x10001, v65
	v_cndmask_b32_e32 v9, 0x7f800000, v34, vcc_lo
	v_cmp_nlt_f32_e32 vcc_lo, 0x42b17218, v68
	s_delay_alu instid0(VALU_DEP_4) | instskip(NEXT) | instid1(VALU_DEP_4)
	v_and_b32_e32 v67, 0xffff, v67
	v_pk_mul_f16 v163, v163, v65
	v_rndne_f32_e32 v65, v89
	v_cndmask_b32_e32 v11, 0x7f800000, v35, vcc_lo
	v_cmp_nlt_f32_e32 vcc_lo, 0x42b17218, v69
	v_mul_u32_u24_e32 v67, 0x10001, v67
	v_cndmask_b32_e32 v34, 0x7f800000, v36, vcc_lo
	v_cmp_nlt_f32_e32 vcc_lo, 0x42b17218, v70
	v_cvt_f16_f32_e32 v70, v9
	s_delay_alu instid0(VALU_DEP_4)
	v_pk_mul_f16 v161, v161, v67
	v_sub_f32_e32 v67, v89, v65
	v_cvt_i32_f32_e32 v65, v65
	v_cndmask_b32_e32 v36, 0x7f800000, v37, vcc_lo
	v_cmp_nlt_f32_e32 vcc_lo, 0x42b17218, v71
	v_cvt_f16_f32_e32 v71, v34
	v_and_b32_e32 v70, 0xffff, v70
	v_add_f32_e32 v67, v67, v137
	v_cndmask_b32_e32 v35, 0x7f800000, v80, vcc_lo
	v_cmp_nlt_f32_e32 vcc_lo, 0x42b17218, v72
	v_and_b32_e32 v71, 0xffff, v71
	v_mul_u32_u24_e32 v70, 0x10001, v70
	v_exp_f32_e32 v67, v67
	v_cvt_f16_f32_e32 v72, v35
	v_cndmask_b32_e32 v37, 0x7f800000, v81, vcc_lo
	v_cmp_nlt_f32_e32 vcc_lo, 0x42b17218, v73
	v_mul_u32_u24_e32 v71, 0x10001, v71
	v_pk_mul_f16 v158, v158, v70
	v_and_b32_e32 v72, 0xffff, v72
	v_cndmask_b32_e32 v54, 0x7f800000, v82, vcc_lo
	v_cmp_nlt_f32_e32 vcc_lo, 0x42b17218, v74
	v_pk_mul_f16 v157, v157, v71
	v_sub_f32_e32 v71, v30, v28
	v_ldexp_f32 v30, v67, v65
	v_mul_u32_u24_e32 v72, 0x10001, v72
	v_cndmask_b32_e32 v56, 0x7f800000, v83, vcc_lo
	v_cmp_nlt_f32_e32 vcc_lo, 0x42b17218, v75
	s_delay_alu instid0(VALU_DEP_3)
	v_pk_mul_f16 v156, v156, v72
	v_cndmask_b32_e32 v55, 0x7f800000, v84, vcc_lo
	v_cmp_nlt_f32_e32 vcc_lo, 0x42b17218, v76
	v_cndmask_b32_e32 v57, 0x7f800000, v85, vcc_lo
	v_cmp_nlt_f32_e32 vcc_lo, 0x42b17218, v77
	;; [unrolled: 2-line block ×3, first 2 shown]
	v_cndmask_b32_e32 v60, 0x7f800000, v87, vcc_lo
	v_cmp_ngt_f32_e32 vcc_lo, 0xc2ce8ed0, v79
	v_cndmask_b32_e32 v59, 0, v59, vcc_lo
	v_cmp_nlt_f32_e32 vcc_lo, 0x42b17218, v79
	s_delay_alu instid0(VALU_DEP_2) | instskip(SKIP_1) | instid1(VALU_DEP_2)
	v_cndmask_b32_e32 v59, 0x7f800000, v59, vcc_lo
	v_cmp_ngt_f32_e32 vcc_lo, 0xc2ce8ed0, v61
	v_cvt_f16_f32_e32 v70, v59
	v_cndmask_b32_e32 v30, 0, v30, vcc_lo
	v_cmp_nlt_f32_e32 vcc_lo, 0x42b17218, v61
	s_delay_alu instid0(VALU_DEP_3)
	v_and_b32_e32 v67, 0xffff, v70
	v_max_num_f32_e32 v70, v13, v13
	v_cvt_f16_f32_e32 v66, v1
	v_cndmask_b32_e32 v61, 0x7f800000, v30, vcc_lo
	v_cmp_ngt_f32_e32 vcc_lo, 0xc2ce8ed0, v12
	v_pk_fma_f32 v[52:53], v[52:53], v[0:1], v[2:3]
	v_max_num_f32_e32 v29, v70, v29
	v_and_b32_e32 v66, 0xffff, v66
	v_max_num_f32_e32 v70, v14, v14
	v_cvt_f16_f32_e32 v68, v5
	v_cvt_f16_f32_e32 v69, v8
	v_sub_f32_e32 v13, v13, v29
	v_mul_u32_u24_e32 v66, 0x10001, v66
	s_delay_alu instid0(VALU_DEP_4) | instskip(NEXT) | instid1(VALU_DEP_4)
	v_and_b32_e32 v68, 0xffff, v68
	v_and_b32_e32 v69, 0xffff, v69
	s_delay_alu instid0(VALU_DEP_3) | instskip(SKIP_1) | instid1(VALU_DEP_4)
	v_pk_mul_f16 v162, v162, v66
	v_cvt_f16_f32_e32 v66, v58
	v_mul_u32_u24_e32 v68, 0x10001, v68
	s_delay_alu instid0(VALU_DEP_4) | instskip(NEXT) | instid1(VALU_DEP_3)
	v_mul_u32_u24_e32 v69, 0x10001, v69
	v_and_b32_e32 v66, 0xffff, v66
	s_delay_alu instid0(VALU_DEP_3) | instskip(SKIP_1) | instid1(VALU_DEP_4)
	v_pk_mul_f16 v160, v160, v68
	v_mul_f32_e32 v68, 0x3fb8aa3b, v12
	v_pk_mul_f16 v159, v159, v69
	s_delay_alu instid0(VALU_DEP_4) | instskip(NEXT) | instid1(VALU_DEP_3)
	v_mul_u32_u24_e32 v66, 0x10001, v66
	v_rndne_f32_e32 v69, v68
	s_delay_alu instid0(VALU_DEP_2) | instskip(SKIP_1) | instid1(VALU_DEP_3)
	v_pk_mul_f16 v153, v153, v66
	v_fma_f32 v66, 0x3fb8aa3b, v12, -v68
	v_sub_f32_e32 v65, v68, v69
	v_cvt_i32_f32_e32 v69, v69
	s_delay_alu instid0(VALU_DEP_3) | instskip(NEXT) | instid1(VALU_DEP_1)
	v_fmac_f32_e32 v66, 0x32a5705f, v12
	v_add_f32_e32 v65, v65, v66
	v_mul_u32_u24_e32 v66, 0x10001, v67
	s_delay_alu instid0(VALU_DEP_2) | instskip(NEXT) | instid1(VALU_DEP_1)
	v_exp_f32_e32 v65, v65
	v_pk_mul_f16 v152, v152, v66
	v_mul_f32_e32 v66, 0x3fb8aa3b, v13
	s_delay_alu instid0(TRANS32_DEP_1) | instskip(SKIP_2) | instid1(VALU_DEP_3)
	v_ldexp_f32 v30, v65, v69
	v_dual_sub_f32 v69, v31, v29 :: v_dual_mul_f32 v68, 0x3fb8aa3b, v71
	v_cvt_f16_f32_e32 v73, v54
	v_cndmask_b32_e32 v30, 0, v30, vcc_lo
	v_cmp_nlt_f32_e32 vcc_lo, 0x42b17218, v12
	s_delay_alu instid0(VALU_DEP_4) | instskip(SKIP_3) | instid1(VALU_DEP_3)
	v_fma_f32 v67, 0x3fb8aa3b, v71, -v68
	v_rndne_f32_e32 v72, v68
	v_and_b32_e32 v73, 0xffff, v73
	v_cndmask_b32_e32 v12, 0x7f800000, v30, vcc_lo
	v_dual_fmac_f32 v67, 0x32a5705f, v71 :: v_dual_sub_f32 v68, v68, v72
	v_fma_f32 v30, 0x3fb8aa3b, v13, -v66
	s_delay_alu instid0(VALU_DEP_4)
	v_mul_u32_u24_e32 v73, 0x10001, v73
	v_cmp_ngt_f32_e32 vcc_lo, 0xc2ce8ed0, v71
	v_pk_fma_f32 v[50:51], v[50:51], v[4:5], v[6:7]
	v_add_f32_e32 v65, v68, v67
	v_rndne_f32_e32 v68, v66
	v_cvt_i32_f32_e32 v67, v72
	v_fmac_f32_e32 v30, 0x32a5705f, v13
	v_pk_mul_f16 v155, v155, v73
	v_exp_f32_e32 v65, v65
	v_sub_f32_e32 v66, v66, v68
	s_delay_alu instid0(VALU_DEP_1) | instskip(NEXT) | instid1(TRANS32_DEP_1)
	v_add_f32_e32 v66, v66, v30
	v_ldexp_f32 v31, v65, v67
	v_dual_mul_f32 v67, 0x3fb8aa3b, v69 :: v_dual_max_num_f32 v30, v70, v64
	v_cvt_f16_f32_e32 v65, v12
	s_delay_alu instid0(VALU_DEP_4) | instskip(NEXT) | instid1(VALU_DEP_3)
	v_exp_f32_e32 v64, v66
	v_cndmask_b32_e32 v31, 0, v31, vcc_lo
	s_delay_alu instid0(VALU_DEP_3)
	v_fma_f32 v72, 0x3fb8aa3b, v69, -v67
	v_rndne_f32_e32 v73, v67
	v_cvt_i32_f32_e32 v66, v68
	v_sub_f32_e32 v68, v14, v30
	v_cmp_nlt_f32_e32 vcc_lo, 0x42b17218, v71
	v_fmac_f32_e32 v72, 0x32a5705f, v69
	v_sub_f32_e32 v67, v67, v73
	v_and_b32_e32 v65, 0xffff, v65
	v_max_num_f32_e32 v71, v15, v15
	v_cndmask_b32_e32 v14, 0x7f800000, v31, vcc_lo
	v_ldexp_f32 v31, v64, v66
	v_mul_f32_e32 v66, 0x3fb8aa3b, v68
	v_cmp_ngt_f32_e32 vcc_lo, 0xc2ce8ed0, v13
	v_add_f32_e32 v64, v67, v72
	v_mul_u32_u24_e32 v65, 0x10001, v65
	v_pk_fma_f32 v[46:47], v[46:47], v[34:35], v[36:37]
	v_fma_f32 v67, 0x3fb8aa3b, v68, -v66
	v_cndmask_b32_e32 v31, 0, v31, vcc_lo
	v_rndne_f32_e32 v70, v66
	v_cmp_nlt_f32_e32 vcc_lo, 0x42b17218, v13
	v_exp_f32_e32 v64, v64
	v_fmac_f32_e32 v67, 0x32a5705f, v68
	v_pk_mul_f16 v151, v151, v65
	v_dual_sub_f32 v66, v66, v70 :: v_dual_cndmask_b32 v13, 0x7f800000, v31
	v_cvt_i32_f32_e32 v31, v73
	v_cvt_f16_f32_e32 v74, v55
	v_cmp_ngt_f32_e32 vcc_lo, 0xc2ce8ed0, v69
	s_delay_alu instid0(VALU_DEP_4)
	v_add_f32_e32 v66, v66, v67
	v_cvt_f16_f32_e32 v65, v13
	v_ldexp_f32 v64, v64, v31
	v_max_num_f32_e32 v31, v71, v63
	v_and_b32_e32 v74, 0xffff, v74
	v_cvt_i32_f32_e32 v67, v70
	v_pk_fma_f32 v[48:49], v[48:49], v[8:9], v[10:11]
	v_dual_cndmask_b32 v63, 0, v64 :: v_dual_sub_f32 v64, v32, v30
	v_and_b32_e32 v32, 0xffff, v65
	v_exp_f32_e32 v65, v66
	v_dual_sub_f32 v66, v15, v31 :: v_dual_sub_f32 v72, v33, v31
	v_mul_u32_u24_e32 v74, 0x10001, v74
	v_cmp_nlt_f32_e32 vcc_lo, 0x42b17218, v69
	v_mul_f32_e32 v70, 0x3fb8aa3b, v64
	v_mul_u32_u24_e32 v69, 0x10001, v32
	v_mul_f32_e32 v73, 0x3fb8aa3b, v72
	v_pk_mul_f16 v154, v154, v74
	v_ldexp_f32 v32, v65, v67
	v_pk_fma_f32 v[44:45], v[44:45], v[54:55], v[56:57]
	v_pk_mul_f16 v150, v150, v69
	v_rndne_f32_e32 v74, v73
	v_cndmask_b32_e32 v15, 0x7f800000, v63, vcc_lo
	v_mul_f32_e32 v63, 0x3fb8aa3b, v66
	v_fma_f32 v65, 0x3fb8aa3b, v64, -v70
	v_rndne_f32_e32 v67, v70
	v_cmp_ngt_f32_e32 vcc_lo, 0xc2ce8ed0, v68
	s_delay_alu instid0(VALU_DEP_4) | instskip(SKIP_1) | instid1(VALU_DEP_4)
	v_fma_f32 v71, 0x3fb8aa3b, v66, -v63
	v_rndne_f32_e32 v33, v63
	v_dual_fmac_f32 v65, 0x32a5705f, v64 :: v_dual_sub_f32 v70, v70, v67
	s_delay_alu instid0(VALU_DEP_3) | instskip(NEXT) | instid1(VALU_DEP_3)
	v_dual_cndmask_b32 v32, 0, v32 :: v_dual_fmac_f32 v71, 0x32a5705f, v66
	v_sub_f32_e32 v63, v63, v33
	v_cmp_nlt_f32_e32 vcc_lo, 0x42b17218, v68
	s_delay_alu instid0(VALU_DEP_4)
	v_add_f32_e32 v65, v70, v65
	v_fma_f32 v70, 0x3fb8aa3b, v72, -v73
	v_cvt_i32_f32_e32 v33, v33
	v_dual_add_f32 v63, v63, v71 :: v_dual_cndmask_b32 v32, 0x7f800000, v32
	v_sub_f32_e32 v68, v73, v74
	v_cmp_ngt_f32_e32 vcc_lo, 0xc2ce8ed0, v66
	v_exp_f32_e32 v65, v65
	s_delay_alu instid0(VALU_DEP_3)
	v_exp_f32_e32 v63, v63
	v_cvt_i32_f32_e32 v67, v67
	v_pk_fma_f32 v[40:41], v[40:41], v[12:13], v[14:15]
	v_pk_fma_f32 v[42:43], v[42:43], v[58:59], v[60:61]
	s_delay_alu instid0(TRANS32_DEP_2) | instid1(VALU_DEP_3)
	v_ldexp_f32 v65, v65, v67
	s_delay_alu instid0(TRANS32_DEP_1) | instskip(NEXT) | instid1(VALU_DEP_1)
	v_ldexp_f32 v33, v63, v33
	v_dual_fmac_f32 v70, 0x32a5705f, v72 :: v_dual_cndmask_b32 v33, 0, v33
	s_delay_alu instid0(VALU_DEP_1) | instskip(SKIP_2) | instid1(VALU_DEP_3)
	v_add_f32_e32 v68, v68, v70
	v_cmp_ngt_f32_e32 vcc_lo, 0xc2ce8ed0, v64
	v_cvt_f16_f32_e32 v70, v32
	v_exp_f32_e32 v63, v68
	v_nop
	v_cvt_i32_f32_e32 v68, v74
	s_delay_alu instid0(VALU_DEP_3)
	v_and_b32_e32 v67, 0xffff, v70
	s_delay_alu instid0(TRANS32_DEP_1) | instid1(VALU_DEP_2)
	v_ldexp_f32 v63, v63, v68
	v_cndmask_b32_e32 v65, 0, v65, vcc_lo
	v_cmp_nlt_f32_e32 vcc_lo, 0x42b17218, v66
	s_delay_alu instid0(VALU_DEP_4) | instskip(SKIP_2) | instid1(VALU_DEP_3)
	v_mul_u32_u24_e32 v67, 0x10001, v67
	v_cndmask_b32_e32 v33, 0x7f800000, v33, vcc_lo
	v_cmp_ngt_f32_e32 vcc_lo, 0xc2ce8ed0, v72
	v_pk_mul_f16 v149, v149, v67
	s_delay_alu instid0(VALU_DEP_3) | instskip(SKIP_2) | instid1(VALU_DEP_3)
	v_cvt_f16_f32_e32 v66, v33
	v_cndmask_b32_e32 v63, 0, v63, vcc_lo
	v_cmp_nlt_f32_e32 vcc_lo, 0x42b17218, v64
	v_and_b32_e32 v0, 0xffff, v66
	v_cndmask_b32_e32 v64, 0x7f800000, v65, vcc_lo
	v_cmp_nlt_f32_e32 vcc_lo, 0x42b17218, v72
	s_delay_alu instid0(VALU_DEP_3)
	v_mul_u32_u24_e32 v34, 0x10001, v0
	v_mov_b64_e32 v[0:1], v[16:17]
	v_mov_b64_e32 v[2:3], v[18:19]
	v_cndmask_b32_e32 v65, 0x7f800000, v63, vcc_lo
	v_mov_b64_e32 v[4:5], v[20:21]
	v_mov_b64_e32 v[6:7], v[22:23]
	;; [unrolled: 1-line block ×6, first 2 shown]
	v_pk_fma_f32 v[38:39], v[38:39], v[32:33], v[64:65]
	v_pk_mul_f16 v148, v148, v34
.LBB0_13:
	s_mov_b32 s3, exec_lo
	s_wait_loadcnt 0x0
	v_cmpx_gt_i32_e64 s22, v171
	s_cbranch_execz .LBB0_86
; %bb.14:
	s_load_b32 s0, s[0:1], 0xd4
	v_mov_b32_e32 v16, 1.0
	s_wait_kmcnt 0x0
	s_cmp_lg_u32 s0, 1
	s_cselect_b32 s3, -1, 0
	s_cmp_eq_u32 s0, 1
	s_cselect_b32 s4, -1, 0
	s_and_b32 vcc_lo, exec_lo, s3
	s_cbranch_vccnz .LBB0_16
; %bb.15:
	v_div_scale_f32 v16, null, v52, v52, 1.0
	s_delay_alu instid0(VALU_DEP_1) | instskip(SKIP_1) | instid1(TRANS32_DEP_1)
	v_rcp_f32_e32 v17, v16
	v_nop
	v_fma_f32 v18, -v16, v17, 1.0
	s_delay_alu instid0(VALU_DEP_1) | instskip(SKIP_1) | instid1(VALU_DEP_1)
	v_fmac_f32_e32 v17, v18, v17
	v_div_scale_f32 v18, vcc_lo, 1.0, v52, 1.0
	v_mul_f32_e32 v19, v18, v17
	s_delay_alu instid0(VALU_DEP_1) | instskip(NEXT) | instid1(VALU_DEP_1)
	v_fma_f32 v20, -v16, v19, v18
	v_fmac_f32_e32 v19, v20, v17
	s_delay_alu instid0(VALU_DEP_1) | instskip(NEXT) | instid1(VALU_DEP_1)
	v_fma_f32 v16, -v16, v19, v18
	v_div_fmas_f32 v16, v16, v17, v19
	s_delay_alu instid0(VALU_DEP_1)
	v_div_fixup_f32 v16, v16, v52, 1.0
.LBB0_16:
	s_mul_i32 s1, s28, s22
	v_cvt_f32_f16_e64 v22, v163
	s_add_co_i32 s1, s1, s33
	v_cmp_eq_u32_e32 vcc_lo, 0, v122
	v_dual_add_nc_u32 v17, s1, v170 :: v_dual_lshrrev_b32 v19, 16, v163
	v_mov_b32_e32 v21, 0
	s_and_b32 s3, vcc_lo, s3
	s_delay_alu instid0(VALU_DEP_2) | instskip(NEXT) | instid1(VALU_DEP_3)
	v_mul_lo_u32 v17, v17, s23
	v_cvt_f32_f16_e32 v23, v19
	s_delay_alu instid0(VALU_DEP_2) | instskip(NEXT) | instid1(VALU_DEP_2)
	v_add_nc_u32_e32 v18, s2, v17
	v_pk_mul_f32 v[22:23], v[16:17], v[22:23] op_sel_hi:[0,1]
	s_delay_alu instid0(VALU_DEP_2) | instskip(NEXT) | instid1(VALU_DEP_1)
	v_mad_u32 v18, s0, v18, s31
	v_lshl_add_u32 v20, v18, 6, v62
	s_delay_alu instid0(VALU_DEP_1)
	v_lshl_add_u64 v[20:21], v[20:21], 2, s[16:17]
	global_store_b64 v[20:21], v[22:23], off
	s_wait_xcnt 0x0
	s_and_saveexec_b32 s5, s3
	s_cbranch_execz .LBB0_18
; %bb.17:
	v_dual_mov_b32 v20, v0 :: v_dual_mov_b32 v21, v52
	global_store_b64 v18, v[20:21], s[18:19] scale_offset
.LBB0_18:
	s_wait_xcnt 0x0
	s_or_b32 exec_lo, exec_lo, s5
	v_cndmask_b32_e64 v16, 0, 1, s4
	v_mov_b32_e32 v0, 1.0
	s_and_not1_b32 vcc_lo, exec_lo, s4
	s_cbranch_vccnz .LBB0_20
; %bb.19:
	v_div_scale_f32 v0, null, v53, v53, 1.0
	s_delay_alu instid0(VALU_DEP_1) | instskip(SKIP_1) | instid1(TRANS32_DEP_1)
	v_rcp_f32_e32 v18, v0
	v_nop
	v_fma_f32 v19, -v0, v18, 1.0
	s_delay_alu instid0(VALU_DEP_1) | instskip(SKIP_1) | instid1(VALU_DEP_1)
	v_fmac_f32_e32 v18, v19, v18
	v_div_scale_f32 v19, vcc_lo, 1.0, v53, 1.0
	v_mul_f32_e32 v20, v19, v18
	s_delay_alu instid0(VALU_DEP_1) | instskip(NEXT) | instid1(VALU_DEP_1)
	v_fma_f32 v21, -v0, v20, v19
	v_fmac_f32_e32 v20, v21, v18
	s_delay_alu instid0(VALU_DEP_1) | instskip(NEXT) | instid1(VALU_DEP_1)
	v_fma_f32 v0, -v0, v20, v19
	v_div_fmas_f32 v0, v0, v18, v20
	s_delay_alu instid0(VALU_DEP_1)
	v_div_fixup_f32 v0, v0, v53, 1.0
.LBB0_20:
	s_add_co_i32 s10, s2, 1
	s_delay_alu instid0(SALU_CYCLE_1) | instskip(SKIP_2) | instid1(VALU_DEP_3)
	v_dual_mov_b32 v21, 0 :: v_dual_add_nc_u32 v18, s10, v17
	v_lshrrev_b32_e32 v19, 16, v162
	v_cvt_f32_f16_e64 v22, v162
	v_mad_u32 v18, s0, v18, s31
	s_delay_alu instid0(VALU_DEP_3) | instskip(NEXT) | instid1(VALU_DEP_1)
	v_cvt_f32_f16_e32 v23, v19
	v_pk_mul_f32 v[22:23], v[0:1], v[22:23] op_sel_hi:[0,1]
	s_delay_alu instid0(VALU_DEP_3) | instskip(NEXT) | instid1(VALU_DEP_1)
	v_lshl_add_u32 v20, v18, 6, v62
	v_lshl_add_u64 v[20:21], v[20:21], 2, s[16:17]
	global_store_b64 v[20:21], v[22:23], off
	s_wait_xcnt 0x0
	s_and_saveexec_b32 s4, s3
	s_cbranch_execz .LBB0_22
; %bb.21:
	v_mov_b32_e32 v52, v1
	global_store_b64 v18, v[52:53], s[18:19] scale_offset
.LBB0_22:
	s_wait_xcnt 0x0
	s_or_b32 exec_lo, exec_lo, s4
	v_cmp_ne_u32_e32 vcc_lo, 1, v16
	v_mov_b32_e32 v0, 1.0
	s_cbranch_vccnz .LBB0_24
; %bb.23:
	v_div_scale_f32 v0, null, v50, v50, 1.0
	s_delay_alu instid0(VALU_DEP_1) | instskip(SKIP_1) | instid1(TRANS32_DEP_1)
	v_rcp_f32_e32 v1, v0
	v_nop
	v_fma_f32 v18, -v0, v1, 1.0
	s_delay_alu instid0(VALU_DEP_1) | instskip(SKIP_1) | instid1(VALU_DEP_1)
	v_fmac_f32_e32 v1, v18, v1
	v_div_scale_f32 v18, vcc_lo, 1.0, v50, 1.0
	v_mul_f32_e32 v19, v18, v1
	s_delay_alu instid0(VALU_DEP_1) | instskip(NEXT) | instid1(VALU_DEP_1)
	v_fma_f32 v20, -v0, v19, v18
	v_fmac_f32_e32 v19, v20, v1
	s_delay_alu instid0(VALU_DEP_1) | instskip(NEXT) | instid1(VALU_DEP_1)
	v_fma_f32 v0, -v0, v19, v18
	v_div_fmas_f32 v0, v0, v1, v19
	s_delay_alu instid0(VALU_DEP_1)
	v_div_fixup_f32 v0, v0, v50, 1.0
.LBB0_24:
	s_add_co_i32 s9, s2, 2
	v_lshrrev_b32_e32 v21, 16, v161
	v_dual_add_nc_u32 v1, s9, v17 :: v_dual_mov_b32 v19, 0
	v_cvt_f32_f16_e64 v20, v161
	s_delay_alu instid0(VALU_DEP_3) | instskip(NEXT) | instid1(VALU_DEP_3)
	v_cvt_f32_f16_e32 v21, v21
	v_mad_u32 v1, s0, v1, s31
	s_delay_alu instid0(VALU_DEP_1) | instskip(NEXT) | instid1(VALU_DEP_3)
	v_lshl_add_u32 v18, v1, 6, v62
	v_pk_mul_f32 v[20:21], v[0:1], v[20:21] op_sel_hi:[0,1]
	s_delay_alu instid0(VALU_DEP_2)
	v_lshl_add_u64 v[18:19], v[18:19], 2, s[16:17]
	global_store_b64 v[18:19], v[20:21], off
	s_wait_xcnt 0x0
	s_and_saveexec_b32 s4, s3
	s_cbranch_execz .LBB0_26
; %bb.25:
	v_dual_mov_b32 v18, v2 :: v_dual_mov_b32 v19, v50
	global_store_b64 v1, v[18:19], s[18:19] scale_offset
.LBB0_26:
	s_wait_xcnt 0x0
	s_or_b32 exec_lo, exec_lo, s4
	v_cmp_ne_u32_e32 vcc_lo, 1, v16
	v_mov_b32_e32 v0, 1.0
	s_cbranch_vccnz .LBB0_28
; %bb.27:
	v_div_scale_f32 v0, null, v51, v51, 1.0
	s_delay_alu instid0(VALU_DEP_1) | instskip(SKIP_1) | instid1(TRANS32_DEP_1)
	v_rcp_f32_e32 v1, v0
	v_nop
	v_fma_f32 v2, -v0, v1, 1.0
	s_delay_alu instid0(VALU_DEP_1) | instskip(SKIP_1) | instid1(VALU_DEP_1)
	v_fmac_f32_e32 v1, v2, v1
	v_div_scale_f32 v2, vcc_lo, 1.0, v51, 1.0
	v_mul_f32_e32 v18, v2, v1
	s_delay_alu instid0(VALU_DEP_1) | instskip(NEXT) | instid1(VALU_DEP_1)
	v_fma_f32 v19, -v0, v18, v2
	v_fmac_f32_e32 v18, v19, v1
	s_delay_alu instid0(VALU_DEP_1) | instskip(NEXT) | instid1(VALU_DEP_1)
	v_fma_f32 v0, -v0, v18, v2
	v_div_fmas_f32 v0, v0, v1, v18
	s_delay_alu instid0(VALU_DEP_1)
	v_div_fixup_f32 v0, v0, v51, 1.0
.LBB0_28:
	s_add_co_i32 s8, s2, 3
	s_delay_alu instid0(SALU_CYCLE_1) | instskip(SKIP_2) | instid1(VALU_DEP_3)
	v_dual_mov_b32 v19, 0 :: v_dual_add_nc_u32 v1, s8, v17
	v_lshrrev_b32_e32 v2, 16, v160
	v_cvt_f32_f16_e64 v20, v160
	v_mad_u32 v1, s0, v1, s31
	s_delay_alu instid0(VALU_DEP_3) | instskip(NEXT) | instid1(VALU_DEP_2)
	v_cvt_f32_f16_e32 v21, v2
	v_lshl_add_u32 v18, v1, 6, v62
	s_delay_alu instid0(VALU_DEP_2) | instskip(NEXT) | instid1(VALU_DEP_2)
	v_pk_mul_f32 v[20:21], v[0:1], v[20:21] op_sel_hi:[0,1]
	v_lshl_add_u64 v[18:19], v[18:19], 2, s[16:17]
	global_store_b64 v[18:19], v[20:21], off
	s_wait_xcnt 0x0
	s_and_saveexec_b32 s4, s3
	s_cbranch_execz .LBB0_30
; %bb.29:
	v_mov_b32_e32 v50, v3
	global_store_b64 v1, v[50:51], s[18:19] scale_offset
.LBB0_30:
	s_wait_xcnt 0x0
	s_or_b32 exec_lo, exec_lo, s4
	v_cmp_ne_u32_e32 vcc_lo, 1, v16
	v_mov_b32_e32 v0, 1.0
	s_cbranch_vccnz .LBB0_32
; %bb.31:
	v_div_scale_f32 v0, null, v48, v48, 1.0
	s_delay_alu instid0(VALU_DEP_1) | instskip(SKIP_1) | instid1(TRANS32_DEP_1)
	v_rcp_f32_e32 v1, v0
	v_nop
	v_fma_f32 v2, -v0, v1, 1.0
	s_delay_alu instid0(VALU_DEP_1) | instskip(SKIP_1) | instid1(VALU_DEP_1)
	v_fmac_f32_e32 v1, v2, v1
	v_div_scale_f32 v2, vcc_lo, 1.0, v48, 1.0
	v_mul_f32_e32 v3, v2, v1
	s_delay_alu instid0(VALU_DEP_1) | instskip(NEXT) | instid1(VALU_DEP_1)
	v_fma_f32 v18, -v0, v3, v2
	v_fmac_f32_e32 v3, v18, v1
	s_delay_alu instid0(VALU_DEP_1) | instskip(NEXT) | instid1(VALU_DEP_1)
	v_fma_f32 v0, -v0, v3, v2
	v_div_fmas_f32 v0, v0, v1, v3
	s_delay_alu instid0(VALU_DEP_1)
	v_div_fixup_f32 v0, v0, v48, 1.0
.LBB0_32:
	s_add_co_i32 s7, s2, 4
	s_delay_alu instid0(SALU_CYCLE_1) | instskip(SKIP_2) | instid1(VALU_DEP_3)
	v_dual_mov_b32 v3, 0 :: v_dual_add_nc_u32 v1, s7, v17
	v_lshrrev_b32_e32 v19, 16, v159
	v_cvt_f32_f16_e64 v18, v159
	v_mad_u32 v1, s0, v1, s31
	s_delay_alu instid0(VALU_DEP_3) | instskip(NEXT) | instid1(VALU_DEP_2)
	v_cvt_f32_f16_e32 v19, v19
	v_lshl_add_u32 v2, v1, 6, v62
	s_delay_alu instid0(VALU_DEP_2) | instskip(NEXT) | instid1(VALU_DEP_2)
	v_pk_mul_f32 v[18:19], v[0:1], v[18:19] op_sel_hi:[0,1]
	v_lshl_add_u64 v[2:3], v[2:3], 2, s[16:17]
	global_store_b64 v[2:3], v[18:19], off
	s_wait_xcnt 0x0
	s_and_saveexec_b32 s4, s3
	s_cbranch_execz .LBB0_34
; %bb.33:
	v_dual_mov_b32 v2, v4 :: v_dual_mov_b32 v3, v48
	global_store_b64 v1, v[2:3], s[18:19] scale_offset
.LBB0_34:
	s_wait_xcnt 0x0
	s_or_b32 exec_lo, exec_lo, s4
	v_cmp_ne_u32_e32 vcc_lo, 1, v16
	v_mov_b32_e32 v0, 1.0
	s_cbranch_vccnz .LBB0_36
; %bb.35:
	v_div_scale_f32 v0, null, v49, v49, 1.0
	s_delay_alu instid0(VALU_DEP_1) | instskip(SKIP_1) | instid1(TRANS32_DEP_1)
	v_rcp_f32_e32 v1, v0
	v_nop
	v_fma_f32 v2, -v0, v1, 1.0
	s_delay_alu instid0(VALU_DEP_1) | instskip(SKIP_1) | instid1(VALU_DEP_1)
	v_fmac_f32_e32 v1, v2, v1
	v_div_scale_f32 v2, vcc_lo, 1.0, v49, 1.0
	v_mul_f32_e32 v3, v2, v1
	s_delay_alu instid0(VALU_DEP_1) | instskip(NEXT) | instid1(VALU_DEP_1)
	v_fma_f32 v4, -v0, v3, v2
	v_fmac_f32_e32 v3, v4, v1
	s_delay_alu instid0(VALU_DEP_1) | instskip(NEXT) | instid1(VALU_DEP_1)
	v_fma_f32 v0, -v0, v3, v2
	v_div_fmas_f32 v0, v0, v1, v3
	s_delay_alu instid0(VALU_DEP_1)
	v_div_fixup_f32 v0, v0, v49, 1.0
.LBB0_36:
	s_add_co_i32 s6, s2, 5
	s_delay_alu instid0(SALU_CYCLE_1) | instskip(SKIP_2) | instid1(VALU_DEP_3)
	v_dual_mov_b32 v3, 0 :: v_dual_add_nc_u32 v1, s6, v17
	v_lshrrev_b32_e32 v4, 16, v158
	v_cvt_f32_f16_e64 v18, v158
	v_mad_u32 v1, s0, v1, s31
	s_delay_alu instid0(VALU_DEP_3) | instskip(NEXT) | instid1(VALU_DEP_2)
	v_cvt_f32_f16_e32 v19, v4
	v_lshl_add_u32 v2, v1, 6, v62
	s_delay_alu instid0(VALU_DEP_2) | instskip(NEXT) | instid1(VALU_DEP_2)
	v_pk_mul_f32 v[18:19], v[0:1], v[18:19] op_sel_hi:[0,1]
	v_lshl_add_u64 v[2:3], v[2:3], 2, s[16:17]
	global_store_b64 v[2:3], v[18:19], off
	s_wait_xcnt 0x0
	s_and_saveexec_b32 s4, s3
	s_cbranch_execz .LBB0_38
; %bb.37:
	v_mov_b32_e32 v48, v5
	global_store_b64 v1, v[48:49], s[18:19] scale_offset
.LBB0_38:
	s_wait_xcnt 0x0
	s_or_b32 exec_lo, exec_lo, s4
	v_cmp_ne_u32_e32 vcc_lo, 1, v16
	v_mov_b32_e32 v0, 1.0
	s_cbranch_vccnz .LBB0_40
; %bb.39:
	v_div_scale_f32 v0, null, v46, v46, 1.0
	s_delay_alu instid0(VALU_DEP_1) | instskip(SKIP_1) | instid1(TRANS32_DEP_1)
	v_rcp_f32_e32 v1, v0
	v_nop
	v_fma_f32 v2, -v0, v1, 1.0
	s_delay_alu instid0(VALU_DEP_1) | instskip(SKIP_1) | instid1(VALU_DEP_1)
	v_fmac_f32_e32 v1, v2, v1
	v_div_scale_f32 v2, vcc_lo, 1.0, v46, 1.0
	v_mul_f32_e32 v3, v2, v1
	s_delay_alu instid0(VALU_DEP_1) | instskip(NEXT) | instid1(VALU_DEP_1)
	v_fma_f32 v4, -v0, v3, v2
	v_fmac_f32_e32 v3, v4, v1
	s_delay_alu instid0(VALU_DEP_1) | instskip(NEXT) | instid1(VALU_DEP_1)
	v_fma_f32 v0, -v0, v3, v2
	v_div_fmas_f32 v0, v0, v1, v3
	s_delay_alu instid0(VALU_DEP_1)
	v_div_fixup_f32 v0, v0, v46, 1.0
.LBB0_40:
	s_add_co_i32 s5, s2, 6
	v_lshrrev_b32_e32 v5, 16, v157
	v_dual_add_nc_u32 v1, s5, v17 :: v_dual_mov_b32 v3, 0
	v_cvt_f32_f16_e64 v4, v157
	s_delay_alu instid0(VALU_DEP_3) | instskip(NEXT) | instid1(VALU_DEP_3)
	v_cvt_f32_f16_e32 v5, v5
	v_mad_u32 v1, s0, v1, s31
	s_delay_alu instid0(VALU_DEP_1) | instskip(NEXT) | instid1(VALU_DEP_3)
	v_lshl_add_u32 v2, v1, 6, v62
	v_pk_mul_f32 v[4:5], v[0:1], v[4:5] op_sel_hi:[0,1]
	s_delay_alu instid0(VALU_DEP_2)
	v_lshl_add_u64 v[2:3], v[2:3], 2, s[16:17]
	global_store_b64 v[2:3], v[4:5], off
	s_wait_xcnt 0x0
	s_and_saveexec_b32 s4, s3
	s_cbranch_execz .LBB0_42
; %bb.41:
	v_dual_mov_b32 v2, v6 :: v_dual_mov_b32 v3, v46
	global_store_b64 v1, v[2:3], s[18:19] scale_offset
.LBB0_42:
	s_wait_xcnt 0x0
	s_or_b32 exec_lo, exec_lo, s4
	v_cmp_ne_u32_e32 vcc_lo, 1, v16
	v_mov_b32_e32 v0, 1.0
	s_cbranch_vccnz .LBB0_44
; %bb.43:
	v_div_scale_f32 v0, null, v47, v47, 1.0
	s_delay_alu instid0(VALU_DEP_1) | instskip(SKIP_1) | instid1(TRANS32_DEP_1)
	v_rcp_f32_e32 v1, v0
	v_nop
	v_fma_f32 v2, -v0, v1, 1.0
	s_delay_alu instid0(VALU_DEP_1) | instskip(SKIP_1) | instid1(VALU_DEP_1)
	v_fmac_f32_e32 v1, v2, v1
	v_div_scale_f32 v2, vcc_lo, 1.0, v47, 1.0
	v_mul_f32_e32 v3, v2, v1
	s_delay_alu instid0(VALU_DEP_1) | instskip(NEXT) | instid1(VALU_DEP_1)
	v_fma_f32 v4, -v0, v3, v2
	v_fmac_f32_e32 v3, v4, v1
	s_delay_alu instid0(VALU_DEP_1) | instskip(NEXT) | instid1(VALU_DEP_1)
	v_fma_f32 v0, -v0, v3, v2
	v_div_fmas_f32 v0, v0, v1, v3
	s_delay_alu instid0(VALU_DEP_1)
	v_div_fixup_f32 v0, v0, v47, 1.0
.LBB0_44:
	s_add_co_i32 s4, s2, 7
	s_delay_alu instid0(SALU_CYCLE_1) | instskip(SKIP_2) | instid1(VALU_DEP_3)
	v_dual_mov_b32 v3, 0 :: v_dual_add_nc_u32 v1, s4, v17
	v_lshrrev_b32_e32 v5, 16, v156
	v_cvt_f32_f16_e64 v4, v156
	v_mad_u32 v1, s0, v1, s31
	s_delay_alu instid0(VALU_DEP_3) | instskip(NEXT) | instid1(VALU_DEP_2)
	v_cvt_f32_f16_e32 v5, v5
	v_lshl_add_u32 v2, v1, 6, v62
	s_delay_alu instid0(VALU_DEP_2) | instskip(NEXT) | instid1(VALU_DEP_2)
	v_pk_mul_f32 v[4:5], v[0:1], v[4:5] op_sel_hi:[0,1]
	v_lshl_add_u64 v[2:3], v[2:3], 2, s[16:17]
	global_store_b64 v[2:3], v[4:5], off
	s_wait_xcnt 0x0
	s_and_saveexec_b32 s11, s3
	s_cbranch_execz .LBB0_46
; %bb.45:
	v_mov_b32_e32 v46, v7
	global_store_b64 v1, v[46:47], s[18:19] scale_offset
.LBB0_46:
	s_wait_xcnt 0x0
	s_or_b32 exec_lo, exec_lo, s11
	v_cmp_gt_i32_e32 vcc_lo, s22, v169
	s_and_b32 exec_lo, exec_lo, vcc_lo
	s_cbranch_execz .LBB0_86
; %bb.47:
	v_cmp_ne_u32_e32 vcc_lo, 1, v16
	v_mov_b32_e32 v0, 1.0
	s_cbranch_vccnz .LBB0_49
; %bb.48:
	v_div_scale_f32 v0, null, v44, v44, 1.0
	s_delay_alu instid0(VALU_DEP_1) | instskip(SKIP_1) | instid1(TRANS32_DEP_1)
	v_rcp_f32_e32 v1, v0
	v_nop
	v_fma_f32 v2, -v0, v1, 1.0
	s_delay_alu instid0(VALU_DEP_1) | instskip(SKIP_1) | instid1(VALU_DEP_1)
	v_fmac_f32_e32 v1, v2, v1
	v_div_scale_f32 v2, vcc_lo, 1.0, v44, 1.0
	v_mul_f32_e32 v3, v2, v1
	s_delay_alu instid0(VALU_DEP_1) | instskip(NEXT) | instid1(VALU_DEP_1)
	v_fma_f32 v4, -v0, v3, v2
	v_fmac_f32_e32 v3, v4, v1
	s_delay_alu instid0(VALU_DEP_1) | instskip(NEXT) | instid1(VALU_DEP_1)
	v_fma_f32 v0, -v0, v3, v2
	v_div_fmas_f32 v0, v0, v1, v3
	s_delay_alu instid0(VALU_DEP_1)
	v_div_fixup_f32 v0, v0, v44, 1.0
.LBB0_49:
	v_dual_add_nc_u32 v1, s1, v168 :: v_dual_lshrrev_b32 v5, 16, v155
	v_mov_b32_e32 v3, 0
	v_cvt_f32_f16_e64 v4, v155
	s_delay_alu instid0(VALU_DEP_3) | instskip(NEXT) | instid1(VALU_DEP_4)
	v_mad_u32 v1, v1, s23, s2
	v_cvt_f32_f16_e32 v5, v5
	s_delay_alu instid0(VALU_DEP_2) | instskip(NEXT) | instid1(VALU_DEP_1)
	v_mad_u32 v1, s0, v1, s31
	v_lshl_add_u32 v2, v1, 6, v62
	s_delay_alu instid0(VALU_DEP_3) | instskip(NEXT) | instid1(VALU_DEP_2)
	v_pk_mul_f32 v[4:5], v[0:1], v[4:5] op_sel_hi:[0,1]
	v_lshl_add_u64 v[2:3], v[2:3], 2, s[16:17]
	global_store_b64 v[2:3], v[4:5], off
	s_wait_xcnt 0x0
	s_and_saveexec_b32 s2, s3
	s_cbranch_execz .LBB0_51
; %bb.50:
	v_dual_mov_b32 v2, v8 :: v_dual_mov_b32 v3, v44
	global_store_b64 v1, v[2:3], s[18:19] scale_offset
.LBB0_51:
	s_wait_xcnt 0x0
	s_or_b32 exec_lo, exec_lo, s2
	v_cmp_gt_i32_e32 vcc_lo, s22, v167
	s_and_b32 exec_lo, exec_lo, vcc_lo
	s_cbranch_execz .LBB0_86
; %bb.52:
	v_cmp_ne_u32_e32 vcc_lo, 1, v16
	v_mov_b32_e32 v0, 1.0
	s_cbranch_vccnz .LBB0_54
; %bb.53:
	v_div_scale_f32 v0, null, v45, v45, 1.0
	s_delay_alu instid0(VALU_DEP_1) | instskip(SKIP_1) | instid1(TRANS32_DEP_1)
	v_rcp_f32_e32 v1, v0
	v_nop
	v_fma_f32 v2, -v0, v1, 1.0
	s_delay_alu instid0(VALU_DEP_1) | instskip(SKIP_1) | instid1(VALU_DEP_1)
	v_fmac_f32_e32 v1, v2, v1
	v_div_scale_f32 v2, vcc_lo, 1.0, v45, 1.0
	v_mul_f32_e32 v3, v2, v1
	s_delay_alu instid0(VALU_DEP_1) | instskip(NEXT) | instid1(VALU_DEP_1)
	v_fma_f32 v4, -v0, v3, v2
	v_fmac_f32_e32 v3, v4, v1
	s_delay_alu instid0(VALU_DEP_1) | instskip(NEXT) | instid1(VALU_DEP_1)
	v_fma_f32 v0, -v0, v3, v2
	v_div_fmas_f32 v0, v0, v1, v3
	s_delay_alu instid0(VALU_DEP_1)
	v_div_fixup_f32 v0, v0, v45, 1.0
.LBB0_54:
	v_dual_add_nc_u32 v1, s1, v166 :: v_dual_mov_b32 v3, 0
	v_lshrrev_b32_e32 v5, 16, v154
	v_cvt_f32_f16_e64 v4, v154
	s_delay_alu instid0(VALU_DEP_3) | instskip(NEXT) | instid1(VALU_DEP_3)
	v_mad_u32 v1, v1, s23, s10
	v_cvt_f32_f16_e32 v5, v5
	s_delay_alu instid0(VALU_DEP_2) | instskip(NEXT) | instid1(VALU_DEP_1)
	v_mad_u32 v1, s0, v1, s31
	v_lshl_add_u32 v2, v1, 6, v62
	s_delay_alu instid0(VALU_DEP_3) | instskip(NEXT) | instid1(VALU_DEP_2)
	v_pk_mul_f32 v[4:5], v[0:1], v[4:5] op_sel_hi:[0,1]
	v_lshl_add_u64 v[2:3], v[2:3], 2, s[16:17]
	global_store_b64 v[2:3], v[4:5], off
	s_wait_xcnt 0x0
	s_and_saveexec_b32 s2, s3
	s_cbranch_execz .LBB0_56
; %bb.55:
	v_mov_b32_e32 v44, v9
	global_store_b64 v1, v[44:45], s[18:19] scale_offset
.LBB0_56:
	s_wait_xcnt 0x0
	s_or_b32 exec_lo, exec_lo, s2
	v_cmp_gt_i32_e32 vcc_lo, s22, v165
	s_and_b32 exec_lo, exec_lo, vcc_lo
	s_cbranch_execz .LBB0_86
; %bb.57:
	v_cmp_ne_u32_e32 vcc_lo, 1, v16
	v_mov_b32_e32 v0, 1.0
	s_cbranch_vccnz .LBB0_59
; %bb.58:
	v_div_scale_f32 v0, null, v42, v42, 1.0
	s_delay_alu instid0(VALU_DEP_1) | instskip(SKIP_1) | instid1(TRANS32_DEP_1)
	v_rcp_f32_e32 v1, v0
	v_nop
	v_fma_f32 v2, -v0, v1, 1.0
	s_delay_alu instid0(VALU_DEP_1) | instskip(SKIP_1) | instid1(VALU_DEP_1)
	v_fmac_f32_e32 v1, v2, v1
	v_div_scale_f32 v2, vcc_lo, 1.0, v42, 1.0
	v_mul_f32_e32 v3, v2, v1
	s_delay_alu instid0(VALU_DEP_1) | instskip(NEXT) | instid1(VALU_DEP_1)
	v_fma_f32 v4, -v0, v3, v2
	v_fmac_f32_e32 v3, v4, v1
	s_delay_alu instid0(VALU_DEP_1) | instskip(NEXT) | instid1(VALU_DEP_1)
	v_fma_f32 v0, -v0, v3, v2
	v_div_fmas_f32 v0, v0, v1, v3
	s_delay_alu instid0(VALU_DEP_1)
	v_div_fixup_f32 v0, v0, v42, 1.0
.LBB0_59:
	v_dual_add_nc_u32 v1, s1, v164 :: v_dual_lshrrev_b32 v5, 16, v153
	v_mov_b32_e32 v3, 0
	v_cvt_f32_f16_e64 v4, v153
	s_delay_alu instid0(VALU_DEP_3) | instskip(NEXT) | instid1(VALU_DEP_4)
	v_mad_u32 v1, v1, s23, s9
	v_cvt_f32_f16_e32 v5, v5
	s_delay_alu instid0(VALU_DEP_2) | instskip(NEXT) | instid1(VALU_DEP_1)
	v_mad_u32 v1, s0, v1, s31
	v_lshl_add_u32 v2, v1, 6, v62
	s_delay_alu instid0(VALU_DEP_3) | instskip(NEXT) | instid1(VALU_DEP_2)
	v_pk_mul_f32 v[4:5], v[0:1], v[4:5] op_sel_hi:[0,1]
	v_lshl_add_u64 v[2:3], v[2:3], 2, s[16:17]
	global_store_b64 v[2:3], v[4:5], off
	s_wait_xcnt 0x0
	s_and_saveexec_b32 s2, s3
	s_cbranch_execz .LBB0_61
; %bb.60:
	v_dual_mov_b32 v2, v10 :: v_dual_mov_b32 v3, v42
	global_store_b64 v1, v[2:3], s[18:19] scale_offset
.LBB0_61:
	s_wait_xcnt 0x0
	s_or_b32 exec_lo, exec_lo, s2
	v_cmp_gt_i32_e32 vcc_lo, s22, v147
	s_and_b32 exec_lo, exec_lo, vcc_lo
	s_cbranch_execz .LBB0_86
; %bb.62:
	v_cmp_ne_u32_e32 vcc_lo, 1, v16
	v_mov_b32_e32 v0, 1.0
	s_cbranch_vccnz .LBB0_64
; %bb.63:
	v_div_scale_f32 v0, null, v43, v43, 1.0
	s_delay_alu instid0(VALU_DEP_1) | instskip(SKIP_1) | instid1(TRANS32_DEP_1)
	v_rcp_f32_e32 v1, v0
	v_nop
	v_fma_f32 v2, -v0, v1, 1.0
	s_delay_alu instid0(VALU_DEP_1) | instskip(SKIP_1) | instid1(VALU_DEP_1)
	v_fmac_f32_e32 v1, v2, v1
	v_div_scale_f32 v2, vcc_lo, 1.0, v43, 1.0
	v_mul_f32_e32 v3, v2, v1
	s_delay_alu instid0(VALU_DEP_1) | instskip(NEXT) | instid1(VALU_DEP_1)
	v_fma_f32 v4, -v0, v3, v2
	v_fmac_f32_e32 v3, v4, v1
	s_delay_alu instid0(VALU_DEP_1) | instskip(NEXT) | instid1(VALU_DEP_1)
	v_fma_f32 v0, -v0, v3, v2
	v_div_fmas_f32 v0, v0, v1, v3
	s_delay_alu instid0(VALU_DEP_1)
	v_div_fixup_f32 v0, v0, v43, 1.0
.LBB0_64:
	v_dual_add_nc_u32 v1, s1, v146 :: v_dual_lshrrev_b32 v5, 16, v152
	v_mov_b32_e32 v3, 0
	v_cvt_f32_f16_e64 v4, v152
	s_delay_alu instid0(VALU_DEP_3) | instskip(NEXT) | instid1(VALU_DEP_4)
	v_mad_u32 v1, v1, s23, s8
	v_cvt_f32_f16_e32 v5, v5
	s_delay_alu instid0(VALU_DEP_2) | instskip(NEXT) | instid1(VALU_DEP_1)
	v_mad_u32 v1, s0, v1, s31
	v_lshl_add_u32 v2, v1, 6, v62
	s_delay_alu instid0(VALU_DEP_3) | instskip(NEXT) | instid1(VALU_DEP_2)
	v_pk_mul_f32 v[4:5], v[0:1], v[4:5] op_sel_hi:[0,1]
	v_lshl_add_u64 v[2:3], v[2:3], 2, s[16:17]
	global_store_b64 v[2:3], v[4:5], off
	s_wait_xcnt 0x0
	s_and_saveexec_b32 s2, s3
	s_cbranch_execz .LBB0_66
; %bb.65:
	v_mov_b32_e32 v42, v11
	global_store_b64 v1, v[42:43], s[18:19] scale_offset
.LBB0_66:
	s_wait_xcnt 0x0
	s_or_b32 exec_lo, exec_lo, s2
	v_cmp_gt_i32_e32 vcc_lo, s22, v145
	s_and_b32 exec_lo, exec_lo, vcc_lo
	s_cbranch_execz .LBB0_86
; %bb.67:
	v_cmp_ne_u32_e32 vcc_lo, 1, v16
	v_mov_b32_e32 v0, 1.0
	s_cbranch_vccnz .LBB0_69
; %bb.68:
	v_div_scale_f32 v0, null, v40, v40, 1.0
	s_delay_alu instid0(VALU_DEP_1) | instskip(SKIP_1) | instid1(TRANS32_DEP_1)
	v_rcp_f32_e32 v1, v0
	v_nop
	v_fma_f32 v2, -v0, v1, 1.0
	s_delay_alu instid0(VALU_DEP_1) | instskip(SKIP_1) | instid1(VALU_DEP_1)
	v_fmac_f32_e32 v1, v2, v1
	v_div_scale_f32 v2, vcc_lo, 1.0, v40, 1.0
	v_mul_f32_e32 v3, v2, v1
	s_delay_alu instid0(VALU_DEP_1) | instskip(NEXT) | instid1(VALU_DEP_1)
	v_fma_f32 v4, -v0, v3, v2
	v_fmac_f32_e32 v3, v4, v1
	s_delay_alu instid0(VALU_DEP_1) | instskip(NEXT) | instid1(VALU_DEP_1)
	v_fma_f32 v0, -v0, v3, v2
	v_div_fmas_f32 v0, v0, v1, v3
	s_delay_alu instid0(VALU_DEP_1)
	v_div_fixup_f32 v0, v0, v40, 1.0
.LBB0_69:
	v_dual_add_nc_u32 v1, s1, v144 :: v_dual_lshrrev_b32 v5, 16, v151
	v_mov_b32_e32 v3, 0
	v_cvt_f32_f16_e64 v4, v151
	s_delay_alu instid0(VALU_DEP_3) | instskip(NEXT) | instid1(VALU_DEP_4)
	v_mad_u32 v1, v1, s23, s7
	v_cvt_f32_f16_e32 v5, v5
	s_delay_alu instid0(VALU_DEP_2) | instskip(NEXT) | instid1(VALU_DEP_1)
	v_mad_u32 v1, s0, v1, s31
	v_lshl_add_u32 v2, v1, 6, v62
	s_delay_alu instid0(VALU_DEP_3) | instskip(NEXT) | instid1(VALU_DEP_2)
	v_pk_mul_f32 v[4:5], v[0:1], v[4:5] op_sel_hi:[0,1]
	v_lshl_add_u64 v[2:3], v[2:3], 2, s[16:17]
	global_store_b64 v[2:3], v[4:5], off
	s_wait_xcnt 0x0
	s_and_saveexec_b32 s2, s3
	s_cbranch_execz .LBB0_71
; %bb.70:
	v_dual_mov_b32 v2, v12 :: v_dual_mov_b32 v3, v40
	global_store_b64 v1, v[2:3], s[18:19] scale_offset
.LBB0_71:
	s_wait_xcnt 0x0
	s_or_b32 exec_lo, exec_lo, s2
	v_cmp_gt_i32_e32 vcc_lo, s22, v143
	s_and_b32 exec_lo, exec_lo, vcc_lo
	s_cbranch_execz .LBB0_86
; %bb.72:
	v_cmp_ne_u32_e32 vcc_lo, 1, v16
	v_mov_b32_e32 v0, 1.0
	s_cbranch_vccnz .LBB0_74
; %bb.73:
	v_div_scale_f32 v0, null, v41, v41, 1.0
	s_delay_alu instid0(VALU_DEP_1) | instskip(SKIP_1) | instid1(TRANS32_DEP_1)
	v_rcp_f32_e32 v1, v0
	v_nop
	v_fma_f32 v2, -v0, v1, 1.0
	s_delay_alu instid0(VALU_DEP_1) | instskip(SKIP_1) | instid1(VALU_DEP_1)
	v_fmac_f32_e32 v1, v2, v1
	v_div_scale_f32 v2, vcc_lo, 1.0, v41, 1.0
	v_mul_f32_e32 v3, v2, v1
	s_delay_alu instid0(VALU_DEP_1) | instskip(NEXT) | instid1(VALU_DEP_1)
	v_fma_f32 v4, -v0, v3, v2
	v_fmac_f32_e32 v3, v4, v1
	s_delay_alu instid0(VALU_DEP_1) | instskip(NEXT) | instid1(VALU_DEP_1)
	v_fma_f32 v0, -v0, v3, v2
	v_div_fmas_f32 v0, v0, v1, v3
	s_delay_alu instid0(VALU_DEP_1)
	v_div_fixup_f32 v0, v0, v41, 1.0
.LBB0_74:
	v_dual_add_nc_u32 v1, s1, v142 :: v_dual_mov_b32 v3, 0
	v_lshrrev_b32_e32 v5, 16, v150
	v_cvt_f32_f16_e64 v4, v150
	s_delay_alu instid0(VALU_DEP_3) | instskip(NEXT) | instid1(VALU_DEP_3)
	v_mad_u32 v1, v1, s23, s6
	v_cvt_f32_f16_e32 v5, v5
	s_delay_alu instid0(VALU_DEP_2) | instskip(NEXT) | instid1(VALU_DEP_1)
	v_mad_u32 v1, s0, v1, s31
	v_lshl_add_u32 v2, v1, 6, v62
	s_delay_alu instid0(VALU_DEP_3) | instskip(NEXT) | instid1(VALU_DEP_2)
	v_pk_mul_f32 v[4:5], v[0:1], v[4:5] op_sel_hi:[0,1]
	v_lshl_add_u64 v[2:3], v[2:3], 2, s[16:17]
	global_store_b64 v[2:3], v[4:5], off
	s_wait_xcnt 0x0
	s_and_saveexec_b32 s2, s3
	s_cbranch_execz .LBB0_76
; %bb.75:
	v_mov_b32_e32 v40, v13
	global_store_b64 v1, v[40:41], s[18:19] scale_offset
.LBB0_76:
	s_wait_xcnt 0x0
	s_or_b32 exec_lo, exec_lo, s2
	v_cmp_gt_i32_e32 vcc_lo, s22, v141
	s_and_b32 exec_lo, exec_lo, vcc_lo
	s_cbranch_execz .LBB0_86
; %bb.77:
	v_cmp_ne_u32_e32 vcc_lo, 1, v16
	v_mov_b32_e32 v0, 1.0
	s_cbranch_vccnz .LBB0_79
; %bb.78:
	v_div_scale_f32 v0, null, v38, v38, 1.0
	s_delay_alu instid0(VALU_DEP_1) | instskip(SKIP_1) | instid1(TRANS32_DEP_1)
	v_rcp_f32_e32 v1, v0
	v_nop
	v_fma_f32 v2, -v0, v1, 1.0
	s_delay_alu instid0(VALU_DEP_1) | instskip(SKIP_1) | instid1(VALU_DEP_1)
	v_fmac_f32_e32 v1, v2, v1
	v_div_scale_f32 v2, vcc_lo, 1.0, v38, 1.0
	v_mul_f32_e32 v3, v2, v1
	s_delay_alu instid0(VALU_DEP_1) | instskip(NEXT) | instid1(VALU_DEP_1)
	v_fma_f32 v4, -v0, v3, v2
	v_fmac_f32_e32 v3, v4, v1
	s_delay_alu instid0(VALU_DEP_1) | instskip(NEXT) | instid1(VALU_DEP_1)
	v_fma_f32 v0, -v0, v3, v2
	v_div_fmas_f32 v0, v0, v1, v3
	s_delay_alu instid0(VALU_DEP_1)
	v_div_fixup_f32 v0, v0, v38, 1.0
.LBB0_79:
	v_dual_add_nc_u32 v1, s1, v140 :: v_dual_lshrrev_b32 v5, 16, v149
	v_mov_b32_e32 v3, 0
	v_cvt_f32_f16_e64 v4, v149
	s_delay_alu instid0(VALU_DEP_3) | instskip(NEXT) | instid1(VALU_DEP_4)
	v_mad_u32 v1, v1, s23, s5
	v_cvt_f32_f16_e32 v5, v5
	s_delay_alu instid0(VALU_DEP_2) | instskip(NEXT) | instid1(VALU_DEP_1)
	v_mad_u32 v1, s0, v1, s31
	v_lshl_add_u32 v2, v1, 6, v62
	s_delay_alu instid0(VALU_DEP_3) | instskip(NEXT) | instid1(VALU_DEP_2)
	v_pk_mul_f32 v[4:5], v[0:1], v[4:5] op_sel_hi:[0,1]
	v_lshl_add_u64 v[2:3], v[2:3], 2, s[16:17]
	global_store_b64 v[2:3], v[4:5], off
	s_wait_xcnt 0x0
	s_and_saveexec_b32 s2, s3
	s_cbranch_execz .LBB0_81
; %bb.80:
	v_dual_mov_b32 v2, v14 :: v_dual_mov_b32 v3, v38
	global_store_b64 v1, v[2:3], s[18:19] scale_offset
.LBB0_81:
	s_wait_xcnt 0x0
	s_or_b32 exec_lo, exec_lo, s2
	v_cmp_gt_i32_e32 vcc_lo, s22, v139
	s_and_b32 exec_lo, exec_lo, vcc_lo
	s_cbranch_execz .LBB0_86
; %bb.82:
	v_cmp_ne_u32_e32 vcc_lo, 1, v16
	v_mov_b32_e32 v0, 1.0
	s_cbranch_vccnz .LBB0_84
; %bb.83:
	v_div_scale_f32 v0, null, v39, v39, 1.0
	s_delay_alu instid0(VALU_DEP_1) | instskip(SKIP_1) | instid1(TRANS32_DEP_1)
	v_rcp_f32_e32 v1, v0
	v_nop
	v_fma_f32 v2, -v0, v1, 1.0
	s_delay_alu instid0(VALU_DEP_1) | instskip(SKIP_1) | instid1(VALU_DEP_1)
	v_fmac_f32_e32 v1, v2, v1
	v_div_scale_f32 v2, vcc_lo, 1.0, v39, 1.0
	v_mul_f32_e32 v3, v2, v1
	s_delay_alu instid0(VALU_DEP_1) | instskip(NEXT) | instid1(VALU_DEP_1)
	v_fma_f32 v4, -v0, v3, v2
	v_fmac_f32_e32 v3, v4, v1
	s_delay_alu instid0(VALU_DEP_1) | instskip(NEXT) | instid1(VALU_DEP_1)
	v_fma_f32 v0, -v0, v3, v2
	v_div_fmas_f32 v0, v0, v1, v3
	s_delay_alu instid0(VALU_DEP_1)
	v_div_fixup_f32 v0, v0, v39, 1.0
.LBB0_84:
	v_dual_add_nc_u32 v1, s1, v138 :: v_dual_lshrrev_b32 v5, 16, v148
	v_mov_b32_e32 v3, 0
	v_cvt_f32_f16_e64 v4, v148
	s_delay_alu instid0(VALU_DEP_3) | instskip(NEXT) | instid1(VALU_DEP_4)
	v_mad_u32 v1, v1, s23, s4
	v_cvt_f32_f16_e32 v5, v5
	s_delay_alu instid0(VALU_DEP_2) | instskip(NEXT) | instid1(VALU_DEP_1)
	v_mad_u32 v1, s0, v1, s31
	v_lshl_add_u32 v2, v1, 6, v62
	s_delay_alu instid0(VALU_DEP_3) | instskip(NEXT) | instid1(VALU_DEP_2)
	v_pk_mul_f32 v[4:5], v[0:1], v[4:5] op_sel_hi:[0,1]
	v_lshl_add_u64 v[2:3], v[2:3], 2, s[16:17]
	global_store_b64 v[2:3], v[4:5], off
	s_wait_xcnt 0x0
	s_and_b32 exec_lo, exec_lo, s3
	s_cbranch_execz .LBB0_86
; %bb.85:
	v_mov_b32_e32 v38, v15
	global_store_b64 v1, v[38:39], s[18:19] scale_offset
.LBB0_86:
	s_sendmsg sendmsg(MSG_DEALLOC_VGPRS)
	s_endpgm
	.section	.rodata,"a",@progbits
	.p2align	6, 0x0
	.amdhsa_kernel _ZL15flash_attn_tileILi64ELi64ELi8ELi8ELb0EEvPKcS1_S1_S1_S1_PKiPfP15HIP_vector_typeIfLj2EEffffjfiS5_IjLj3EEiiiiiiiiiiiliiliiiiil
		.amdhsa_group_segment_fixed_size 25600
		.amdhsa_private_segment_fixed_size 80
		.amdhsa_kernarg_size 464
		.amdhsa_user_sgpr_count 2
		.amdhsa_user_sgpr_dispatch_ptr 0
		.amdhsa_user_sgpr_queue_ptr 0
		.amdhsa_user_sgpr_kernarg_segment_ptr 1
		.amdhsa_user_sgpr_dispatch_id 0
		.amdhsa_user_sgpr_kernarg_preload_length 0
		.amdhsa_user_sgpr_kernarg_preload_offset 0
		.amdhsa_user_sgpr_private_segment_size 0
		.amdhsa_wavefront_size32 1
		.amdhsa_uses_dynamic_stack 0
		.amdhsa_enable_private_segment 1
		.amdhsa_system_sgpr_workgroup_id_x 1
		.amdhsa_system_sgpr_workgroup_id_y 1
		.amdhsa_system_sgpr_workgroup_id_z 1
		.amdhsa_system_sgpr_workgroup_info 0
		.amdhsa_system_vgpr_workitem_id 1
		.amdhsa_next_free_vgpr 192
		.amdhsa_next_free_sgpr 50
		.amdhsa_named_barrier_count 0
		.amdhsa_reserve_vcc 1
		.amdhsa_float_round_mode_32 0
		.amdhsa_float_round_mode_16_64 0
		.amdhsa_float_denorm_mode_32 3
		.amdhsa_float_denorm_mode_16_64 3
		.amdhsa_fp16_overflow 0
		.amdhsa_memory_ordered 1
		.amdhsa_forward_progress 1
		.amdhsa_inst_pref_size 255
		.amdhsa_round_robin_scheduling 0
		.amdhsa_exception_fp_ieee_invalid_op 0
		.amdhsa_exception_fp_denorm_src 0
		.amdhsa_exception_fp_ieee_div_zero 0
		.amdhsa_exception_fp_ieee_overflow 0
		.amdhsa_exception_fp_ieee_underflow 0
		.amdhsa_exception_fp_ieee_inexact 0
		.amdhsa_exception_int_div_zero 0
	.end_amdhsa_kernel
	.section	.text._ZL15flash_attn_tileILi64ELi64ELi8ELi8ELb0EEvPKcS1_S1_S1_S1_PKiPfP15HIP_vector_typeIfLj2EEffffjfiS5_IjLj3EEiiiiiiiiiiiliiliiiiil,"axG",@progbits,_ZL15flash_attn_tileILi64ELi64ELi8ELi8ELb0EEvPKcS1_S1_S1_S1_PKiPfP15HIP_vector_typeIfLj2EEffffjfiS5_IjLj3EEiiiiiiiiiiiliiliiiiil,comdat
.Lfunc_end0:
	.size	_ZL15flash_attn_tileILi64ELi64ELi8ELi8ELb0EEvPKcS1_S1_S1_S1_PKiPfP15HIP_vector_typeIfLj2EEffffjfiS5_IjLj3EEiiiiiiiiiiiliiliiiiil, .Lfunc_end0-_ZL15flash_attn_tileILi64ELi64ELi8ELi8ELb0EEvPKcS1_S1_S1_S1_PKiPfP15HIP_vector_typeIfLj2EEffffjfiS5_IjLj3EEiiiiiiiiiiiliiliiiiil
                                        ; -- End function
	.set _ZL15flash_attn_tileILi64ELi64ELi8ELi8ELb0EEvPKcS1_S1_S1_S1_PKiPfP15HIP_vector_typeIfLj2EEffffjfiS5_IjLj3EEiiiiiiiiiiiliiliiiiil.num_vgpr, 192
	.set _ZL15flash_attn_tileILi64ELi64ELi8ELi8ELb0EEvPKcS1_S1_S1_S1_PKiPfP15HIP_vector_typeIfLj2EEffffjfiS5_IjLj3EEiiiiiiiiiiiliiliiiiil.num_agpr, 0
	.set _ZL15flash_attn_tileILi64ELi64ELi8ELi8ELb0EEvPKcS1_S1_S1_S1_PKiPfP15HIP_vector_typeIfLj2EEffffjfiS5_IjLj3EEiiiiiiiiiiiliiliiiiil.numbered_sgpr, 50
	.set _ZL15flash_attn_tileILi64ELi64ELi8ELi8ELb0EEvPKcS1_S1_S1_S1_PKiPfP15HIP_vector_typeIfLj2EEffffjfiS5_IjLj3EEiiiiiiiiiiiliiliiiiil.num_named_barrier, 0
	.set _ZL15flash_attn_tileILi64ELi64ELi8ELi8ELb0EEvPKcS1_S1_S1_S1_PKiPfP15HIP_vector_typeIfLj2EEffffjfiS5_IjLj3EEiiiiiiiiiiiliiliiiiil.private_seg_size, 80
	.set _ZL15flash_attn_tileILi64ELi64ELi8ELi8ELb0EEvPKcS1_S1_S1_S1_PKiPfP15HIP_vector_typeIfLj2EEffffjfiS5_IjLj3EEiiiiiiiiiiiliiliiiiil.uses_vcc, 1
	.set _ZL15flash_attn_tileILi64ELi64ELi8ELi8ELb0EEvPKcS1_S1_S1_S1_PKiPfP15HIP_vector_typeIfLj2EEffffjfiS5_IjLj3EEiiiiiiiiiiiliiliiiiil.uses_flat_scratch, 1
	.set _ZL15flash_attn_tileILi64ELi64ELi8ELi8ELb0EEvPKcS1_S1_S1_S1_PKiPfP15HIP_vector_typeIfLj2EEffffjfiS5_IjLj3EEiiiiiiiiiiiliiliiiiil.has_dyn_sized_stack, 0
	.set _ZL15flash_attn_tileILi64ELi64ELi8ELi8ELb0EEvPKcS1_S1_S1_S1_PKiPfP15HIP_vector_typeIfLj2EEffffjfiS5_IjLj3EEiiiiiiiiiiiliiliiiiil.has_recursion, 0
	.set _ZL15flash_attn_tileILi64ELi64ELi8ELi8ELb0EEvPKcS1_S1_S1_S1_PKiPfP15HIP_vector_typeIfLj2EEffffjfiS5_IjLj3EEiiiiiiiiiiiliiliiiiil.has_indirect_call, 0
	.section	.AMDGPU.csdata,"",@progbits
; Kernel info:
; codeLenInByte = 50100
; TotalNumSgprs: 52
; NumVgprs: 192
; ScratchSize: 80
; MemoryBound: 0
; FloatMode: 240
; IeeeMode: 1
; LDSByteSize: 25600 bytes/workgroup (compile time only)
; SGPRBlocks: 0
; VGPRBlocks: 11
; NumSGPRsForWavesPerEU: 52
; NumVGPRsForWavesPerEU: 192
; NamedBarCnt: 0
; Occupancy: 5
; WaveLimiterHint : 0
; COMPUTE_PGM_RSRC2:SCRATCH_EN: 1
; COMPUTE_PGM_RSRC2:USER_SGPR: 2
; COMPUTE_PGM_RSRC2:TRAP_HANDLER: 0
; COMPUTE_PGM_RSRC2:TGID_X_EN: 1
; COMPUTE_PGM_RSRC2:TGID_Y_EN: 1
; COMPUTE_PGM_RSRC2:TGID_Z_EN: 1
; COMPUTE_PGM_RSRC2:TIDIG_COMP_CNT: 1
	.section	.text._ZL25flash_attn_mask_to_KV_maxILi8EEvPK7__half2Piiii,"axG",@progbits,_ZL25flash_attn_mask_to_KV_maxILi8EEvPK7__half2Piiii,comdat
	.globl	_ZL25flash_attn_mask_to_KV_maxILi8EEvPK7__half2Piiii ; -- Begin function _ZL25flash_attn_mask_to_KV_maxILi8EEvPK7__half2Piiii
	.p2align	8
	.type	_ZL25flash_attn_mask_to_KV_maxILi8EEvPK7__half2Piiii,@function
_ZL25flash_attn_mask_to_KV_maxILi8EEvPK7__half2Piiii: ; @_ZL25flash_attn_mask_to_KV_maxILi8EEvPK7__half2Piiii
; %bb.0:
	s_load_b128 s[4:7], s[0:1], 0x0
	s_mov_b32 s2, exec_lo
	v_cmpx_gt_u32_e32 32, v0
; %bb.1:
	v_dual_mov_b32 v2, 1 :: v_dual_lshlrev_b32 v1, 2, v0
	ds_store_b32 v1, v2
; %bb.2:
	s_or_b32 exec_lo, exec_lo, s2
	s_clause 0x1
	s_load_b96 s[8:10], s[0:1], 0x10
	s_load_b32 s11, s[0:1], 0x20
	s_wait_xcnt 0x0
	s_bfe_u32 s1, ttmp6, 0x4000c
	s_bfe_u32 s2, ttmp6, 0x40010
	s_add_co_i32 s1, s1, 1
	s_add_co_i32 s2, s2, 1
	s_and_b32 s0, ttmp6, 15
	s_bfe_u32 s3, ttmp6, 0x40004
	s_mul_i32 s1, ttmp9, s1
	s_mul_i32 s2, ttmp7, s2
	s_getreg_b32 s12, hwreg(HW_REG_IB_STS2, 6, 4)
	s_add_co_i32 s0, s0, s1
	s_add_co_i32 s3, s3, s2
	s_cmp_eq_u32 s12, 0
	v_dual_lshrrev_b32 v1, 3, v0 :: v_dual_bitop2_b32 v2, 31, v0 bitop3:0x40
	s_cselect_b32 s1, ttmp9, s0
	s_cselect_b32 s12, ttmp7, s3
	s_wait_dscnt 0x0
	s_barrier_signal -1
	s_wait_kmcnt 0x0
	s_mul_i32 s0, s1, s9
	s_mul_i32 s2, s10, s12
	s_lshl_b32 s0, s0, 3
	s_barrier_wait -1
	s_add_co_i32 s2, s2, s0
	v_cmp_eq_u32_e64 s0, 0, v2
	s_ashr_i32 s3, s2, 31
	v_lshlrev_b32_e32 v2, 2, v2
	s_lshl_b64 s[2:3], s[2:3], 2
	s_delay_alu instid0(SALU_CYCLE_1)
	s_add_nc_u64 s[2:3], s[4:5], s[2:3]
	s_lshl_b32 s5, s8, 8
	s_branch .LBB1_4
.LBB1_3:                                ;   in Loop: Header=BB1_4 Depth=1
	s_or_b32 exec_lo, exec_lo, s8
	s_wait_dscnt 0x0
	s_barrier_signal -1
	s_barrier_wait -1
	ds_load_b32 v3, v2
	s_wait_dscnt 0x0
	s_barrier_signal -1
	s_barrier_wait -1
	v_cmp_ne_u32_e32 vcc_lo, 0, v3
	s_cmp_lg_u32 vcc_lo, exec_lo
	s_cselect_b32 s8, -1, 0
	s_delay_alu instid0(SALU_CYCLE_1)
	s_and_b32 vcc_lo, exec_lo, s8
	s_cbranch_vccnz .LBB1_36
.LBB1_4:                                ; =>This Inner Loop Header: Depth=1
	s_mov_b32 s4, s5
	s_addk_co_i32 s5, 0xff00
	s_delay_alu instid0(SALU_CYCLE_1)
	s_cmp_lt_i32 s5, 0
	s_cbranch_scc1 .LBB1_35
; %bb.5:                                ;   in Loop: Header=BB1_4 Depth=1
	s_lshr_b32 s8, s5, 1
	s_delay_alu instid0(SALU_CYCLE_1) | instskip(SKIP_4) | instid1(VALU_DEP_2)
	v_add_nc_u32_e32 v3, s8, v0
	global_load_b32 v4, v3, s[2:3] scale_offset
	s_wait_loadcnt 0x0
	v_lshrrev_b32_e32 v5, 16, v4
	v_cmp_class_f16_e64 s8, v4, 0x204
	v_cmp_class_f16_e64 s10, v5, 0x204
	s_and_b32 s13, s8, s10
	s_mov_b32 s10, 0
	s_and_saveexec_b32 s8, s13
	s_cbranch_execz .LBB1_33
; %bb.6:                                ;   in Loop: Header=BB1_4 Depth=1
	v_add_nc_u32_e32 v3, s9, v3
	s_mov_b32 s13, 0
	global_load_b32 v4, v3, s[2:3] scale_offset
	s_wait_loadcnt 0x0
	v_cmp_class_f16_e64 s14, v4, 0x204
	s_and_saveexec_b32 s10, s14
	s_cbranch_execz .LBB1_32
; %bb.7:                                ;   in Loop: Header=BB1_4 Depth=1
	v_lshrrev_b32_e32 v4, 16, v4
	s_mov_b32 s14, 0
	s_delay_alu instid0(VALU_DEP_1)
	v_cmp_class_f16_e64 s15, v4, 0x204
	s_and_saveexec_b32 s13, s15
	s_cbranch_execz .LBB1_31
; %bb.8:                                ;   in Loop: Header=BB1_4 Depth=1
	v_add_nc_u32_e32 v3, s9, v3
	s_mov_b32 s15, 0
	global_load_b32 v4, v3, s[2:3] scale_offset
	s_wait_loadcnt 0x0
	v_cmp_class_f16_e64 s16, v4, 0x204
	s_and_saveexec_b32 s14, s16
	s_cbranch_execz .LBB1_30
; %bb.9:                                ;   in Loop: Header=BB1_4 Depth=1
	v_lshrrev_b32_e32 v4, 16, v4
	s_mov_b32 s16, 0
	s_delay_alu instid0(VALU_DEP_1)
	v_cmp_class_f16_e64 s17, v4, 0x204
	s_and_saveexec_b32 s15, s17
	s_cbranch_execz .LBB1_29
; %bb.10:                               ;   in Loop: Header=BB1_4 Depth=1
	v_add_nc_u32_e32 v3, s9, v3
	s_mov_b32 s17, 0
	global_load_b32 v4, v3, s[2:3] scale_offset
	s_wait_loadcnt 0x0
	v_cmp_class_f16_e64 s18, v4, 0x204
	s_and_saveexec_b32 s16, s18
	s_cbranch_execz .LBB1_28
; %bb.11:                               ;   in Loop: Header=BB1_4 Depth=1
	v_lshrrev_b32_e32 v4, 16, v4
	s_mov_b32 s18, 0
	s_delay_alu instid0(VALU_DEP_1)
	v_cmp_class_f16_e64 s19, v4, 0x204
	s_and_saveexec_b32 s17, s19
	s_cbranch_execz .LBB1_27
; %bb.12:                               ;   in Loop: Header=BB1_4 Depth=1
	v_add_nc_u32_e32 v3, s9, v3
	s_mov_b32 s19, 0
	global_load_b32 v4, v3, s[2:3] scale_offset
	s_wait_loadcnt 0x0
	v_cmp_class_f16_e64 s20, v4, 0x204
	s_and_saveexec_b32 s18, s20
	s_cbranch_execz .LBB1_26
; %bb.13:                               ;   in Loop: Header=BB1_4 Depth=1
	;; [unrolled: 15-line block ×4, first 2 shown]
	v_lshrrev_b32_e32 v4, 16, v4
	s_mov_b32 s24, 0
	s_delay_alu instid0(VALU_DEP_1)
	v_cmp_class_f16_e64 s25, v4, 0x204
	s_and_saveexec_b32 s23, s25
	s_cbranch_execz .LBB1_21
; %bb.18:                               ;   in Loop: Header=BB1_4 Depth=1
	v_add_nc_u32_e32 v3, s9, v3
	global_load_b32 v3, v3, s[2:3] scale_offset
	s_wait_loadcnt 0x0
	v_cmp_class_f16_e64 s26, v3, 0x204
	s_and_saveexec_b32 s25, s26
; %bb.19:                               ;   in Loop: Header=BB1_4 Depth=1
	v_lshrrev_b32_e32 v3, 16, v3
	s_delay_alu instid0(VALU_DEP_1)
	v_cmp_class_f16_e64 s24, v3, 0x204
	s_and_b32 s24, s24, exec_lo
; %bb.20:                               ;   in Loop: Header=BB1_4 Depth=1
	s_or_b32 exec_lo, exec_lo, s25
	s_delay_alu instid0(SALU_CYCLE_1)
	s_and_b32 s24, s24, exec_lo
.LBB1_21:                               ;   in Loop: Header=BB1_4 Depth=1
	s_or_b32 exec_lo, exec_lo, s23
	s_delay_alu instid0(SALU_CYCLE_1)
	s_and_b32 s23, s24, exec_lo
.LBB1_22:                               ;   in Loop: Header=BB1_4 Depth=1
	s_or_b32 exec_lo, exec_lo, s22
	s_delay_alu instid0(SALU_CYCLE_1)
	s_and_b32 s22, s23, exec_lo
.LBB1_23:                               ;   in Loop: Header=BB1_4 Depth=1
	s_or_b32 exec_lo, exec_lo, s21
	s_delay_alu instid0(SALU_CYCLE_1)
	s_and_b32 s21, s22, exec_lo
.LBB1_24:                               ;   in Loop: Header=BB1_4 Depth=1
	s_or_b32 exec_lo, exec_lo, s20
	s_delay_alu instid0(SALU_CYCLE_1)
	s_and_b32 s20, s21, exec_lo
.LBB1_25:                               ;   in Loop: Header=BB1_4 Depth=1
	s_or_b32 exec_lo, exec_lo, s19
	s_delay_alu instid0(SALU_CYCLE_1)
	s_and_b32 s19, s20, exec_lo
.LBB1_26:                               ;   in Loop: Header=BB1_4 Depth=1
	s_or_b32 exec_lo, exec_lo, s18
	s_delay_alu instid0(SALU_CYCLE_1)
	s_and_b32 s18, s19, exec_lo
.LBB1_27:                               ;   in Loop: Header=BB1_4 Depth=1
	s_or_b32 exec_lo, exec_lo, s17
	s_delay_alu instid0(SALU_CYCLE_1)
	s_and_b32 s17, s18, exec_lo
.LBB1_28:                               ;   in Loop: Header=BB1_4 Depth=1
	s_or_b32 exec_lo, exec_lo, s16
	s_delay_alu instid0(SALU_CYCLE_1)
	s_and_b32 s16, s17, exec_lo
.LBB1_29:                               ;   in Loop: Header=BB1_4 Depth=1
	s_or_b32 exec_lo, exec_lo, s15
	s_delay_alu instid0(SALU_CYCLE_1)
	s_and_b32 s15, s16, exec_lo
.LBB1_30:                               ;   in Loop: Header=BB1_4 Depth=1
	s_or_b32 exec_lo, exec_lo, s14
	s_delay_alu instid0(SALU_CYCLE_1)
	s_and_b32 s14, s15, exec_lo
.LBB1_31:                               ;   in Loop: Header=BB1_4 Depth=1
	s_or_b32 exec_lo, exec_lo, s13
	s_delay_alu instid0(SALU_CYCLE_1)
	s_and_b32 s13, s14, exec_lo
.LBB1_32:                               ;   in Loop: Header=BB1_4 Depth=1
	s_or_b32 exec_lo, exec_lo, s10
	s_delay_alu instid0(SALU_CYCLE_1)
	s_and_b32 s10, s13, exec_lo
.LBB1_33:                               ;   in Loop: Header=BB1_4 Depth=1
	s_or_b32 exec_lo, exec_lo, s8
	v_cndmask_b32_e64 v3, 0, 1, s10
	s_mov_b32 s13, exec_lo
	s_delay_alu instid0(VALU_DEP_1)
	v_cmp_ne_u32_e32 vcc_lo, 0, v3
	s_and_saveexec_b32 s8, s0
	s_cbranch_execz .LBB1_3
; %bb.34:                               ;   in Loop: Header=BB1_4 Depth=1
	s_cmp_eq_u32 vcc_lo, s13
	s_cselect_b32 s10, -1, 0
	s_delay_alu instid0(SALU_CYCLE_1)
	v_cndmask_b32_e64 v3, 0, 1, s10
	ds_store_b32 v1, v3
	s_branch .LBB1_3
.LBB1_35:                               ;   in Loop: Header=BB1_4 Depth=1
	s_cbranch_execz .LBB1_4
.LBB1_36:
	s_mov_b32 s0, exec_lo
	v_cmpx_eq_u32_e32 0, v0
	s_cbranch_execz .LBB1_38
; %bb.37:
	s_mul_i32 s0, s11, s12
	v_mov_b32_e32 v1, s4
	s_add_co_i32 s0, s0, s1
	s_delay_alu instid0(SALU_CYCLE_1)
	v_mov_b32_e32 v0, s0
	global_store_b32 v0, v1, s[6:7] scale_offset
.LBB1_38:
	s_endpgm
	.section	.rodata,"a",@progbits
	.p2align	6, 0x0
	.amdhsa_kernel _ZL25flash_attn_mask_to_KV_maxILi8EEvPK7__half2Piiii
		.amdhsa_group_segment_fixed_size 128
		.amdhsa_private_segment_fixed_size 0
		.amdhsa_kernarg_size 288
		.amdhsa_user_sgpr_count 2
		.amdhsa_user_sgpr_dispatch_ptr 0
		.amdhsa_user_sgpr_queue_ptr 0
		.amdhsa_user_sgpr_kernarg_segment_ptr 1
		.amdhsa_user_sgpr_dispatch_id 0
		.amdhsa_user_sgpr_kernarg_preload_length 0
		.amdhsa_user_sgpr_kernarg_preload_offset 0
		.amdhsa_user_sgpr_private_segment_size 0
		.amdhsa_wavefront_size32 1
		.amdhsa_uses_dynamic_stack 0
		.amdhsa_enable_private_segment 0
		.amdhsa_system_sgpr_workgroup_id_x 1
		.amdhsa_system_sgpr_workgroup_id_y 1
		.amdhsa_system_sgpr_workgroup_id_z 0
		.amdhsa_system_sgpr_workgroup_info 0
		.amdhsa_system_vgpr_workitem_id 0
		.amdhsa_next_free_vgpr 6
		.amdhsa_next_free_sgpr 27
		.amdhsa_named_barrier_count 0
		.amdhsa_reserve_vcc 1
		.amdhsa_float_round_mode_32 0
		.amdhsa_float_round_mode_16_64 0
		.amdhsa_float_denorm_mode_32 3
		.amdhsa_float_denorm_mode_16_64 3
		.amdhsa_fp16_overflow 0
		.amdhsa_memory_ordered 1
		.amdhsa_forward_progress 1
		.amdhsa_inst_pref_size 9
		.amdhsa_round_robin_scheduling 0
		.amdhsa_exception_fp_ieee_invalid_op 0
		.amdhsa_exception_fp_denorm_src 0
		.amdhsa_exception_fp_ieee_div_zero 0
		.amdhsa_exception_fp_ieee_overflow 0
		.amdhsa_exception_fp_ieee_underflow 0
		.amdhsa_exception_fp_ieee_inexact 0
		.amdhsa_exception_int_div_zero 0
	.end_amdhsa_kernel
	.section	.text._ZL25flash_attn_mask_to_KV_maxILi8EEvPK7__half2Piiii,"axG",@progbits,_ZL25flash_attn_mask_to_KV_maxILi8EEvPK7__half2Piiii,comdat
.Lfunc_end1:
	.size	_ZL25flash_attn_mask_to_KV_maxILi8EEvPK7__half2Piiii, .Lfunc_end1-_ZL25flash_attn_mask_to_KV_maxILi8EEvPK7__half2Piiii
                                        ; -- End function
	.set _ZL25flash_attn_mask_to_KV_maxILi8EEvPK7__half2Piiii.num_vgpr, 6
	.set _ZL25flash_attn_mask_to_KV_maxILi8EEvPK7__half2Piiii.num_agpr, 0
	.set _ZL25flash_attn_mask_to_KV_maxILi8EEvPK7__half2Piiii.numbered_sgpr, 27
	.set _ZL25flash_attn_mask_to_KV_maxILi8EEvPK7__half2Piiii.num_named_barrier, 0
	.set _ZL25flash_attn_mask_to_KV_maxILi8EEvPK7__half2Piiii.private_seg_size, 0
	.set _ZL25flash_attn_mask_to_KV_maxILi8EEvPK7__half2Piiii.uses_vcc, 1
	.set _ZL25flash_attn_mask_to_KV_maxILi8EEvPK7__half2Piiii.uses_flat_scratch, 0
	.set _ZL25flash_attn_mask_to_KV_maxILi8EEvPK7__half2Piiii.has_dyn_sized_stack, 0
	.set _ZL25flash_attn_mask_to_KV_maxILi8EEvPK7__half2Piiii.has_recursion, 0
	.set _ZL25flash_attn_mask_to_KV_maxILi8EEvPK7__half2Piiii.has_indirect_call, 0
	.section	.AMDGPU.csdata,"",@progbits
; Kernel info:
; codeLenInByte = 1148
; TotalNumSgprs: 29
; NumVgprs: 6
; ScratchSize: 0
; MemoryBound: 0
; FloatMode: 240
; IeeeMode: 1
; LDSByteSize: 128 bytes/workgroup (compile time only)
; SGPRBlocks: 0
; VGPRBlocks: 0
; NumSGPRsForWavesPerEU: 29
; NumVGPRsForWavesPerEU: 6
; NamedBarCnt: 0
; Occupancy: 16
; WaveLimiterHint : 0
; COMPUTE_PGM_RSRC2:SCRATCH_EN: 0
; COMPUTE_PGM_RSRC2:USER_SGPR: 2
; COMPUTE_PGM_RSRC2:TRAP_HANDLER: 0
; COMPUTE_PGM_RSRC2:TGID_X_EN: 1
; COMPUTE_PGM_RSRC2:TGID_Y_EN: 1
; COMPUTE_PGM_RSRC2:TGID_Z_EN: 0
; COMPUTE_PGM_RSRC2:TIDIG_COMP_CNT: 0
	.section	.text._ZL33flash_attn_stream_k_fixup_uniformILi64ELi8ELi8EEvPfPK15HIP_vector_typeIfLj2EEiiiiiiS1_IjLj3EES5_S5_,"axG",@progbits,_ZL33flash_attn_stream_k_fixup_uniformILi64ELi8ELi8EEvPfPK15HIP_vector_typeIfLj2EEiiiiiiS1_IjLj3EES5_S5_,comdat
	.globl	_ZL33flash_attn_stream_k_fixup_uniformILi64ELi8ELi8EEvPfPK15HIP_vector_typeIfLj2EEiiiiiiS1_IjLj3EES5_S5_ ; -- Begin function _ZL33flash_attn_stream_k_fixup_uniformILi64ELi8ELi8EEvPfPK15HIP_vector_typeIfLj2EEiiiiiiS1_IjLj3EES5_S5_
	.p2align	8
	.type	_ZL33flash_attn_stream_k_fixup_uniformILi64ELi8ELi8EEvPfPK15HIP_vector_typeIfLj2EEiiiiiiS1_IjLj3EES5_S5_,@function
_ZL33flash_attn_stream_k_fixup_uniformILi64ELi8ELi8EEvPfPK15HIP_vector_typeIfLj2EEiiiiiiS1_IjLj3EES5_S5_: ; @_ZL33flash_attn_stream_k_fixup_uniformILi64ELi8ELi8EEvPfPK15HIP_vector_typeIfLj2EEiiiiiiS1_IjLj3EES5_S5_
; %bb.0:
	s_load_b256 s[4:11], s[0:1], 0x1c
	s_bfe_u32 s2, ttmp6, 0x40014
	s_lshr_b32 s3, ttmp7, 16
	s_add_co_i32 s2, s2, 1
	s_bfe_u32 s13, ttmp6, 0x40010
	s_mul_i32 s2, s3, s2
	s_bfe_u32 s12, ttmp6, 0x40008
	s_and_b32 s15, ttmp7, 0xffff
	s_add_co_i32 s13, s13, 1
	s_bfe_u32 s14, ttmp6, 0x4000c
	s_add_co_i32 s12, s12, s2
	s_mul_i32 s2, s15, s13
	s_bfe_u32 s13, ttmp6, 0x40004
	s_add_co_i32 s14, s14, 1
	s_add_co_i32 s13, s13, s2
	s_and_b32 s2, ttmp6, 15
	s_mul_i32 s14, ttmp9, s14
	s_getreg_b32 s20, hwreg(HW_REG_IB_STS2, 6, 4)
	s_add_co_i32 s2, s2, s14
	s_load_b128 s[16:19], s[0:1], 0x3c
	s_cmp_eq_u32 s20, 0
	s_cselect_b32 s14, ttmp9, s2
	s_cselect_b32 s13, s15, s13
	s_wait_kmcnt 0x0
	s_mul_hi_u32 s2, s7, s14
	s_cselect_b32 s12, s3, s12
	s_add_co_i32 s2, s14, s2
	s_delay_alu instid0(SALU_CYCLE_1) | instskip(NEXT) | instid1(SALU_CYCLE_1)
	s_lshr_b32 s7, s2, s8
	s_mul_i32 s2, s7, s9
	s_delay_alu instid0(SALU_CYCLE_1) | instskip(NEXT) | instid1(SALU_CYCLE_1)
	s_sub_co_i32 s8, s14, s2
	s_mul_hi_u32 s2, s8, s10
	s_delay_alu instid0(SALU_CYCLE_1) | instskip(SKIP_2) | instid1(SALU_CYCLE_1)
	s_add_co_i32 s9, s8, s2
	s_load_b64 s[2:3], s[0:1], 0x10
	s_lshr_b32 s15, s9, s11
	s_mul_i32 s9, s15, s16
	s_delay_alu instid0(SALU_CYCLE_1) | instskip(NEXT) | instid1(SALU_CYCLE_1)
	s_sub_co_i32 s8, s8, s9
	s_mul_hi_u32 s9, s8, s17
	s_delay_alu instid0(SALU_CYCLE_1) | instskip(NEXT) | instid1(SALU_CYCLE_1)
	s_add_co_i32 s9, s8, s9
	s_lshr_b32 s9, s9, s18
	s_delay_alu instid0(SALU_CYCLE_1) | instskip(SKIP_2) | instid1(SALU_CYCLE_1)
	s_mul_i32 s10, s9, s19
	s_lshl_b32 s17, s9, 3
	s_sub_co_i32 s16, s8, s10
	s_lshl_b32 s8, s16, 3
	s_delay_alu instid0(SALU_CYCLE_1) | instskip(SKIP_4) | instid1(SALU_CYCLE_1)
	s_add_co_i32 s8, s8, s13
	s_wait_kmcnt 0x0
	s_cmp_lt_i32 s8, s2
	s_cselect_b32 s8, -1, 0
	s_add_co_i32 s9, s17, s12
	s_cmp_lt_i32 s9, s5
	s_cselect_b32 s9, -1, 0
	s_delay_alu instid0(SALU_CYCLE_1) | instskip(NEXT) | instid1(SALU_CYCLE_1)
	s_and_b32 s8, s8, s9
	s_and_not1_b32 vcc_lo, exec_lo, s8
	s_cbranch_vccnz .LBB2_6
; %bb.1:
	s_mul_i32 s2, s7, s2
	s_load_b128 s[8:11], s[0:1], 0x0
	s_wait_xcnt 0x0
	s_add_co_i32 s0, s2, s13
	s_mul_i32 s15, s15, s5
	s_mul_i32 s0, s0, s3
	;; [unrolled: 1-line block ×3, first 2 shown]
	s_add_co_i32 s0, s0, s12
	s_lshl_b32 s1, s1, 9
	s_add_co_i32 s0, s0, s15
	s_mul_i32 s7, s6, s14
	s_add_co_i32 s0, s0, s17
	s_lshl_b32 s5, s13, 3
	s_lshl_b32 s0, s0, 6
	s_add_co_i32 s15, s7, s6
	s_add_co_i32 s1, s1, s0
	;; [unrolled: 1-line block ×3, first 2 shown]
	v_or_b32_e32 v4, s1, v0
	s_lshl_b32 s1, s15, 6
	s_add_co_i32 s2, s15, -2
	s_add_co_i32 s0, s0, s1
	s_delay_alu instid0(SALU_CYCLE_1)
	s_sub_co_i32 s0, s0, 64
	s_wait_kmcnt 0x0
	global_load_b32 v3, v4, s[8:9] scale_offset
	s_ashr_i32 s1, s0, 31
	v_ashrrev_i32_e32 v5, 31, v4
	s_lshl_b64 s[0:1], s[0:1], 3
	s_cmp_lt_i32 s2, s7
	s_add_nc_u64 s[0:1], s[10:11], s[0:1]
	s_load_b32 s16, s[0:1], 0x4
	s_cbranch_scc1 .LBB2_4
; %bb.2:
	s_wait_xcnt 0x0
	s_load_b32 s0, s[0:1], 0x0
	s_add_co_i32 s14, s14, 1
	s_lshl_b32 s3, s13, 9
	s_wait_xcnt 0x0
	s_mul_i32 s1, s6, s14
	s_lshl_b32 s6, s12, 6
	s_lshl_b32 s13, s1, 12
	s_add_co_i32 s6, s6, s3
	s_lshl_b32 s1, s1, 6
	s_add_co_i32 s6, s6, s13
	s_lshl_b32 s2, s4, 8
	s_wait_kmcnt 0x0
	v_dual_mov_b32 v2, s16 :: v_dual_bitop2_b32 v0, s6, v0 bitop3:0x54
	s_add_co_i32 s1, s12, s1
	s_lshl_b32 s4, s4, 6
	s_ashr_i32 s3, s2, 31
	s_add_co_i32 s1, s1, s4
	v_add_nc_u32_e32 v0, 0xffffe000, v0
	s_lshl_b64 s[2:3], s[2:3], 2
	s_add_co_i32 s4, s1, s5
	s_add_nc_u64 s[2:3], s[10:11], s[2:3]
	s_add_co_i32 s1, s15, -1
	s_addk_co_i32 s4, 0xff80
.LBB2_3:                                ; =>This Inner Loop Header: Depth=1
	global_load_b32 v7, v0, s[2:3] scale_offset
	s_ashr_i32 s5, s4, 31
	v_max_num_f32_e64 v1, s0, s0
	s_lshl_b64 s[12:13], s[4:5], 3
	s_delay_alu instid0(SALU_CYCLE_1) | instskip(SKIP_1) | instid1(VALU_DEP_1)
	s_add_nc_u64 s[12:13], s[10:11], s[12:13]
	s_load_b64 s[12:13], s[12:13], 0x0
	v_readfirstlane_b32 s5, v1
	v_add_nc_u32_e32 v0, 0xfffff000, v0
	s_wait_kmcnt 0x0
	v_max_num_f32_e64 v1, s12, s12
	s_delay_alu instid0(VALU_DEP_1) | instskip(SKIP_1) | instid1(SALU_CYCLE_3)
	v_readfirstlane_b32 s6, v1
	s_max_num_f32 s5, s5, s6
	s_sub_f32 s0, s0, s5
	s_sub_f32 s6, s12, s5
	s_delay_alu instid0(SALU_CYCLE_2) | instskip(NEXT) | instid1(SALU_CYCLE_2)
	s_mul_f32 s12, s0, 0x3fb8aa3b
	s_mul_f32 s14, s6, 0x3fb8aa3b
	s_delay_alu instid0(SALU_CYCLE_2)
	s_xor_b32 s15, s12, 0x80000000
	s_rndne_f32 s16, s12
	s_fmamk_f32 s15, s0, 0x3fb8aa3b, s15
	s_cmp_nlt_f32 s0, 0xc2ce8ed0
	s_rndne_f32 s17, s14
	s_sub_f32 s12, s12, s16
	s_fmamk_f32 s15, s0, 0x32a5705f, s15
	s_cselect_b32 vcc_lo, -1, 0
	s_cmp_ngt_f32 s0, 0x42b17218
	s_delay_alu instid0(SALU_CYCLE_1) | instskip(SKIP_2) | instid1(SALU_CYCLE_1)
	s_add_f32 s12, s12, s15
	s_cvt_i32_f32 s15, s16
	s_sub_f32 s16, s14, s17
	v_s_exp_f32 s12, s12
	v_nop
	s_delay_alu instid0(TRANS32_DEP_1) | instskip(SKIP_1) | instid1(VALU_DEP_1)
	v_ldexp_f32 v1, s12, s15
	s_cvt_i32_f32 s12, s17
	v_cndmask_b32_e32 v1, 0, v1, vcc_lo
	s_cselect_b32 vcc_lo, -1, 0
	s_cmp_ge_f32 s0, 0xc1a00000
	s_delay_alu instid0(VALU_DEP_1)
	v_cndmask_b32_e32 v1, 0x7f800000, v1, vcc_lo
	s_cselect_b32 vcc_lo, -1, 0
	s_xor_b32 s0, s14, 0x80000000
	s_cmp_nlt_f32 s6, 0xc2ce8ed0
	s_fmamk_f32 s0, s6, 0x3fb8aa3b, s0
	v_cndmask_b32_e32 v10, 0, v1, vcc_lo
	s_delay_alu instid0(SALU_CYCLE_2) | instskip(NEXT) | instid1(SALU_CYCLE_3)
	s_fmamk_f32 s0, s6, 0x32a5705f, s0
	s_add_f32 s0, s16, s0
	s_delay_alu instid0(SALU_CYCLE_3) | instskip(SKIP_1) | instid1(TRANS32_DEP_1)
	v_s_exp_f32 s0, s0
	v_nop
	v_ldexp_f32 v6, s0, s12
	s_cselect_b32 s0, -1, 0
	s_cmp_ngt_f32 s6, 0x42b17218
	s_delay_alu instid0(VALU_DEP_1) | instskip(SKIP_2) | instid1(VALU_DEP_1)
	v_cndmask_b32_e64 v6, 0, v6, s0
	s_cselect_b32 s0, -1, 0
	s_cmp_ge_f32 s6, 0xc1a00000
	v_cndmask_b32_e64 v8, 0x7f800000, v6, s0
	s_cselect_b32 s0, -1, 0
	v_mov_b32_e32 v6, s13
	s_add_co_i32 s1, s1, -1
	s_sub_co_i32 s4, s4, 64
	v_cndmask_b32_e64 v8, 0, v8, s0
	s_cmp_le_i32 s1, s7
	s_mov_b32 s0, s5
	s_wait_loadcnt 0x0
	s_delay_alu instid0(VALU_DEP_1) | instskip(NEXT) | instid1(VALU_DEP_1)
	v_pk_mul_f32 v[6:7], v[6:7], v[8:9] op_sel_hi:[1,0]
	v_pk_fma_f32 v[2:3], v[2:3], v[10:11], v[6:7] op_sel_hi:[1,0,1]
	s_cbranch_scc0 .LBB2_3
	s_branch .LBB2_5
.LBB2_4:
	s_wait_kmcnt 0x0
	v_mov_b32_e32 v2, s16
.LBB2_5:
	v_lshl_add_u64 v[0:1], v[4:5], 2, s[8:9]
	s_wait_loadcnt 0x0
	s_delay_alu instid0(VALU_DEP_2) | instskip(NEXT) | instid1(VALU_DEP_1)
	v_div_scale_f32 v4, null, v2, v2, v3
	v_rcp_f32_e32 v5, v4
	v_nop
	s_delay_alu instid0(TRANS32_DEP_1) | instskip(NEXT) | instid1(VALU_DEP_1)
	v_fma_f32 v6, -v4, v5, 1.0
	v_fmac_f32_e32 v5, v6, v5
	v_div_scale_f32 v6, vcc_lo, v3, v2, v3
	s_delay_alu instid0(VALU_DEP_1) | instskip(NEXT) | instid1(VALU_DEP_1)
	v_mul_f32_e32 v7, v6, v5
	v_fma_f32 v8, -v4, v7, v6
	s_delay_alu instid0(VALU_DEP_1) | instskip(NEXT) | instid1(VALU_DEP_1)
	v_fmac_f32_e32 v7, v8, v5
	v_fma_f32 v4, -v4, v7, v6
	s_delay_alu instid0(VALU_DEP_1) | instskip(NEXT) | instid1(VALU_DEP_1)
	v_div_fmas_f32 v4, v4, v5, v7
	v_div_fixup_f32 v2, v4, v2, v3
	global_store_b32 v[0:1], v2, off
.LBB2_6:
	s_endpgm
	.section	.rodata,"a",@progbits
	.p2align	6, 0x0
	.amdhsa_kernel _ZL33flash_attn_stream_k_fixup_uniformILi64ELi8ELi8EEvPfPK15HIP_vector_typeIfLj2EEiiiiiiS1_IjLj3EES5_S5_
		.amdhsa_group_segment_fixed_size 0
		.amdhsa_private_segment_fixed_size 0
		.amdhsa_kernarg_size 76
		.amdhsa_user_sgpr_count 2
		.amdhsa_user_sgpr_dispatch_ptr 0
		.amdhsa_user_sgpr_queue_ptr 0
		.amdhsa_user_sgpr_kernarg_segment_ptr 1
		.amdhsa_user_sgpr_dispatch_id 0
		.amdhsa_user_sgpr_kernarg_preload_length 0
		.amdhsa_user_sgpr_kernarg_preload_offset 0
		.amdhsa_user_sgpr_private_segment_size 0
		.amdhsa_wavefront_size32 1
		.amdhsa_uses_dynamic_stack 0
		.amdhsa_enable_private_segment 0
		.amdhsa_system_sgpr_workgroup_id_x 1
		.amdhsa_system_sgpr_workgroup_id_y 1
		.amdhsa_system_sgpr_workgroup_id_z 1
		.amdhsa_system_sgpr_workgroup_info 0
		.amdhsa_system_vgpr_workitem_id 0
		.amdhsa_next_free_vgpr 12
		.amdhsa_next_free_sgpr 21
		.amdhsa_named_barrier_count 0
		.amdhsa_reserve_vcc 1
		.amdhsa_float_round_mode_32 0
		.amdhsa_float_round_mode_16_64 0
		.amdhsa_float_denorm_mode_32 3
		.amdhsa_float_denorm_mode_16_64 3
		.amdhsa_fp16_overflow 0
		.amdhsa_memory_ordered 1
		.amdhsa_forward_progress 1
		.amdhsa_inst_pref_size 9
		.amdhsa_round_robin_scheduling 0
		.amdhsa_exception_fp_ieee_invalid_op 0
		.amdhsa_exception_fp_denorm_src 0
		.amdhsa_exception_fp_ieee_div_zero 0
		.amdhsa_exception_fp_ieee_overflow 0
		.amdhsa_exception_fp_ieee_underflow 0
		.amdhsa_exception_fp_ieee_inexact 0
		.amdhsa_exception_int_div_zero 0
	.end_amdhsa_kernel
	.section	.text._ZL33flash_attn_stream_k_fixup_uniformILi64ELi8ELi8EEvPfPK15HIP_vector_typeIfLj2EEiiiiiiS1_IjLj3EES5_S5_,"axG",@progbits,_ZL33flash_attn_stream_k_fixup_uniformILi64ELi8ELi8EEvPfPK15HIP_vector_typeIfLj2EEiiiiiiS1_IjLj3EES5_S5_,comdat
.Lfunc_end2:
	.size	_ZL33flash_attn_stream_k_fixup_uniformILi64ELi8ELi8EEvPfPK15HIP_vector_typeIfLj2EEiiiiiiS1_IjLj3EES5_S5_, .Lfunc_end2-_ZL33flash_attn_stream_k_fixup_uniformILi64ELi8ELi8EEvPfPK15HIP_vector_typeIfLj2EEiiiiiiS1_IjLj3EES5_S5_
                                        ; -- End function
	.set _ZL33flash_attn_stream_k_fixup_uniformILi64ELi8ELi8EEvPfPK15HIP_vector_typeIfLj2EEiiiiiiS1_IjLj3EES5_S5_.num_vgpr, 12
	.set _ZL33flash_attn_stream_k_fixup_uniformILi64ELi8ELi8EEvPfPK15HIP_vector_typeIfLj2EEiiiiiiS1_IjLj3EES5_S5_.num_agpr, 0
	.set _ZL33flash_attn_stream_k_fixup_uniformILi64ELi8ELi8EEvPfPK15HIP_vector_typeIfLj2EEiiiiiiS1_IjLj3EES5_S5_.numbered_sgpr, 21
	.set _ZL33flash_attn_stream_k_fixup_uniformILi64ELi8ELi8EEvPfPK15HIP_vector_typeIfLj2EEiiiiiiS1_IjLj3EES5_S5_.num_named_barrier, 0
	.set _ZL33flash_attn_stream_k_fixup_uniformILi64ELi8ELi8EEvPfPK15HIP_vector_typeIfLj2EEiiiiiiS1_IjLj3EES5_S5_.private_seg_size, 0
	.set _ZL33flash_attn_stream_k_fixup_uniformILi64ELi8ELi8EEvPfPK15HIP_vector_typeIfLj2EEiiiiiiS1_IjLj3EES5_S5_.uses_vcc, 1
	.set _ZL33flash_attn_stream_k_fixup_uniformILi64ELi8ELi8EEvPfPK15HIP_vector_typeIfLj2EEiiiiiiS1_IjLj3EES5_S5_.uses_flat_scratch, 0
	.set _ZL33flash_attn_stream_k_fixup_uniformILi64ELi8ELi8EEvPfPK15HIP_vector_typeIfLj2EEiiiiiiS1_IjLj3EES5_S5_.has_dyn_sized_stack, 0
	.set _ZL33flash_attn_stream_k_fixup_uniformILi64ELi8ELi8EEvPfPK15HIP_vector_typeIfLj2EEiiiiiiS1_IjLj3EES5_S5_.has_recursion, 0
	.set _ZL33flash_attn_stream_k_fixup_uniformILi64ELi8ELi8EEvPfPK15HIP_vector_typeIfLj2EEiiiiiiS1_IjLj3EES5_S5_.has_indirect_call, 0
	.section	.AMDGPU.csdata,"",@progbits
; Kernel info:
; codeLenInByte = 1092
; TotalNumSgprs: 23
; NumVgprs: 12
; ScratchSize: 0
; MemoryBound: 0
; FloatMode: 240
; IeeeMode: 1
; LDSByteSize: 0 bytes/workgroup (compile time only)
; SGPRBlocks: 0
; VGPRBlocks: 0
; NumSGPRsForWavesPerEU: 23
; NumVGPRsForWavesPerEU: 12
; NamedBarCnt: 0
; Occupancy: 16
; WaveLimiterHint : 0
; COMPUTE_PGM_RSRC2:SCRATCH_EN: 0
; COMPUTE_PGM_RSRC2:USER_SGPR: 2
; COMPUTE_PGM_RSRC2:TRAP_HANDLER: 0
; COMPUTE_PGM_RSRC2:TGID_X_EN: 1
; COMPUTE_PGM_RSRC2:TGID_Y_EN: 1
; COMPUTE_PGM_RSRC2:TGID_Z_EN: 1
; COMPUTE_PGM_RSRC2:TIDIG_COMP_CNT: 0
	.section	.text._ZL33flash_attn_stream_k_fixup_generalILi64ELi8ELi8EEvPfPK15HIP_vector_typeIfLj2EEiiiiS1_IjLj3EES5_S5_S5_,"axG",@progbits,_ZL33flash_attn_stream_k_fixup_generalILi64ELi8ELi8EEvPfPK15HIP_vector_typeIfLj2EEiiiiS1_IjLj3EES5_S5_S5_,comdat
	.globl	_ZL33flash_attn_stream_k_fixup_generalILi64ELi8ELi8EEvPfPK15HIP_vector_typeIfLj2EEiiiiS1_IjLj3EES5_S5_S5_ ; -- Begin function _ZL33flash_attn_stream_k_fixup_generalILi64ELi8ELi8EEvPfPK15HIP_vector_typeIfLj2EEiiiiS1_IjLj3EES5_S5_S5_
	.p2align	8
	.type	_ZL33flash_attn_stream_k_fixup_generalILi64ELi8ELi8EEvPfPK15HIP_vector_typeIfLj2EEiiiiS1_IjLj3EES5_S5_S5_,@function
_ZL33flash_attn_stream_k_fixup_generalILi64ELi8ELi8EEvPfPK15HIP_vector_typeIfLj2EEiiiiS1_IjLj3EES5_S5_S5_: ; @_ZL33flash_attn_stream_k_fixup_generalILi64ELi8ELi8EEvPfPK15HIP_vector_typeIfLj2EEiiiiS1_IjLj3EES5_S5_S5_
; %bb.0:
	s_clause 0x1
	s_load_b128 s[4:7], s[0:1], 0x10
	s_load_b32 s16, s[0:1], 0x50
	s_bfe_u32 s2, ttmp6, 0x4000c
	s_and_b32 s3, ttmp6, 15
	s_add_co_i32 s2, s2, 1
	s_getreg_b32 s15, hwreg(HW_REG_IB_STS2, 6, 4)
	s_mul_i32 s2, ttmp9, s2
	s_mov_b32 s17, 0
	s_add_co_i32 s3, s3, s2
	s_cmp_eq_u32 s15, 0
	s_cselect_b32 s2, ttmp9, s3
	s_delay_alu instid0(SALU_CYCLE_1) | instskip(SKIP_3) | instid1(SALU_CYCLE_1)
	s_ashr_i32 s3, s2, 31
	s_wait_kmcnt 0x0
	s_ashr_i32 s19, s7, 31
	s_mov_b32 s18, s7
	s_mul_u64 s[8:9], s[18:19], s[2:3]
	s_delay_alu instid0(SALU_CYCLE_1) | instskip(NEXT) | instid1(SALU_CYCLE_1)
	s_and_b64 s[10:11], s[8:9], 0xffffffff00000000
	s_cmp_lg_u64 s[10:11], 0
	s_cbranch_scc0 .LBB3_21
; %bb.1:
	s_add_nc_u64 s[10:11], s[16:17], 0
	s_mov_b32 s23, s17
	s_xor_b64 s[10:11], s[10:11], 0
	s_mov_b32 s27, s17
	s_cvt_f32_u32 s3, s10
	s_cvt_f32_u32 s7, s11
	s_sub_nc_u64 s[20:21], 0, s[10:11]
	s_delay_alu instid0(SALU_CYCLE_2) | instskip(NEXT) | instid1(SALU_CYCLE_3)
	s_fmamk_f32 s3, s7, 0x4f800000, s3
	v_s_rcp_f32 s3, s3
	s_delay_alu instid0(TRANS32_DEP_1) | instskip(NEXT) | instid1(SALU_CYCLE_3)
	s_mul_f32 s3, s3, 0x5f7ffffc
	s_mul_f32 s7, s3, 0x2f800000
	s_delay_alu instid0(SALU_CYCLE_3) | instskip(NEXT) | instid1(SALU_CYCLE_3)
	s_trunc_f32 s7, s7
	s_fmamk_f32 s3, s7, 0xcf800000, s3
	s_cvt_u32_f32 s13, s7
	s_delay_alu instid0(SALU_CYCLE_2) | instskip(NEXT) | instid1(SALU_CYCLE_3)
	s_cvt_u32_f32 s12, s3
	s_mul_u64 s[24:25], s[20:21], s[12:13]
	s_delay_alu instid0(SALU_CYCLE_1)
	s_mul_hi_u32 s29, s12, s25
	s_mul_i32 s28, s12, s25
	s_mul_hi_u32 s22, s12, s24
	s_mul_i32 s7, s13, s24
	s_add_nc_u64 s[22:23], s[22:23], s[28:29]
	s_mul_hi_u32 s3, s13, s24
	s_mul_hi_u32 s14, s13, s25
	s_add_co_u32 s7, s22, s7
	s_add_co_ci_u32 s26, s23, s3
	s_mul_i32 s24, s13, s25
	s_add_co_ci_u32 s25, s14, 0
	s_delay_alu instid0(SALU_CYCLE_1) | instskip(SKIP_3) | instid1(SALU_CYCLE_1)
	s_add_nc_u64 s[22:23], s[26:27], s[24:25]
	s_mov_b32 s25, s17
	s_add_co_u32 s12, s12, s22
	s_cselect_b32 s3, -1, 0
	s_cmp_lg_u32 s3, 0
	s_add_co_ci_u32 s13, s13, s23
	s_mov_b32 s23, s17
	s_mul_u64 s[20:21], s[20:21], s[12:13]
	s_delay_alu instid0(SALU_CYCLE_1)
	s_mul_hi_u32 s27, s12, s21
	s_mul_i32 s26, s12, s21
	s_mul_hi_u32 s22, s12, s20
	s_mul_i32 s7, s13, s20
	s_add_nc_u64 s[22:23], s[22:23], s[26:27]
	s_mul_hi_u32 s3, s13, s20
	s_mul_hi_u32 s14, s13, s21
	s_add_co_u32 s7, s22, s7
	s_add_co_ci_u32 s24, s23, s3
	s_mul_i32 s20, s13, s21
	s_add_co_ci_u32 s21, s14, 0
	s_mov_b32 s23, s17
	s_add_nc_u64 s[20:21], s[24:25], s[20:21]
	s_delay_alu instid0(SALU_CYCLE_1) | instskip(SKIP_1) | instid1(SALU_CYCLE_1)
	s_add_co_u32 s3, s12, s20
	s_cselect_b32 s7, -1, 0
	s_cmp_lg_u32 s7, 0
	s_add_co_ci_u32 s7, s13, s21
	s_ashr_i32 s12, s9, 31
	s_delay_alu instid0(SALU_CYCLE_1) | instskip(NEXT) | instid1(SALU_CYCLE_1)
	s_mov_b32 s13, s12
	s_add_nc_u64 s[20:21], s[8:9], s[12:13]
	s_delay_alu instid0(SALU_CYCLE_1) | instskip(NEXT) | instid1(SALU_CYCLE_1)
	s_xor_b64 s[20:21], s[20:21], s[12:13]
	s_mul_hi_u32 s27, s20, s7
	s_mul_i32 s26, s20, s7
	s_mul_hi_u32 s22, s20, s3
	s_mul_hi_u32 s14, s21, s3
	s_mul_i32 s3, s21, s3
	s_add_nc_u64 s[22:23], s[22:23], s[26:27]
	s_mul_hi_u32 s9, s21, s7
	s_add_co_u32 s3, s22, s3
	s_add_co_ci_u32 s24, s23, s14
	s_mul_i32 s26, s21, s7
	s_add_co_ci_u32 s27, s9, 0
	s_delay_alu instid0(SALU_CYCLE_1) | instskip(NEXT) | instid1(SALU_CYCLE_1)
	s_add_nc_u64 s[22:23], s[24:25], s[26:27]
	s_and_b64 s[24:25], s[22:23], 0xffffffff00000000
	s_delay_alu instid0(SALU_CYCLE_1) | instskip(NEXT) | instid1(SALU_CYCLE_1)
	s_or_b32 s24, s24, s22
	s_mul_u64 s[22:23], s[10:11], s[24:25]
	s_add_nc_u64 s[26:27], s[24:25], 1
	s_sub_co_u32 s3, s20, s22
	s_cselect_b32 s7, -1, 0
	s_sub_co_i32 s9, s21, s23
	s_cmp_lg_u32 s7, 0
	s_add_nc_u64 s[28:29], s[24:25], 2
	s_sub_co_ci_u32 s9, s9, s11
	s_sub_co_u32 s14, s3, s10
	s_cselect_b32 s20, -1, 0
	s_delay_alu instid0(SALU_CYCLE_1) | instskip(SKIP_1) | instid1(SALU_CYCLE_1)
	s_cmp_lg_u32 s20, 0
	s_sub_co_ci_u32 s9, s9, 0
	s_cmp_ge_u32 s9, s11
	s_cselect_b32 s20, -1, 0
	s_cmp_ge_u32 s14, s10
	s_cselect_b32 s14, -1, 0
	s_cmp_eq_u32 s9, s11
	s_cselect_b32 s9, s14, s20
	s_delay_alu instid0(SALU_CYCLE_1) | instskip(SKIP_4) | instid1(SALU_CYCLE_1)
	s_cmp_lg_u32 s9, 0
	s_cselect_b32 s9, s28, s26
	s_cselect_b32 s14, s29, s27
	s_cmp_lg_u32 s7, 0
	s_sub_co_ci_u32 s7, s21, s23
	s_cmp_ge_u32 s7, s11
	s_cselect_b32 s20, -1, 0
	s_cmp_ge_u32 s3, s10
	s_cselect_b32 s3, -1, 0
	s_cmp_eq_u32 s7, s11
	s_cselect_b32 s3, s3, s20
	s_delay_alu instid0(SALU_CYCLE_1) | instskip(SKIP_4) | instid1(SALU_CYCLE_1)
	s_cmp_lg_u32 s3, 0
	s_mov_b32 s3, s17
	s_cselect_b32 s11, s14, s25
	s_cselect_b32 s10, s9, s24
	s_xor_b64 s[12:13], s[12:13], 0
	s_xor_b64 s[10:11], s[10:11], s[12:13]
	s_delay_alu instid0(SALU_CYCLE_1)
	s_sub_nc_u64 s[20:21], s[10:11], s[12:13]
	s_and_not1_b32 vcc_lo, exec_lo, s3
	s_cbranch_vccnz .LBB3_3
.LBB3_2:
	v_cvt_f32_u32_e32 v1, s16
	s_sub_co_i32 s7, 0, s16
	s_mov_b32 s21, 0
	s_delay_alu instid0(VALU_DEP_1) | instskip(SKIP_1) | instid1(TRANS32_DEP_1)
	v_rcp_iflag_f32_e32 v1, v1
	v_nop
	v_mul_f32_e32 v1, 0x4f7ffffe, v1
	s_delay_alu instid0(VALU_DEP_1) | instskip(NEXT) | instid1(VALU_DEP_1)
	v_cvt_u32_f32_e32 v1, v1
	v_readfirstlane_b32 s3, v1
	s_mul_i32 s7, s7, s3
	s_delay_alu instid0(SALU_CYCLE_1) | instskip(NEXT) | instid1(SALU_CYCLE_1)
	s_mul_hi_u32 s7, s3, s7
	s_add_co_i32 s3, s3, s7
	s_delay_alu instid0(SALU_CYCLE_1) | instskip(NEXT) | instid1(SALU_CYCLE_1)
	s_mul_hi_u32 s3, s8, s3
	s_mul_i32 s7, s3, s16
	s_delay_alu instid0(SALU_CYCLE_1)
	s_sub_co_i32 s7, s8, s7
	s_add_co_i32 s8, s3, 1
	s_sub_co_i32 s9, s7, s16
	s_cmp_ge_u32 s7, s16
	s_cselect_b32 s3, s8, s3
	s_cselect_b32 s7, s9, s7
	s_add_co_i32 s8, s3, 1
	s_cmp_ge_u32 s7, s16
	s_cselect_b32 s20, s8, s3
.LBB3_3:
	s_add_co_i32 s8, s2, 1
	s_delay_alu instid0(SALU_CYCLE_1) | instskip(NEXT) | instid1(SALU_CYCLE_1)
	s_ashr_i32 s9, s8, 31
	s_mul_u64 s[8:9], s[18:19], s[8:9]
	s_delay_alu instid0(SALU_CYCLE_1) | instskip(NEXT) | instid1(SALU_CYCLE_1)
	s_and_b64 s[10:11], s[8:9], 0xffffffff00000000
	s_cmp_lg_u64 s[10:11], 0
	s_cbranch_scc0 .LBB3_22
; %bb.4:
	s_add_nc_u64 s[10:11], s[16:17], 0
	s_delay_alu instid0(SALU_CYCLE_1) | instskip(SKIP_4) | instid1(SALU_CYCLE_2)
	s_xor_b64 s[12:13], s[10:11], 0
	s_mov_b32 s11, 0
	s_cvt_f32_u32 s3, s12
	s_cvt_f32_u32 s7, s13
	s_sub_nc_u64 s[24:25], 0, s[12:13]
	s_fmamk_f32 s3, s7, 0x4f800000, s3
	s_delay_alu instid0(SALU_CYCLE_3) | instskip(NEXT) | instid1(TRANS32_DEP_1)
	v_s_rcp_f32 s3, s3
	s_mul_f32 s3, s3, 0x5f7ffffc
	s_delay_alu instid0(SALU_CYCLE_3) | instskip(NEXT) | instid1(SALU_CYCLE_3)
	s_mul_f32 s7, s3, 0x2f800000
	s_trunc_f32 s7, s7
	s_delay_alu instid0(SALU_CYCLE_3) | instskip(SKIP_1) | instid1(SALU_CYCLE_2)
	s_fmamk_f32 s3, s7, 0xcf800000, s3
	s_cvt_u32_f32 s23, s7
	s_cvt_u32_f32 s22, s3
	s_delay_alu instid0(SALU_CYCLE_3) | instskip(NEXT) | instid1(SALU_CYCLE_1)
	s_mul_u64 s[26:27], s[24:25], s[22:23]
	s_mul_hi_u32 s29, s22, s27
	s_mul_i32 s28, s22, s27
	s_mul_hi_u32 s10, s22, s26
	s_mul_i32 s7, s23, s26
	s_add_nc_u64 s[28:29], s[10:11], s[28:29]
	s_mul_hi_u32 s3, s23, s26
	s_mul_hi_u32 s14, s23, s27
	s_add_co_u32 s7, s28, s7
	s_add_co_ci_u32 s10, s29, s3
	s_mul_i32 s26, s23, s27
	s_add_co_ci_u32 s27, s14, 0
	s_delay_alu instid0(SALU_CYCLE_1) | instskip(NEXT) | instid1(SALU_CYCLE_1)
	s_add_nc_u64 s[26:27], s[10:11], s[26:27]
	s_add_co_u32 s22, s22, s26
	s_cselect_b32 s3, -1, 0
	s_delay_alu instid0(SALU_CYCLE_1) | instskip(SKIP_1) | instid1(SALU_CYCLE_1)
	s_cmp_lg_u32 s3, 0
	s_add_co_ci_u32 s23, s23, s27
	s_mul_u64 s[24:25], s[24:25], s[22:23]
	s_delay_alu instid0(SALU_CYCLE_1)
	s_mul_hi_u32 s27, s22, s25
	s_mul_i32 s26, s22, s25
	s_mul_hi_u32 s10, s22, s24
	s_mul_i32 s7, s23, s24
	s_add_nc_u64 s[26:27], s[10:11], s[26:27]
	s_mul_hi_u32 s3, s23, s24
	s_mul_hi_u32 s14, s23, s25
	s_add_co_u32 s7, s26, s7
	s_add_co_ci_u32 s10, s27, s3
	s_mul_i32 s24, s23, s25
	s_add_co_ci_u32 s25, s14, 0
	s_delay_alu instid0(SALU_CYCLE_1) | instskip(NEXT) | instid1(SALU_CYCLE_1)
	s_add_nc_u64 s[24:25], s[10:11], s[24:25]
	s_add_co_u32 s3, s22, s24
	s_cselect_b32 s7, -1, 0
	s_delay_alu instid0(SALU_CYCLE_1) | instskip(SKIP_2) | instid1(SALU_CYCLE_1)
	s_cmp_lg_u32 s7, 0
	s_add_co_ci_u32 s7, s23, s25
	s_ashr_i32 s22, s9, 31
	s_mov_b32 s23, s22
	s_delay_alu instid0(SALU_CYCLE_1) | instskip(NEXT) | instid1(SALU_CYCLE_1)
	s_add_nc_u64 s[24:25], s[8:9], s[22:23]
	s_xor_b64 s[24:25], s[24:25], s[22:23]
	s_delay_alu instid0(SALU_CYCLE_1)
	s_mul_hi_u32 s27, s24, s7
	s_mul_i32 s26, s24, s7
	s_mul_hi_u32 s10, s24, s3
	s_mul_hi_u32 s14, s25, s3
	s_mul_i32 s3, s25, s3
	s_add_nc_u64 s[26:27], s[10:11], s[26:27]
	s_mul_hi_u32 s9, s25, s7
	s_add_co_u32 s3, s26, s3
	s_add_co_ci_u32 s10, s27, s14
	s_mul_i32 s28, s25, s7
	s_add_co_ci_u32 s29, s9, 0
	s_delay_alu instid0(SALU_CYCLE_1) | instskip(NEXT) | instid1(SALU_CYCLE_1)
	s_add_nc_u64 s[26:27], s[10:11], s[28:29]
	s_and_b64 s[28:29], s[26:27], 0xffffffff00000000
	s_delay_alu instid0(SALU_CYCLE_1) | instskip(NEXT) | instid1(SALU_CYCLE_1)
	s_or_b32 s28, s28, s26
	s_mul_u64 s[26:27], s[12:13], s[28:29]
	s_add_nc_u64 s[30:31], s[28:29], 1
	s_sub_co_u32 s3, s24, s26
	s_cselect_b32 s7, -1, 0
	s_sub_co_i32 s9, s25, s27
	s_cmp_lg_u32 s7, 0
	s_add_nc_u64 s[34:35], s[28:29], 2
	s_sub_co_ci_u32 s9, s9, s13
	s_sub_co_u32 s10, s3, s12
	s_cselect_b32 s14, -1, 0
	s_delay_alu instid0(SALU_CYCLE_1) | instskip(SKIP_1) | instid1(SALU_CYCLE_1)
	s_cmp_lg_u32 s14, 0
	s_sub_co_ci_u32 s9, s9, 0
	s_cmp_ge_u32 s9, s13
	s_cselect_b32 s14, -1, 0
	s_cmp_ge_u32 s10, s12
	s_cselect_b32 s10, -1, 0
	s_cmp_eq_u32 s9, s13
	s_cselect_b32 s9, s10, s14
	s_delay_alu instid0(SALU_CYCLE_1) | instskip(SKIP_4) | instid1(SALU_CYCLE_1)
	s_cmp_lg_u32 s9, 0
	s_cselect_b32 s9, s34, s30
	s_cselect_b32 s10, s35, s31
	s_cmp_lg_u32 s7, 0
	s_sub_co_ci_u32 s7, s25, s27
	s_cmp_ge_u32 s7, s13
	s_cselect_b32 s14, -1, 0
	s_cmp_ge_u32 s3, s12
	s_cselect_b32 s3, -1, 0
	s_cmp_eq_u32 s7, s13
	s_cselect_b32 s3, s3, s14
	s_delay_alu instid0(SALU_CYCLE_1) | instskip(SKIP_3) | instid1(SALU_CYCLE_1)
	s_cmp_lg_u32 s3, 0
	s_cselect_b32 s13, s10, s29
	s_cselect_b32 s12, s9, s28
	s_xor_b64 s[22:23], s[22:23], 0
	s_xor_b64 s[12:13], s[12:13], s[22:23]
	s_delay_alu instid0(SALU_CYCLE_1)
	s_sub_nc_u64 s[24:25], s[12:13], s[22:23]
	s_load_b96 s[12:14], s[0:1], 0x44
	s_cbranch_execnz .LBB3_6
.LBB3_5:
	v_cvt_f32_u32_e32 v1, s16
	s_sub_co_i32 s7, 0, s16
	s_delay_alu instid0(VALU_DEP_1) | instskip(SKIP_1) | instid1(TRANS32_DEP_1)
	v_rcp_iflag_f32_e32 v1, v1
	v_nop
	v_mul_f32_e32 v1, 0x4f7ffffe, v1
	s_delay_alu instid0(VALU_DEP_1) | instskip(NEXT) | instid1(VALU_DEP_1)
	v_cvt_u32_f32_e32 v1, v1
	v_readfirstlane_b32 s3, v1
	s_mul_i32 s7, s7, s3
	s_delay_alu instid0(SALU_CYCLE_1) | instskip(NEXT) | instid1(SALU_CYCLE_1)
	s_mul_hi_u32 s7, s3, s7
	s_add_co_i32 s3, s3, s7
	s_delay_alu instid0(SALU_CYCLE_1) | instskip(NEXT) | instid1(SALU_CYCLE_1)
	s_mul_hi_u32 s3, s8, s3
	s_mul_i32 s7, s3, s16
	s_delay_alu instid0(SALU_CYCLE_1)
	s_sub_co_i32 s7, s8, s7
	s_add_co_i32 s8, s3, 1
	s_sub_co_i32 s9, s7, s16
	s_cmp_ge_u32 s7, s16
	s_cselect_b32 s3, s8, s3
	s_cselect_b32 s7, s9, s7
	s_add_co_i32 s8, s3, 1
	s_cmp_ge_u32 s7, s16
	s_cselect_b32 s24, s8, s3
.LBB3_6:
	s_delay_alu instid0(SALU_CYCLE_1)
	s_cmp_eq_u32 s20, s24
	s_mov_b64 s[8:9], 0xffffffff
	s_cselect_b32 s3, -1, 0
	s_and_b64 s[8:9], s[20:21], s[8:9]
	s_mov_b32 s23, 0
	s_wait_kmcnt 0x0
	s_mov_b32 s22, s12
	s_mov_b32 s25, s23
	s_mul_u64 s[10:11], s[8:9], s[22:23]
	s_delay_alu instid0(SALU_CYCLE_1) | instskip(SKIP_2) | instid1(SALU_CYCLE_1)
	s_add_co_i32 s7, s11, s20
	s_mul_u64 s[10:11], s[24:25], s[22:23]
	s_lshr_b32 s12, s7, s13
	s_mul_i32 s7, s12, s14
	s_delay_alu instid0(SALU_CYCLE_1) | instskip(SKIP_2) | instid1(SALU_CYCLE_1)
	s_cmp_eq_u32 s7, s20
	s_cselect_b32 s7, -1, 0
	s_add_co_i32 s10, s11, s24
	s_lshr_b32 s10, s10, s13
	s_delay_alu instid0(SALU_CYCLE_1)
	s_cmp_eq_u32 s12, s10
	s_mul_i32 s10, s10, s14
	s_cselect_b32 s11, -1, 0
	s_cmp_lg_u32 s10, s24
	s_cselect_b32 s10, -1, 0
	s_or_b32 s3, s3, s7
	s_and_b32 s10, s11, s10
	s_delay_alu instid0(SALU_CYCLE_1) | instskip(NEXT) | instid1(SALU_CYCLE_1)
	s_or_b32 s3, s3, s10
	s_and_b32 vcc_lo, exec_lo, s3
	s_cbranch_vccnz .LBB3_24
; %bb.7:
	s_load_b256 s[24:31], s[0:1], 0x20
	s_bfe_u32 s7, ttmp6, 0x40014
	s_bfe_u32 s33, ttmp6, 0x40010
	s_lshr_b32 s3, ttmp7, 16
	s_add_co_i32 s7, s7, 1
	s_and_b32 s21, ttmp7, 0xffff
	s_add_co_i32 s33, s33, 1
	s_bfe_u32 s10, ttmp6, 0x40008
	s_mul_i32 s7, s3, s7
	s_bfe_u32 s34, ttmp6, 0x40004
	s_mul_i32 s33, s21, s33
	s_mov_b32 s11, s23
	s_add_co_i32 s35, s10, s7
	s_add_co_i32 s34, s34, s33
	s_cmp_eq_u32 s15, 0
	s_cselect_b32 s7, s21, s34
	s_cselect_b32 s3, s3, s35
	s_wait_kmcnt 0x0
	s_mov_b32 s10, s24
	s_delay_alu instid0(SALU_CYCLE_1) | instskip(NEXT) | instid1(SALU_CYCLE_1)
	s_mul_u64 s[8:9], s[8:9], s[10:11]
	s_add_co_i32 s8, s9, s20
	s_load_b32 s9, s[0:1], 0x40
	s_lshr_b32 s8, s8, s25
	s_delay_alu instid0(SALU_CYCLE_1) | instskip(NEXT) | instid1(SALU_CYCLE_1)
	s_mul_i32 s10, s8, s26
	s_sub_co_i32 s10, s20, s10
	s_delay_alu instid0(SALU_CYCLE_1) | instskip(NEXT) | instid1(SALU_CYCLE_1)
	s_mul_hi_u32 s11, s10, s27
	s_add_co_i32 s11, s10, s11
	s_delay_alu instid0(SALU_CYCLE_1) | instskip(NEXT) | instid1(SALU_CYCLE_1)
	s_lshr_b32 s15, s11, s28
	s_mul_i32 s11, s15, s29
	s_delay_alu instid0(SALU_CYCLE_1) | instskip(NEXT) | instid1(SALU_CYCLE_1)
	s_sub_co_i32 s10, s10, s11
	s_mul_hi_u32 s11, s10, s30
	s_delay_alu instid0(SALU_CYCLE_1) | instskip(NEXT) | instid1(SALU_CYCLE_1)
	s_add_co_i32 s11, s10, s11
	s_lshr_b32 s26, s11, s31
	s_mov_b32 s11, s23
	s_wait_kmcnt 0x0
	s_mul_i32 s9, s26, s9
	s_delay_alu instid0(SALU_CYCLE_1) | instskip(NEXT) | instid1(SALU_CYCLE_1)
	s_sub_co_i32 s10, s10, s9
	s_mul_u64 s[24:25], s[10:11], s[22:23]
	s_lshl_b32 s24, s26, 3
	s_add_co_i32 s9, s10, s25
	s_delay_alu instid0(SALU_CYCLE_1) | instskip(NEXT) | instid1(SALU_CYCLE_1)
	s_lshr_b32 s21, s9, s13
	s_lshl_b32 s9, s21, 3
	s_delay_alu instid0(SALU_CYCLE_1) | instskip(NEXT) | instid1(SALU_CYCLE_1)
	s_add_co_i32 s9, s9, s7
	s_cmp_lt_i32 s9, s4
	s_cselect_b32 s9, -1, 0
	s_add_co_i32 s10, s24, s3
	s_delay_alu instid0(SALU_CYCLE_1) | instskip(SKIP_1) | instid1(SALU_CYCLE_1)
	s_cmp_lt_i32 s10, s6
	s_cselect_b32 s10, -1, 0
	s_and_b32 s9, s9, s10
	s_delay_alu instid0(SALU_CYCLE_1)
	s_and_not1_b32 vcc_lo, exec_lo, s9
	s_cbranch_vccnz .LBB3_24
; %bb.8:
	s_mul_i32 s4, s8, s4
	s_load_b128 s[8:11], s[0:1], 0x0
	s_wait_xcnt 0x0
	s_add_co_i32 s0, s4, s7
	s_mul_i32 s15, s15, s6
	s_mul_i32 s0, s0, s5
	;; [unrolled: 1-line block ×3, first 2 shown]
	s_add_co_i32 s0, s0, s3
	s_lshl_b32 s1, s1, 9
	s_add_co_i32 s0, s0, s15
	s_lshl_b32 s15, s7, 3
	s_add_co_i32 s0, s0, s24
	s_add_co_i32 s15, s15, s3
	s_lshl_b32 s0, s0, 6
	v_lshl_or_b32 v6, s15, 6, v0
	s_add_co_i32 s1, s1, s0
	v_cvt_f32_u32_e32 v4, s16
	v_or_b32_e32 v2, s1, v0
	s_add_nc_u64 s[0:1], s[16:17], 0
	s_lshl_b32 s24, s16, 8
	s_xor_b64 s[6:7], s[0:1], 0
	s_lshl_b32 s0, s2, 6
	s_cvt_f32_u32 s3, s6
	s_add_co_i32 s0, s15, s0
	s_cvt_f32_u32 s4, s7
	s_ashr_i32 s1, s0, 31
	v_rcp_iflag_f32_e32 v4, v4
	s_lshl_b64 s[0:1], s[0:1], 3
	s_fmamk_f32 s3, s4, 0x4f800000, s3
	s_wait_kmcnt 0x0
	s_add_nc_u64 s[0:1], s[10:11], s[0:1]
	s_mov_b32 s25, 0
	s_load_b64 s[28:29], s[0:1], 0x0
	v_s_rcp_f32 s3, s3
	s_wait_xcnt 0x0
	s_lshl_b64 s[0:1], s[24:25], 2
	s_add_co_i32 s36, s2, -1
	s_add_nc_u64 s[26:27], s[10:11], s[0:1]
	s_sub_nc_u64 s[34:35], 0, s[6:7]
	v_mul_f32_e32 v4, 0x4f7ffffe, v4
	s_delay_alu instid0(TRANS32_DEP_1) | instskip(NEXT) | instid1(VALU_DEP_1)
	s_mul_f32 s3, s3, 0x5f7ffffc
	v_cvt_u32_f32_e32 v7, v4
	s_delay_alu instid0(SALU_CYCLE_2) | instskip(NEXT) | instid1(SALU_CYCLE_3)
	s_mul_f32 s4, s3, 0x2f800000
	s_trunc_f32 s4, s4
	s_wait_kmcnt 0x0
	v_mov_b32_e32 v0, s29
	global_load_b32 v1, v2, s[8:9] scale_offset
	v_ashrrev_i32_e32 v3, 31, v2
	s_fmamk_f32 s0, s4, 0xcf800000, s3
	s_cvt_u32_f32 s31, s4
	s_wait_xcnt 0x0
	s_delay_alu instid0(VALU_DEP_1)
	v_lshl_add_u64 v[2:3], v[2:3], 2, s[8:9]
	s_cvt_u32_f32 s30, s0
	s_mov_b64 s[8:9], 0xffffffff
.LBB3_9:                                ; =>This Inner Loop Header: Depth=1
	s_ashr_i32 s37, s36, 31
                                        ; implicit-def: $sgpr40_sgpr41
	s_delay_alu instid0(SALU_CYCLE_1) | instskip(NEXT) | instid1(SALU_CYCLE_1)
	s_mul_u64 s[0:1], s[36:37], s[18:19]
	s_and_b64 s[2:3], s[0:1], 0xffffffff00000000
	s_delay_alu instid0(SALU_CYCLE_1)
	s_cmp_lg_u64 s[2:3], 0
	s_mov_b32 s2, -1
	s_cbranch_scc0 .LBB3_11
; %bb.10:                               ;   in Loop: Header=BB3_9 Depth=1
	s_mul_u64 s[2:3], s[34:35], s[30:31]
	s_delay_alu instid0(SALU_CYCLE_1)
	s_mul_hi_u32 s5, s30, s3
	s_mul_i32 s4, s30, s3
	s_mul_hi_u32 s24, s30, s2
	s_mul_hi_u32 s17, s31, s2
	s_add_nc_u64 s[4:5], s[24:25], s[4:5]
	s_mul_i32 s2, s31, s2
	s_mul_hi_u32 s21, s31, s3
	s_add_co_u32 s2, s4, s2
	s_add_co_ci_u32 s24, s5, s17
	s_add_co_ci_u32 s5, s21, 0
	s_mul_i32 s4, s31, s3
	s_delay_alu instid0(SALU_CYCLE_1) | instskip(NEXT) | instid1(SALU_CYCLE_1)
	s_add_nc_u64 s[2:3], s[24:25], s[4:5]
	s_add_co_u32 s2, s30, s2
	s_cselect_b32 s4, -1, 0
	s_delay_alu instid0(SALU_CYCLE_1) | instskip(SKIP_1) | instid1(SALU_CYCLE_1)
	s_cmp_lg_u32 s4, 0
	s_add_co_ci_u32 s3, s31, s3
	s_mul_u64 s[4:5], s[34:35], s[2:3]
	s_delay_alu instid0(SALU_CYCLE_1)
	s_mul_hi_u32 s39, s2, s5
	s_mul_i32 s38, s2, s5
	s_mul_hi_u32 s24, s2, s4
	s_mul_hi_u32 s17, s3, s4
	s_mul_i32 s4, s3, s4
	s_add_nc_u64 s[38:39], s[24:25], s[38:39]
	s_mul_hi_u32 s21, s3, s5
	s_add_co_u32 s4, s38, s4
	s_add_co_ci_u32 s24, s39, s17
	s_mul_i32 s4, s3, s5
	s_add_co_ci_u32 s5, s21, 0
	s_delay_alu instid0(SALU_CYCLE_1) | instskip(NEXT) | instid1(SALU_CYCLE_1)
	s_add_nc_u64 s[4:5], s[24:25], s[4:5]
	s_add_co_u32 s17, s2, s4
	s_cselect_b32 s2, -1, 0
	s_delay_alu instid0(SALU_CYCLE_1) | instskip(SKIP_2) | instid1(SALU_CYCLE_1)
	s_cmp_lg_u32 s2, 0
	s_add_co_ci_u32 s21, s3, s5
	s_ashr_i32 s2, s1, 31
	s_mov_b32 s3, s2
	s_delay_alu instid0(SALU_CYCLE_1) | instskip(NEXT) | instid1(SALU_CYCLE_1)
	s_add_nc_u64 s[4:5], s[0:1], s[2:3]
	s_xor_b64 s[4:5], s[4:5], s[2:3]
	s_delay_alu instid0(SALU_CYCLE_1)
	s_mul_hi_u32 s39, s4, s21
	s_mul_i32 s38, s4, s21
	s_mul_hi_u32 s24, s4, s17
	s_mul_hi_u32 s29, s5, s17
	s_mul_i32 s17, s5, s17
	s_add_nc_u64 s[38:39], s[24:25], s[38:39]
	s_mul_hi_u32 s1, s5, s21
	s_add_co_u32 s17, s38, s17
	s_add_co_ci_u32 s24, s39, s29
	s_mul_i32 s40, s5, s21
	s_add_co_ci_u32 s41, s1, 0
	s_delay_alu instid0(SALU_CYCLE_1) | instskip(NEXT) | instid1(SALU_CYCLE_1)
	s_add_nc_u64 s[38:39], s[24:25], s[40:41]
	s_and_b64 s[40:41], s[38:39], 0xffffffff00000000
	s_delay_alu instid0(SALU_CYCLE_1) | instskip(NEXT) | instid1(SALU_CYCLE_1)
	s_or_b32 s40, s40, s38
	s_mul_u64 s[38:39], s[6:7], s[40:41]
	s_add_nc_u64 s[42:43], s[40:41], 1
	s_sub_co_u32 s1, s4, s38
	s_cselect_b32 s4, -1, 0
	s_sub_co_i32 s17, s5, s39
	s_cmp_lg_u32 s4, 0
	s_add_nc_u64 s[44:45], s[40:41], 2
	s_sub_co_ci_u32 s17, s17, s7
	s_sub_co_u32 s21, s1, s6
	s_cselect_b32 s24, -1, 0
	s_delay_alu instid0(SALU_CYCLE_1) | instskip(SKIP_1) | instid1(SALU_CYCLE_1)
	s_cmp_lg_u32 s24, 0
	s_sub_co_ci_u32 s17, s17, 0
	s_cmp_ge_u32 s17, s7
	s_cselect_b32 s24, -1, 0
	s_cmp_ge_u32 s21, s6
	s_cselect_b32 s21, -1, 0
	s_cmp_eq_u32 s17, s7
	s_cselect_b32 s17, s21, s24
	s_delay_alu instid0(SALU_CYCLE_1) | instskip(SKIP_4) | instid1(SALU_CYCLE_1)
	s_cmp_lg_u32 s17, 0
	s_cselect_b32 s17, s44, s42
	s_cselect_b32 s21, s45, s43
	s_cmp_lg_u32 s4, 0
	s_sub_co_ci_u32 s4, s5, s39
	s_cmp_ge_u32 s4, s7
	s_cselect_b32 s5, -1, 0
	s_cmp_ge_u32 s1, s6
	s_cselect_b32 s1, -1, 0
	s_cmp_eq_u32 s4, s7
	s_cselect_b32 s1, s1, s5
	s_delay_alu instid0(SALU_CYCLE_1) | instskip(SKIP_3) | instid1(SALU_CYCLE_1)
	s_cmp_lg_u32 s1, 0
	s_cselect_b32 s5, s21, s41
	s_cselect_b32 s4, s17, s40
	s_xor_b64 s[2:3], s[2:3], 0
	s_xor_b64 s[4:5], s[4:5], s[2:3]
	s_delay_alu instid0(SALU_CYCLE_1)
	s_sub_nc_u64 s[40:41], s[4:5], s[2:3]
	s_mov_b32 s2, 0
.LBB3_11:                               ;   in Loop: Header=BB3_9 Depth=1
	s_delay_alu instid0(SALU_CYCLE_1)
	s_and_not1_b32 vcc_lo, exec_lo, s2
	s_cbranch_vccnz .LBB3_13
; %bb.12:                               ;   in Loop: Header=BB3_9 Depth=1
	v_readfirstlane_b32 s1, v7
	s_sub_co_i32 s2, 0, s16
	s_delay_alu instid0(SALU_CYCLE_1) | instskip(NEXT) | instid1(SALU_CYCLE_1)
	s_mul_i32 s2, s2, s1
	s_mul_hi_u32 s2, s1, s2
	s_delay_alu instid0(SALU_CYCLE_1) | instskip(NEXT) | instid1(SALU_CYCLE_1)
	s_add_co_i32 s1, s1, s2
	s_mul_hi_u32 s1, s0, s1
	s_delay_alu instid0(SALU_CYCLE_1) | instskip(NEXT) | instid1(SALU_CYCLE_1)
	s_mul_i32 s2, s1, s16
	s_sub_co_i32 s0, s0, s2
	s_add_co_i32 s2, s1, 1
	s_sub_co_i32 s3, s0, s16
	s_cmp_ge_u32 s0, s16
	s_cselect_b32 s1, s2, s1
	s_cselect_b32 s0, s3, s0
	s_add_co_i32 s2, s1, 1
	s_cmp_ge_u32 s0, s16
	s_cselect_b32 s24, s2, s1
	s_delay_alu instid0(SALU_CYCLE_1)
	s_mov_b64 s[40:41], s[24:25]
.LBB3_13:                               ;   in Loop: Header=BB3_9 Depth=1
	s_delay_alu instid0(SALU_CYCLE_1)
	s_cmp_lg_u32 s20, s40
	s_mov_b32 s0, -1
                                        ; implicit-def: $vgpr4_vgpr5
                                        ; implicit-def: $sgpr24
                                        ; implicit-def: $sgpr17
                                        ; implicit-def: $sgpr21
                                        ; implicit-def: $sgpr29
	s_cbranch_scc0 .LBB3_18
; %bb.14:                               ;   in Loop: Header=BB3_9 Depth=1
	s_add_co_i32 s0, s36, s16
	v_max_num_f32_e64 v4, s28, s28
	s_lshl_b32 s0, s0, 6
	s_mov_b32 s29, s20
	s_add_co_i32 s0, s0, s15
	s_load_b64 s[38:39], s[10:11], s0 offset:0x0 scale_offset
	s_wait_xcnt 0x0
	v_readfirstlane_b32 s0, v4
	s_wait_kmcnt 0x0
	v_max_num_f32_e64 v5, s38, s38
	s_delay_alu instid0(VALU_DEP_1) | instskip(SKIP_1) | instid1(SALU_CYCLE_3)
	v_readfirstlane_b32 s1, v5
	s_max_num_f32 s17, s0, s1
	s_sub_f32 s33, s28, s17
	s_sub_f32 s37, s38, s17
	s_delay_alu instid0(SALU_CYCLE_2)
	s_cmp_nlt_f32 s33, 0xc2ce8ed0
	s_cselect_b32 s1, -1, 0
	s_cmp_ngt_f32 s33, 0x42b17218
	s_cselect_b32 s2, -1, 0
	s_cmp_ge_f32 s33, 0xc1a00000
	s_cselect_b32 s0, -1, 0
	s_cmp_nlt_f32 s37, 0xc2ce8ed0
	s_cselect_b32 s3, -1, 0
	s_cmp_ngt_f32 s37, 0x42b17218
	s_cselect_b32 s4, -1, 0
	s_cmp_ge_f32 s37, 0xc1a00000
	s_cselect_b32 s5, -1, 0
	s_and_b64 s[42:43], s[40:41], s[8:9]
	s_delay_alu instid0(SALU_CYCLE_1) | instskip(NEXT) | instid1(SALU_CYCLE_1)
	s_mul_u64 s[42:43], s[42:43], s[22:23]
	s_add_co_i32 s21, s43, s40
	s_delay_alu instid0(SALU_CYCLE_1) | instskip(NEXT) | instid1(SALU_CYCLE_1)
	s_lshr_b32 s21, s21, s13
	s_mul_i32 s24, s21, s14
	s_delay_alu instid0(SALU_CYCLE_1) | instskip(SKIP_3) | instid1(SALU_CYCLE_1)
	s_cmp_eq_u32 s24, s40
	s_cselect_b32 s24, -1, 0
	s_cmp_lt_u32 s21, s12
	s_cselect_b32 s21, -1, 0
	s_or_b32 s21, s21, s24
	s_mov_b32 s24, -1
	s_and_b32 vcc_lo, exec_lo, s21
	s_mov_b32 s21, s36
	s_cbranch_vccnz .LBB3_16
; %bb.15:                               ;   in Loop: Header=BB3_9 Depth=1
	s_add_co_i32 s21, s36, -1
	s_mov_b32 s24, 0
	s_mov_b32 s29, s40
.LBB3_16:                               ;   in Loop: Header=BB3_9 Depth=1
	v_lshl_add_u32 v4, s36, 12, v6
	s_mul_f32 s40, s33, 0x3fb8aa3b
	s_mul_f32 s38, s37, 0x3fb8aa3b
	s_delay_alu instid0(SALU_CYCLE_2)
	s_xor_b32 s42, s40, 0x80000000
	global_load_b32 v5, v4, s[26:27] scale_offset
	s_fmamk_f32 s42, s33, 0x3fb8aa3b, s42
	s_rndne_f32 s44, s40
	s_xor_b32 s41, s38, 0x80000000
	s_rndne_f32 s43, s38
	s_fmamk_f32 s33, s33, 0x32a5705f, s42
	s_sub_f32 s40, s40, s44
	s_fmamk_f32 s41, s37, 0x3fb8aa3b, s41
	s_sub_f32 s38, s38, s43
	s_delay_alu instid0(SALU_CYCLE_1) | instskip(NEXT) | instid1(SALU_CYCLE_1)
	s_add_f32 s33, s40, s33
	s_fmamk_f32 s37, s37, 0x32a5705f, s41
	s_cvt_i32_f32 s40, s44
	s_delay_alu instid0(SALU_CYCLE_1) | instskip(NEXT) | instid1(SALU_CYCLE_1)
	v_s_exp_f32 s33, s33
	s_add_f32 s37, s38, s37
	s_cvt_i32_f32 s38, s43
	s_delay_alu instid0(SALU_CYCLE_2) | instskip(NEXT) | instid1(TRANS32_DEP_2)
	v_s_exp_f32 s37, s37
	v_ldexp_f32 v8, s33, s40
	s_wait_xcnt 0x0
	s_delay_alu instid0(TRANS32_DEP_1) | instskip(NEXT) | instid1(VALU_DEP_2)
	v_ldexp_f32 v4, s37, s38
	v_cndmask_b32_e64 v8, 0, v8, s1
	s_delay_alu instid0(VALU_DEP_1) | instskip(NEXT) | instid1(VALU_DEP_1)
	v_cndmask_b32_e64 v9, 0x7f800000, v8, s2
	v_dual_cndmask_b32 v4, 0, v4, s3 :: v_dual_cndmask_b32 v10, 0, v9, s0
	s_delay_alu instid0(VALU_DEP_1) | instskip(NEXT) | instid1(VALU_DEP_1)
	v_cndmask_b32_e64 v4, 0x7f800000, v4, s4
	v_dual_cndmask_b32 v8, 0, v4, s5 :: v_dual_mov_b32 v4, s39
	s_wait_loadcnt 0x0
	s_delay_alu instid0(VALU_DEP_1) | instskip(NEXT) | instid1(VALU_DEP_1)
	v_pk_mul_f32 v[4:5], v[4:5], v[8:9] op_sel_hi:[1,0]
	v_pk_fma_f32 v[4:5], v[0:1], v[10:11], v[4:5] op_sel_hi:[1,0,1]
	s_cbranch_execz .LBB3_19
.LBB3_17:                               ;   in Loop: Header=BB3_9 Depth=1
	s_and_not1_b32 vcc_lo, exec_lo, s24
	s_cbranch_vccnz .LBB3_20
	s_branch .LBB3_23
.LBB3_18:                               ;   in Loop: Header=BB3_9 Depth=1
	s_and_not1_b32 vcc_lo, exec_lo, s0
	s_cbranch_vccnz .LBB3_17
.LBB3_19:                               ;   in Loop: Header=BB3_9 Depth=1
	s_wait_loadcnt 0x0
	v_mov_b64_e32 v[4:5], v[0:1]
	s_add_co_i32 s21, s36, -1
	s_mov_b32 s29, s20
	s_mov_b32 s17, s28
	s_cbranch_execz .LBB3_23
.LBB3_20:                               ;   in Loop: Header=BB3_9 Depth=1
	s_wait_loadcnt 0x0
	s_delay_alu instid0(VALU_DEP_1)
	v_mov_b64_e32 v[0:1], v[4:5]
	s_mov_b32 s20, s29
	s_mov_b32 s36, s21
	;; [unrolled: 1-line block ×3, first 2 shown]
	s_branch .LBB3_9
.LBB3_21:
                                        ; implicit-def: $sgpr20_sgpr21
	s_branch .LBB3_2
.LBB3_22:
                                        ; implicit-def: $sgpr24_sgpr25
	s_load_b96 s[12:14], s[0:1], 0x44
	s_branch .LBB3_5
.LBB3_23:
	s_delay_alu instid0(VALU_DEP_1) | instskip(SKIP_1) | instid1(VALU_DEP_1)
	v_div_scale_f32 v0, null, v4, v4, v5
	s_wait_loadcnt 0x0
	v_rcp_f32_e32 v1, v0
	v_nop
	s_delay_alu instid0(TRANS32_DEP_1) | instskip(NEXT) | instid1(VALU_DEP_1)
	v_fma_f32 v6, -v0, v1, 1.0
	v_fmac_f32_e32 v1, v6, v1
	v_div_scale_f32 v6, vcc_lo, v5, v4, v5
	s_delay_alu instid0(VALU_DEP_1) | instskip(NEXT) | instid1(VALU_DEP_1)
	v_mul_f32_e32 v7, v6, v1
	v_fma_f32 v8, -v0, v7, v6
	s_delay_alu instid0(VALU_DEP_1) | instskip(NEXT) | instid1(VALU_DEP_1)
	v_fmac_f32_e32 v7, v8, v1
	v_fma_f32 v0, -v0, v7, v6
	s_delay_alu instid0(VALU_DEP_1) | instskip(NEXT) | instid1(VALU_DEP_1)
	v_div_fmas_f32 v0, v0, v1, v7
	v_div_fixup_f32 v0, v0, v4, v5
	global_store_b32 v[2:3], v0, off
.LBB3_24:
	s_endpgm
	.section	.rodata,"a",@progbits
	.p2align	6, 0x0
	.amdhsa_kernel _ZL33flash_attn_stream_k_fixup_generalILi64ELi8ELi8EEvPfPK15HIP_vector_typeIfLj2EEiiiiS1_IjLj3EES5_S5_S5_
		.amdhsa_group_segment_fixed_size 0
		.amdhsa_private_segment_fixed_size 0
		.amdhsa_kernarg_size 336
		.amdhsa_user_sgpr_count 2
		.amdhsa_user_sgpr_dispatch_ptr 0
		.amdhsa_user_sgpr_queue_ptr 0
		.amdhsa_user_sgpr_kernarg_segment_ptr 1
		.amdhsa_user_sgpr_dispatch_id 0
		.amdhsa_user_sgpr_kernarg_preload_length 0
		.amdhsa_user_sgpr_kernarg_preload_offset 0
		.amdhsa_user_sgpr_private_segment_size 0
		.amdhsa_wavefront_size32 1
		.amdhsa_uses_dynamic_stack 0
		.amdhsa_enable_private_segment 0
		.amdhsa_system_sgpr_workgroup_id_x 1
		.amdhsa_system_sgpr_workgroup_id_y 1
		.amdhsa_system_sgpr_workgroup_id_z 1
		.amdhsa_system_sgpr_workgroup_info 0
		.amdhsa_system_vgpr_workitem_id 0
		.amdhsa_next_free_vgpr 12
		.amdhsa_next_free_sgpr 46
		.amdhsa_named_barrier_count 0
		.amdhsa_reserve_vcc 1
		.amdhsa_float_round_mode_32 0
		.amdhsa_float_round_mode_16_64 0
		.amdhsa_float_denorm_mode_32 3
		.amdhsa_float_denorm_mode_16_64 3
		.amdhsa_fp16_overflow 0
		.amdhsa_memory_ordered 1
		.amdhsa_forward_progress 1
		.amdhsa_inst_pref_size 27
		.amdhsa_round_robin_scheduling 0
		.amdhsa_exception_fp_ieee_invalid_op 0
		.amdhsa_exception_fp_denorm_src 0
		.amdhsa_exception_fp_ieee_div_zero 0
		.amdhsa_exception_fp_ieee_overflow 0
		.amdhsa_exception_fp_ieee_underflow 0
		.amdhsa_exception_fp_ieee_inexact 0
		.amdhsa_exception_int_div_zero 0
	.end_amdhsa_kernel
	.section	.text._ZL33flash_attn_stream_k_fixup_generalILi64ELi8ELi8EEvPfPK15HIP_vector_typeIfLj2EEiiiiS1_IjLj3EES5_S5_S5_,"axG",@progbits,_ZL33flash_attn_stream_k_fixup_generalILi64ELi8ELi8EEvPfPK15HIP_vector_typeIfLj2EEiiiiS1_IjLj3EES5_S5_S5_,comdat
.Lfunc_end3:
	.size	_ZL33flash_attn_stream_k_fixup_generalILi64ELi8ELi8EEvPfPK15HIP_vector_typeIfLj2EEiiiiS1_IjLj3EES5_S5_S5_, .Lfunc_end3-_ZL33flash_attn_stream_k_fixup_generalILi64ELi8ELi8EEvPfPK15HIP_vector_typeIfLj2EEiiiiS1_IjLj3EES5_S5_S5_
                                        ; -- End function
	.set _ZL33flash_attn_stream_k_fixup_generalILi64ELi8ELi8EEvPfPK15HIP_vector_typeIfLj2EEiiiiS1_IjLj3EES5_S5_S5_.num_vgpr, 12
	.set _ZL33flash_attn_stream_k_fixup_generalILi64ELi8ELi8EEvPfPK15HIP_vector_typeIfLj2EEiiiiS1_IjLj3EES5_S5_S5_.num_agpr, 0
	.set _ZL33flash_attn_stream_k_fixup_generalILi64ELi8ELi8EEvPfPK15HIP_vector_typeIfLj2EEiiiiS1_IjLj3EES5_S5_S5_.numbered_sgpr, 46
	.set _ZL33flash_attn_stream_k_fixup_generalILi64ELi8ELi8EEvPfPK15HIP_vector_typeIfLj2EEiiiiS1_IjLj3EES5_S5_S5_.num_named_barrier, 0
	.set _ZL33flash_attn_stream_k_fixup_generalILi64ELi8ELi8EEvPfPK15HIP_vector_typeIfLj2EEiiiiS1_IjLj3EES5_S5_S5_.private_seg_size, 0
	.set _ZL33flash_attn_stream_k_fixup_generalILi64ELi8ELi8EEvPfPK15HIP_vector_typeIfLj2EEiiiiS1_IjLj3EES5_S5_S5_.uses_vcc, 1
	.set _ZL33flash_attn_stream_k_fixup_generalILi64ELi8ELi8EEvPfPK15HIP_vector_typeIfLj2EEiiiiS1_IjLj3EES5_S5_S5_.uses_flat_scratch, 0
	.set _ZL33flash_attn_stream_k_fixup_generalILi64ELi8ELi8EEvPfPK15HIP_vector_typeIfLj2EEiiiiS1_IjLj3EES5_S5_S5_.has_dyn_sized_stack, 0
	.set _ZL33flash_attn_stream_k_fixup_generalILi64ELi8ELi8EEvPfPK15HIP_vector_typeIfLj2EEiiiiS1_IjLj3EES5_S5_S5_.has_recursion, 0
	.set _ZL33flash_attn_stream_k_fixup_generalILi64ELi8ELi8EEvPfPK15HIP_vector_typeIfLj2EEiiiiS1_IjLj3EES5_S5_S5_.has_indirect_call, 0
	.section	.AMDGPU.csdata,"",@progbits
; Kernel info:
; codeLenInByte = 3360
; TotalNumSgprs: 48
; NumVgprs: 12
; ScratchSize: 0
; MemoryBound: 0
; FloatMode: 240
; IeeeMode: 1
; LDSByteSize: 0 bytes/workgroup (compile time only)
; SGPRBlocks: 0
; VGPRBlocks: 0
; NumSGPRsForWavesPerEU: 48
; NumVGPRsForWavesPerEU: 12
; NamedBarCnt: 0
; Occupancy: 16
; WaveLimiterHint : 0
; COMPUTE_PGM_RSRC2:SCRATCH_EN: 0
; COMPUTE_PGM_RSRC2:USER_SGPR: 2
; COMPUTE_PGM_RSRC2:TRAP_HANDLER: 0
; COMPUTE_PGM_RSRC2:TGID_X_EN: 1
; COMPUTE_PGM_RSRC2:TGID_Y_EN: 1
; COMPUTE_PGM_RSRC2:TGID_Z_EN: 1
; COMPUTE_PGM_RSRC2:TIDIG_COMP_CNT: 0
	.section	.text._ZL26flash_attn_combine_resultsILi64EEvPKfPK15HIP_vector_typeIfLj2EEPfi,"axG",@progbits,_ZL26flash_attn_combine_resultsILi64EEvPKfPK15HIP_vector_typeIfLj2EEPfi,comdat
	.globl	_ZL26flash_attn_combine_resultsILi64EEvPKfPK15HIP_vector_typeIfLj2EEPfi ; -- Begin function _ZL26flash_attn_combine_resultsILi64EEvPKfPK15HIP_vector_typeIfLj2EEPfi
	.p2align	8
	.type	_ZL26flash_attn_combine_resultsILi64EEvPKfPK15HIP_vector_typeIfLj2EEPfi,@function
_ZL26flash_attn_combine_resultsILi64EEvPKfPK15HIP_vector_typeIfLj2EEPfi: ; @_ZL26flash_attn_combine_resultsILi64EEvPKfPK15HIP_vector_typeIfLj2EEPfi
; %bb.0:
	s_clause 0x2
	s_load_b128 s[4:7], s[0:1], 0x0
	s_load_b96 s[8:10], s[0:1], 0x10
	s_load_b64 s[2:3], s[0:1], 0x20
	s_bfe_u32 s11, ttmp6, 0x4000c
	s_wait_xcnt 0x0
	s_and_b32 s0, ttmp6, 15
	s_add_co_i32 s11, s11, 1
	s_and_b32 s12, ttmp7, 0xffff
	s_mul_i32 s1, ttmp9, s11
	s_bfe_u32 s11, ttmp6, 0x40010
	s_bfe_u32 s13, ttmp6, 0x40014
	s_add_co_i32 s11, s11, 1
	s_add_co_i32 s0, s0, s1
	s_mul_i32 s1, s12, s11
	s_bfe_u32 s11, ttmp6, 0x40004
	s_lshr_b32 s14, ttmp7, 16
	s_add_co_i32 s13, s13, 1
	s_add_co_i32 s11, s11, s1
	s_mul_i32 s1, s14, s13
	s_bfe_u32 s13, ttmp6, 0x40008
	s_getreg_b32 s15, hwreg(HW_REG_IB_STS2, 6, 4)
	s_add_co_i32 s13, s13, s1
	s_cmp_eq_u32 s15, 0
	v_mov_b32_e32 v2, v0
	s_cselect_b32 s1, s14, s13
	s_cselect_b32 s0, ttmp9, s0
	s_wait_kmcnt 0x0
	s_mul_i32 s1, s2, s1
	s_cselect_b32 s2, s12, s11
	s_add_co_i32 s0, s1, s0
	s_lshl_b32 s12, s10, 1
	s_mul_i32 s11, s0, s3
	s_mov_b32 s13, exec_lo
	s_add_co_i32 s11, s11, s2
	s_delay_alu instid0(SALU_CYCLE_1)
	s_mul_i32 s2, s11, s10
	v_cmpx_gt_i32_e64 s12, v0
	s_cbranch_execz .LBB4_13
; %bb.1:
	v_xad_u32 v1, v0, -1, s12
	s_ashr_i32 s3, s2, 31
	s_mov_b32 s0, -1
	s_mov_b32 s14, exec_lo
	s_delay_alu instid0(VALU_DEP_1)
	v_cmpx_lt_u32_e32 63, v1
	s_cbranch_execz .LBB4_10
; %bb.2:
	v_lshrrev_b32_e32 v6, 6, v1
	s_lshl_b64 s[0:1], s[2:3], 3
	v_or_b32_e32 v1, 64, v0
	s_add_nc_u64 s[0:1], s[6:7], s[0:1]
	s_delay_alu instid0(VALU_DEP_2) | instskip(NEXT) | instid1(VALU_DEP_1)
	v_add_nc_u32_e32 v2, -1, v6
	v_dual_mov_b32 v4, 0 :: v_dual_lshrrev_b32 v3, 1, v2
	v_cmp_lt_u32_e32 vcc_lo, 13, v2
	s_delay_alu instid0(VALU_DEP_2)
	v_add_nc_u32_e32 v7, 1, v3
	v_mov_b64_e32 v[2:3], v[0:1]
	s_and_saveexec_b32 s15, vcc_lo
	s_cbranch_execz .LBB4_6
; %bb.3:
	v_mov_b64_e32 v[2:3], v[0:1]
	v_dual_mov_b32 v5, 0 :: v_dual_bitop2_b32 v8, -8, v7 bitop3:0x40
	v_lshl_add_u32 v9, v0, 2, 0
	s_mov_b32 s16, 0
	s_mov_b32 s17, 0
.LBB4_4:                                ; =>This Inner Loop Header: Depth=1
	s_delay_alu instid0(VALU_DEP_2) | instskip(NEXT) | instid1(VALU_DEP_4)
	v_dual_mov_b32 v4, v2 :: v_dual_mov_b32 v11, v5
	v_dual_mov_b32 v13, v5 :: v_dual_add_nc_u32 v10, 0x80, v3
	v_dual_mov_b32 v15, v5 :: v_dual_add_nc_u32 v12, 0x100, v3
	s_delay_alu instid0(VALU_DEP_3) | instskip(SKIP_1) | instid1(VALU_DEP_4)
	v_lshl_add_u64 v[24:25], v[4:5], 2, s[0:1]
	v_dual_mov_b32 v4, v3 :: v_dual_add_nc_u32 v8, -8, v8
	v_lshl_add_u64 v[10:11], v[10:11], 2, s[0:1]
	v_dual_mov_b32 v17, v5 :: v_dual_add_nc_u32 v14, 0x180, v3
	s_delay_alu instid0(VALU_DEP_3)
	v_lshl_add_u64 v[26:27], v[4:5], 2, s[0:1]
	v_add_nc_u32_e32 v4, 0x80, v2
	global_load_b32 v1, v[24:25], off
	v_lshl_add_u64 v[12:13], v[12:13], 2, s[0:1]
	v_dual_mov_b32 v19, v5 :: v_dual_add_nc_u32 v16, 0x200, v3
	global_load_b32 v28, v[26:27], off
	s_wait_xcnt 0x1
	v_lshl_add_u64 v[24:25], v[4:5], 2, s[0:1]
	v_add_nc_u32_e32 v4, 0x100, v2
	s_clause 0x1
	global_load_b32 v29, v[24:25], off
	global_load_b32 v30, v[10:11], off
	s_wait_xcnt 0x2
	v_lshl_add_u64 v[26:27], v[4:5], 2, s[0:1]
	v_add_nc_u32_e32 v4, 0x180, v2
	s_clause 0x1
	global_load_b32 v24, v[26:27], off
	global_load_b32 v25, v[12:13], off
	s_wait_xcnt 0x2
	v_lshl_add_u64 v[10:11], v[4:5], 2, s[0:1]
	v_add_nc_u32_e32 v4, 0x200, v2
	v_lshl_add_u64 v[14:15], v[14:15], 2, s[0:1]
	s_clause 0x1
	global_load_b32 v26, v[10:11], off
	global_load_b32 v27, v[14:15], off
	s_wait_xcnt 0x2
	v_lshl_add_u64 v[12:13], v[4:5], 2, s[0:1]
	v_add_nc_u32_e32 v4, 0x280, v2
	v_dual_mov_b32 v21, v5 :: v_dual_add_nc_u32 v18, 0x280, v3
	v_lshl_add_u64 v[16:17], v[16:17], 2, s[0:1]
	v_dual_mov_b32 v23, v5 :: v_dual_add_nc_u32 v20, 0x300, v3
	s_wait_xcnt 0x1
	v_lshl_add_u64 v[10:11], v[4:5], 2, s[0:1]
	v_add_nc_u32_e32 v4, 0x300, v2
	s_clause 0x1
	global_load_b32 v14, v[12:13], off
	global_load_b32 v15, v[16:17], off
	v_add_nc_u32_e32 v22, 0x380, v3
	v_lshl_add_u64 v[18:19], v[18:19], 2, s[0:1]
	v_lshl_add_u64 v[20:21], v[20:21], 2, s[0:1]
	s_wait_xcnt 0x1
	v_lshl_add_u64 v[12:13], v[4:5], 2, s[0:1]
	v_add_nc_u32_e32 v4, 0x380, v2
	s_clause 0x1
	global_load_b32 v16, v[10:11], off
	global_load_b32 v17, v[18:19], off
	v_lshl_add_u64 v[22:23], v[22:23], 2, s[0:1]
	s_add_co_i32 s17, s17, 16
	v_cmp_eq_u32_e32 vcc_lo, 0, v8
	s_wait_xcnt 0x1
	v_lshl_add_u64 v[10:11], v[4:5], 2, s[0:1]
	s_clause 0x3
	global_load_b32 v18, v[12:13], off
	global_load_b32 v19, v[20:21], off
	;; [unrolled: 1-line block ×4, first 2 shown]
	v_dual_mov_b32 v4, s17 :: v_dual_add_nc_u32 v3, 0x400, v3
	v_add_nc_u32_e32 v2, 0x400, v2
	s_or_b32 s16, vcc_lo, s16
	s_wait_loadcnt 0xe
	ds_store_2addr_stride64_b32 v9, v1, v28 offset1:1
	s_wait_loadcnt 0xc
	ds_store_2addr_stride64_b32 v9, v29, v30 offset0:2 offset1:3
	s_wait_loadcnt 0xa
	ds_store_2addr_stride64_b32 v9, v24, v25 offset0:4 offset1:5
	;; [unrolled: 2-line block ×7, first 2 shown]
	v_add_nc_u32_e32 v9, 0x1000, v9
	s_wait_xcnt 0x0
	s_and_not1_b32 exec_lo, exec_lo, s16
	s_cbranch_execnz .LBB4_4
; %bb.5:
	s_or_b32 exec_lo, exec_lo, s16
.LBB4_6:
	s_delay_alu instid0(SALU_CYCLE_1) | instskip(SKIP_3) | instid1(VALU_DEP_1)
	s_or_b32 exec_lo, exec_lo, s15
	v_and_b32_e32 v1, 7, v7
	s_mov_b32 s16, 0
	s_mov_b32 s15, exec_lo
	v_cmpx_ne_u32_e32 0, v1
	s_cbranch_execz .LBB4_9
; %bb.7:
	v_lshlrev_b32_e32 v5, 2, v0
	s_delay_alu instid0(VALU_DEP_1) | instskip(NEXT) | instid1(VALU_DEP_1)
	v_lshl_or_b32 v4, v4, 8, v5
	v_dual_mov_b32 v5, 0 :: v_dual_add_nc_u32 v7, 0, v4
.LBB4_8:                                ; =>This Inner Loop Header: Depth=1
	v_dual_mov_b32 v4, v2 :: v_dual_add_nc_u32 v1, -1, v1
	v_add_nc_u32_e32 v2, 0x80, v2
	s_delay_alu instid0(VALU_DEP_2) | instskip(SKIP_1) | instid1(VALU_DEP_4)
	v_lshl_add_u64 v[8:9], v[4:5], 2, s[0:1]
	v_dual_mov_b32 v4, v3 :: v_dual_add_nc_u32 v3, 0x80, v3
	v_cmp_eq_u32_e32 vcc_lo, 0, v1
	s_delay_alu instid0(VALU_DEP_2)
	v_lshl_add_u64 v[10:11], v[4:5], 2, s[0:1]
	s_clause 0x1
	global_load_b32 v4, v[8:9], off
	global_load_b32 v12, v[10:11], off
	s_or_b32 s16, vcc_lo, s16
	s_wait_loadcnt 0x0
	ds_store_2addr_stride64_b32 v7, v4, v12 offset1:1
	v_add_nc_u32_e32 v7, 0x200, v7
	s_and_not1_b32 exec_lo, exec_lo, s16
	s_cbranch_execnz .LBB4_8
.LBB4_9:
	s_or_b32 exec_lo, exec_lo, s15
	v_add_nc_u32_e32 v1, 1, v6
	s_delay_alu instid0(VALU_DEP_1) | instskip(NEXT) | instid1(VALU_DEP_1)
	v_and_b32_e32 v2, 0x7fffffe, v1
	v_cmp_ne_u32_e32 vcc_lo, v1, v2
	v_lshl_or_b32 v2, v2, 6, v0
	s_or_not1_b32 s0, vcc_lo, exec_lo
.LBB4_10:
	s_or_b32 exec_lo, exec_lo, s14
	s_delay_alu instid0(SALU_CYCLE_1)
	s_and_b32 exec_lo, exec_lo, s0
	s_cbranch_execz .LBB4_13
; %bb.11:
	v_mov_b32_e32 v3, 0
	s_lshl_b64 s[0:1], s[2:3], 3
	v_lshl_add_u32 v1, v2, 2, 0
	s_add_nc_u64 s[0:1], s[6:7], s[0:1]
	s_delay_alu instid0(VALU_DEP_2) | instid1(SALU_CYCLE_1)
	v_lshl_add_u64 v[4:5], v[2:3], 2, s[0:1]
	s_mov_b32 s0, 0
.LBB4_12:                               ; =>This Inner Loop Header: Depth=1
	global_load_b32 v3, v[4:5], off
	v_add_nc_u32_e32 v2, 64, v2
	s_wait_xcnt 0x0
	v_add_nc_u64_e32 v[4:5], 0x100, v[4:5]
	s_delay_alu instid0(VALU_DEP_2)
	v_cmp_le_i32_e32 vcc_lo, s12, v2
	s_or_b32 s0, vcc_lo, s0
	s_wait_loadcnt 0x0
	ds_store_b32 v1, v3
	v_add_nc_u32_e32 v1, 0x100, v1
	s_and_not1_b32 exec_lo, exec_lo, s0
	s_cbranch_execnz .LBB4_12
.LBB4_13:
	s_or_b32 exec_lo, exec_lo, s13
	v_mov_b32_e32 v1, 0
	s_wait_dscnt 0x0
	s_barrier_signal -1
	s_barrier_wait -1
	ds_load_b32 v1, v1
	s_cmp_lt_i32 s10, 2
	s_wait_dscnt 0x0
	v_readfirstlane_b32 s3, v1
	s_cbranch_scc1 .LBB4_21
; %bb.14:
	s_cmp_eq_u32 s10, 2
	s_cbranch_scc1 .LBB4_18
; %bb.15:
	v_dual_mov_b32 v3, s3 :: v_dual_mov_b32 v4, s3
	s_add_co_i32 s1, s10, -1
	s_add_co_i32 s7, 0, 8
	s_and_b32 s3, s1, -2
	s_mov_b32 s6, 2
.LBB4_16:                               ; =>This Inner Loop Header: Depth=1
	v_dual_mov_b32 v1, s7 :: v_dual_mov_b32 v2, v3
	s_cmp_lg_u32 s3, s6
	s_cselect_b32 s12, -1, 0
	ds_load_2addr_b32 v[6:7], v1 offset1:2
	v_dual_mov_b32 v1, v4 :: v_dual_max_num_f32 v5, v2, v2
	s_delay_alu instid0(VALU_DEP_1)
	v_max_num_f32_e32 v3, v1, v1
	s_wait_dscnt 0x0
	v_cmp_u_f32_e32 vcc_lo, v7, v7
	v_max_num_f32_e32 v7, v7, v7
	v_cndmask_b32_e64 v4, 0, 1, vcc_lo
	v_cmp_u_f32_e32 vcc_lo, v6, v6
	v_max_num_f32_e32 v6, v6, v6
	s_delay_alu instid0(VALU_DEP_3) | instskip(SKIP_1) | instid1(VALU_DEP_3)
	v_readfirstlane_b32 s0, v4
	v_cndmask_b32_e64 v8, 0, 1, vcc_lo
	v_dual_max_num_f32 v4, v3, v7 :: v_dual_max_num_f32 v3, v5, v6
	s_lshl_b32 s0, s0, 1
	s_delay_alu instid0(VALU_DEP_2) | instskip(SKIP_1) | instid1(SALU_CYCLE_1)
	v_readfirstlane_b32 s13, v8
	s_or_b32 s0, s13, s0
	s_and_b32 s13, s0, 3
	s_delay_alu instid0(SALU_CYCLE_1)
	s_cmp_lg_u32 s13, 0
	s_cselect_b32 s0, -1, 0
	s_cmp_eq_u32 s13, 0
	s_cselect_b32 s13, -1, 0
	s_add_co_i32 s6, s6, 2
	s_and_b32 s12, s13, s12
	s_add_co_i32 s7, s7, 16
	s_and_b32 vcc_lo, exec_lo, s12
	s_cbranch_vccnz .LBB4_16
; %bb.17:
	v_dual_cndmask_b32 v2, v3, v2, s0 :: v_dual_cndmask_b32 v1, v4, v1, s0
	s_add_co_i32 s6, s6, -4
	s_and_b32 s7, s0, exec_lo
	s_cselect_b32 s6, s6, s1
	s_delay_alu instid0(VALU_DEP_1) | instskip(SKIP_3) | instid1(VALU_DEP_1)
	v_dual_max_num_f32 v2, v2, v2 :: v_dual_max_num_f32 v1, v1, v1
	s_or_b32 s6, s6, 1
	s_cmp_lg_u32 s1, s3
	s_cselect_b32 s1, -1, 0
	v_readfirstlane_b32 s7, v2
	v_readfirstlane_b32 s12, v1
	s_or_b32 s0, s1, s0
	s_max_num_f32 s3, s7, s12
	s_and_b32 vcc_lo, exec_lo, s0
	s_cbranch_vccnz .LBB4_19
	s_branch .LBB4_21
.LBB4_18:
	s_mov_b32 s6, 1
	s_cbranch_execz .LBB4_21
.LBB4_19:
	s_lshl_b32 s1, s6, 3
	s_sub_co_i32 s0, s10, s6
	s_add_co_i32 s1, s1, 0
.LBB4_20:                               ; =>This Inner Loop Header: Depth=1
	s_delay_alu instid0(SALU_CYCLE_1) | instskip(NEXT) | instid1(SALU_CYCLE_1)
	v_mov_b32_e32 v1, s1
	v_max_num_f32_e64 v2, s3, s3
	s_add_co_i32 s0, s0, -1
	s_add_co_i32 s1, s1, 8
	s_cmp_eq_u32 s0, 0
	ds_load_b32 v1, v1
	v_readfirstlane_b32 s3, v2
	s_wait_dscnt 0x0
	v_max_num_f32_e32 v1, v1, v1
	s_delay_alu instid0(VALU_DEP_1)
	v_readfirstlane_b32 s6, v1
	s_max_num_f32 s3, s3, s6
	s_cbranch_scc0 .LBB4_20
.LBB4_21:
	s_cmp_lt_i32 s10, 1
	s_cbranch_scc1 .LBB4_26
; %bb.22:
	s_lshl_b32 s0, s2, 6
	s_delay_alu instid0(SALU_CYCLE_1) | instskip(NEXT) | instid1(SALU_CYCLE_1)
	s_ashr_i32 s1, s0, 31
	s_lshl_b64 s[0:1], s[0:1], 2
	s_cmp_lt_u32 s10, 8
	s_add_nc_u64 s[0:1], s[4:5], s[0:1]
	s_cbranch_scc1 .LBB4_27
; %bb.23:
	v_mov_b32_e32 v2, 0
	v_or_b32_e32 v1, 0x1c0, v0
	s_and_b32 s2, s10, 0x7ffffff8
	s_mov_b32 s4, 0
	s_mov_b32 s5, 0
	v_mov_b32_e32 v3, v2
.LBB4_24:                               ; =>This Inner Loop Header: Depth=1
	v_add_nc_u32_e32 v4, 0xfffffe40, v1
	v_dual_mov_b32 v16, s5 :: v_dual_add_nc_u32 v5, 0xfffffe80, v1
	s_clause 0x1
	global_load_b32 v21, v4, s[0:1] scale_offset
	global_load_b32 v23, v5, s[0:1] scale_offset
	s_wait_xcnt 0x1
	v_add_nc_u32_e32 v4, 0xfffffec0, v1
	s_wait_xcnt 0x0
	v_add_nc_u32_e32 v5, 0xffffff00, v1
	s_clause 0x1
	global_load_b32 v25, v4, s[0:1] scale_offset
	global_load_b32 v27, v5, s[0:1] scale_offset
	s_wait_xcnt 0x1
	v_add_nc_u32_e32 v4, 0xffffff40, v1
	s_wait_xcnt 0x0
	v_add_nc_u32_e32 v5, 0xffffff80, v1
	global_load_b32 v29, v4, s[0:1] scale_offset
	s_wait_xcnt 0x0
	v_subrev_nc_u32_e32 v4, 64, v1
	s_clause 0x2
	global_load_b32 v31, v5, s[0:1] scale_offset
	global_load_b32 v33, v4, s[0:1] scale_offset
	;; [unrolled: 1-line block ×3, first 2 shown]
	s_wait_xcnt 0x1
	ds_load_2addr_b64 v[4:7], v16 offset1:1
	ds_load_2addr_b64 v[8:11], v16 offset0:2 offset1:3
	ds_load_2addr_b64 v[12:15], v16 offset0:4 offset1:5
	;; [unrolled: 1-line block ×3, first 2 shown]
	s_wait_xcnt 0x0
	v_add_nc_u32_e32 v1, 0x200, v1
	s_wait_dscnt 0x3
	v_readfirstlane_b32 s6, v4
	v_readfirstlane_b32 s7, v6
	s_wait_dscnt 0x2
	v_readfirstlane_b32 s12, v8
	v_dual_mov_b32 v20, v5 :: v_dual_mov_b32 v26, v11
	s_sub_f32 s6, s6, s3
	s_sub_f32 s7, s7, s3
	;; [unrolled: 1-line block ×3, first 2 shown]
	v_readfirstlane_b32 s13, v10
	s_mul_f32 s18, s6, 0x3fb8aa3b
	s_mul_f32 s19, s7, 0x3fb8aa3b
	;; [unrolled: 1-line block ×3, first 2 shown]
	s_wait_dscnt 0x1
	v_readfirstlane_b32 s14, v12
	s_xor_b32 s26, s18, 0x80000000
	s_rndne_f32 s27, s18
	s_fmamk_f32 s26, s6, 0x3fb8aa3b, s26
	s_cmp_nlt_f32 s6, 0xc2ce8ed0
	s_rndne_f32 s28, s19
	s_sub_f32 s18, s18, s27
	s_fmamk_f32 s26, s6, 0x32a5705f, s26
	s_cvt_i32_f32 s27, s27
	s_cselect_b32 vcc_lo, -1, 0
	s_cmp_ngt_f32 s6, 0x42b17218
	s_add_f32 s18, s18, s26
	s_sub_f32 s36, s19, s28
	s_cvt_i32_f32 s28, s28
	s_rndne_f32 s29, s20
	v_s_exp_f32 s18, s18
	s_sub_f32 s13, s13, s3
	s_sub_f32 s14, s14, s3
	;; [unrolled: 1-line block ×3, first 2 shown]
	s_cvt_i32_f32 s29, s29
	s_mul_f32 s21, s13, 0x3fb8aa3b
	s_mul_f32 s22, s14, 0x3fb8aa3b
	v_readfirstlane_b32 s15, v14
	v_ldexp_f32 v4, s18, s27
	s_wait_dscnt 0x0
	v_mov_b32_e32 v32, v17
	s_rndne_f32 s30, s21
	s_rndne_f32 s31, s22
	s_sub_f32 s15, s15, s3
	v_cndmask_b32_e32 v4, 0, v4, vcc_lo
	s_cselect_b32 vcc_lo, -1, 0
	s_xor_b32 s6, s19, 0x80000000
	s_cmp_nlt_f32 s7, 0xc2ce8ed0
	s_fmamk_f32 s6, s7, 0x3fb8aa3b, s6
	v_cndmask_b32_e32 v4, 0x7f800000, v4, vcc_lo
	s_sub_f32 s38, s21, s30
	s_cselect_b32 vcc_lo, -1, 0
	s_fmamk_f32 s6, s7, 0x32a5705f, s6
	s_cmp_ngt_f32 s7, 0x42b17218
	s_cvt_i32_f32 s30, s30
	s_sub_f32 s39, s22, s31
	s_add_f32 s6, s36, s6
	s_cvt_i32_f32 s31, s31
	s_mul_f32 s23, s15, 0x3fb8aa3b
	v_readfirstlane_b32 s16, v16
	v_s_exp_f32 s6, s6
	v_readfirstlane_b32 s17, v18
	s_rndne_f32 s33, s23
	v_mov_b32_e32 v22, v7
	s_sub_f32 s16, s16, s3
	v_mov_b32_e32 v34, v19
	s_sub_f32 s40, s23, s33
	s_cvt_i32_f32 s33, s33
	v_ldexp_f32 v5, s6, s28
	s_mul_f32 s24, s16, 0x3fb8aa3b
	s_sub_f32 s17, s17, s3
	v_dual_mov_b32 v24, v9 :: v_dual_mov_b32 v28, v13
	s_delay_alu instid0(VALU_DEP_2)
	v_dual_mov_b32 v30, v15 :: v_dual_cndmask_b32 v5, 0, v5
	s_cselect_b32 vcc_lo, -1, 0
	s_xor_b32 s6, s20, 0x80000000
	s_cmp_nlt_f32 s12, 0xc2ce8ed0
	s_fmamk_f32 s6, s12, 0x3fb8aa3b, s6
	v_cndmask_b32_e32 v6, 0x7f800000, v5, vcc_lo
	s_rndne_f32 s34, s24
	s_cselect_b32 vcc_lo, -1, 0
	s_fmamk_f32 s6, s12, 0x32a5705f, s6
	s_cmp_ngt_f32 s12, 0x42b17218
	s_sub_f32 s41, s24, s34
	s_cvt_i32_f32 s34, s34
	s_add_f32 s6, s37, s6
	s_mul_f32 s25, s17, 0x3fb8aa3b
	s_delay_alu instid0(SALU_CYCLE_2) | instskip(NEXT) | instid1(SALU_CYCLE_2)
	v_s_exp_f32 s6, s6
	s_rndne_f32 s35, s25
	s_delay_alu instid0(SALU_CYCLE_3) | instskip(SKIP_2) | instid1(TRANS32_DEP_1)
	s_sub_f32 s42, s25, s35
	s_cvt_i32_f32 s35, s35
	v_nop
	v_ldexp_f32 v5, s6, s29
	s_delay_alu instid0(VALU_DEP_1)
	v_cndmask_b32_e32 v5, 0, v5, vcc_lo
	s_cselect_b32 vcc_lo, -1, 0
	s_xor_b32 s6, s21, 0x80000000
	s_cmp_nlt_f32 s13, 0xc2ce8ed0
	s_fmamk_f32 s6, s13, 0x3fb8aa3b, s6
	v_cndmask_b32_e32 v8, 0x7f800000, v5, vcc_lo
	s_cselect_b32 vcc_lo, -1, 0
	s_delay_alu instid0(SALU_CYCLE_1) | instskip(SKIP_1) | instid1(SALU_CYCLE_2)
	s_fmamk_f32 s6, s13, 0x32a5705f, s6
	s_cmp_ngt_f32 s13, 0x42b17218
	s_add_f32 s6, s38, s6
	s_delay_alu instid0(SALU_CYCLE_3) | instskip(SKIP_1) | instid1(TRANS32_DEP_1)
	v_s_exp_f32 s6, s6
	v_nop
	v_ldexp_f32 v5, s6, s30
	s_delay_alu instid0(VALU_DEP_1)
	v_cndmask_b32_e32 v5, 0, v5, vcc_lo
	s_cselect_b32 vcc_lo, -1, 0
	s_xor_b32 s6, s22, 0x80000000
	s_cmp_nlt_f32 s14, 0xc2ce8ed0
	s_fmamk_f32 s6, s14, 0x3fb8aa3b, s6
	v_cndmask_b32_e32 v10, 0x7f800000, v5, vcc_lo
	s_cselect_b32 vcc_lo, -1, 0
	s_delay_alu instid0(SALU_CYCLE_1) | instskip(SKIP_1) | instid1(SALU_CYCLE_2)
	s_fmamk_f32 s6, s14, 0x32a5705f, s6
	s_cmp_ngt_f32 s14, 0x42b17218
	s_add_f32 s6, s39, s6
	s_delay_alu instid0(SALU_CYCLE_3) | instskip(SKIP_1) | instid1(TRANS32_DEP_1)
	v_s_exp_f32 s6, s6
	;; [unrolled: 16-line block ×4, first 2 shown]
	v_nop
	v_ldexp_f32 v5, s6, s34
	s_delay_alu instid0(VALU_DEP_1) | instskip(SKIP_4) | instid1(SALU_CYCLE_3)
	v_cndmask_b32_e32 v5, 0, v5, vcc_lo
	s_cselect_b32 vcc_lo, -1, 0
	s_xor_b32 s6, s25, 0x80000000
	s_cmp_nlt_f32 s17, 0xc2ce8ed0
	s_fmamk_f32 s6, s17, 0x3fb8aa3b, s6
	s_fmamk_f32 s6, s17, 0x32a5705f, s6
	s_delay_alu instid0(SALU_CYCLE_3) | instskip(NEXT) | instid1(SALU_CYCLE_3)
	s_add_f32 s6, s42, s6
	v_s_exp_f32 s6, s6
	s_wait_loadcnt 0x7
	v_pk_fma_f32 v[2:3], v[4:5], v[20:21], v[2:3] op_sel_hi:[0,1,1]
	v_cndmask_b32_e32 v4, 0x7f800000, v5, vcc_lo
	s_delay_alu instid0(TRANS32_DEP_1)
	v_ldexp_f32 v5, s6, s35
	s_cselect_b32 vcc_lo, -1, 0
	s_cmp_ngt_f32 s17, 0x42b17218
	s_wait_loadcnt 0x6
	v_pk_fma_f32 v[2:3], v[6:7], v[22:23], v[2:3] op_sel_hi:[0,1,1]
	v_cndmask_b32_e32 v5, 0, v5, vcc_lo
	s_cselect_b32 vcc_lo, -1, 0
	s_add_co_i32 s4, s4, 8
	s_wait_loadcnt 0x5
	v_pk_fma_f32 v[2:3], v[8:9], v[24:25], v[2:3] op_sel_hi:[0,1,1]
	s_add_co_i32 s5, s5, 64
	v_cndmask_b32_e32 v6, 0x7f800000, v5, vcc_lo
	s_cmp_eq_u32 s2, s4
	s_wait_loadcnt 0x4
	v_pk_fma_f32 v[2:3], v[10:11], v[26:27], v[2:3] op_sel_hi:[0,1,1]
	s_wait_loadcnt 0x3
	s_delay_alu instid0(VALU_DEP_1) | instskip(SKIP_1) | instid1(VALU_DEP_1)
	v_pk_fma_f32 v[2:3], v[12:13], v[28:29], v[2:3] op_sel_hi:[0,1,1]
	s_wait_loadcnt 0x2
	v_pk_fma_f32 v[2:3], v[14:15], v[30:31], v[2:3] op_sel_hi:[0,1,1]
	s_wait_loadcnt 0x1
	s_delay_alu instid0(VALU_DEP_1) | instskip(SKIP_1) | instid1(VALU_DEP_1)
	v_pk_fma_f32 v[2:3], v[4:5], v[32:33], v[2:3] op_sel_hi:[0,1,1]
	s_wait_loadcnt 0x0
	v_pk_fma_f32 v[2:3], v[6:7], v[34:35], v[2:3] op_sel_hi:[0,1,1]
	s_cbranch_scc0 .LBB4_24
; %bb.25:
	s_and_b32 s4, s10, 7
	s_delay_alu instid0(SALU_CYCLE_1)
	s_cmp_eq_u32 s4, 0
	s_cbranch_scc0 .LBB4_28
	s_branch .LBB4_30
.LBB4_26:
	v_mov_b32_e32 v1, 0x7fc00000
	s_branch .LBB4_31
.LBB4_27:
	v_mov_b64_e32 v[2:3], 0
	s_mov_b32 s2, 0
	s_and_b32 s4, s10, 7
	s_delay_alu instid0(SALU_CYCLE_1)
	s_cmp_eq_u32 s4, 0
	s_cbranch_scc1 .LBB4_30
.LBB4_28:
	v_lshl_or_b32 v1, s2, 6, v0
	s_lshl_b32 s2, s2, 3
	s_delay_alu instid0(SALU_CYCLE_1)
	s_add_co_i32 s2, s2, 0
.LBB4_29:                               ; =>This Inner Loop Header: Depth=1
	global_load_b32 v5, v1, s[0:1] scale_offset
	s_wait_xcnt 0x0
	v_dual_mov_b32 v4, s2 :: v_dual_add_nc_u32 v1, 64, v1
	ds_load_b64 v[6:7], v4
	s_wait_dscnt 0x0
	v_readfirstlane_b32 s5, v6
	s_sub_f32 s5, s5, s3
	s_delay_alu instid0(SALU_CYCLE_3) | instskip(NEXT) | instid1(SALU_CYCLE_3)
	s_mul_f32 s6, s5, 0x3fb8aa3b
	s_xor_b32 s7, s6, 0x80000000
	s_rndne_f32 s10, s6
	s_fmamk_f32 s7, s5, 0x3fb8aa3b, s7
	s_cmp_nlt_f32 s5, 0xc2ce8ed0
	s_delay_alu instid0(SALU_CYCLE_1) | instskip(NEXT) | instid1(SALU_CYCLE_1)
	s_sub_f32 s6, s6, s10
	s_fmamk_f32 s7, s5, 0x32a5705f, s7
	s_cselect_b32 vcc_lo, -1, 0
	s_cmp_ngt_f32 s5, 0x42b17218
	s_delay_alu instid0(SALU_CYCLE_1) | instskip(SKIP_1) | instid1(SALU_CYCLE_2)
	s_add_f32 s6, s6, s7
	s_cvt_i32_f32 s7, s10
	v_s_exp_f32 s6, s6
	v_nop
	s_delay_alu instid0(TRANS32_DEP_1) | instid1(SALU_CYCLE_1)
	v_ldexp_f32 v4, s6, s7
	s_delay_alu instid0(VALU_DEP_1) | instskip(SKIP_3) | instid1(VALU_DEP_1)
	v_dual_cndmask_b32 v6, 0, v4, vcc_lo :: v_dual_mov_b32 v4, v7
	s_cselect_b32 vcc_lo, -1, 0
	s_add_co_i32 s4, s4, -1
	s_add_co_i32 s2, s2, 8
	v_cndmask_b32_e32 v6, 0x7f800000, v6, vcc_lo
	s_cmp_lg_u32 s4, 0
	s_wait_loadcnt 0x0
	s_delay_alu instid0(VALU_DEP_1)
	v_pk_fma_f32 v[2:3], v[6:7], v[4:5], v[2:3] op_sel_hi:[0,1,1]
	s_cbranch_scc1 .LBB4_29
.LBB4_30:
	s_delay_alu instid0(VALU_DEP_1) | instskip(NEXT) | instid1(VALU_DEP_1)
	v_div_scale_f32 v1, null, v2, v2, v3
	v_rcp_f32_e32 v4, v1
	v_nop
	s_delay_alu instid0(TRANS32_DEP_1) | instskip(NEXT) | instid1(VALU_DEP_1)
	v_fma_f32 v5, -v1, v4, 1.0
	v_fmac_f32_e32 v4, v5, v4
	v_div_scale_f32 v5, vcc_lo, v3, v2, v3
	s_delay_alu instid0(VALU_DEP_1) | instskip(NEXT) | instid1(VALU_DEP_1)
	v_mul_f32_e32 v6, v5, v4
	v_fma_f32 v7, -v1, v6, v5
	s_delay_alu instid0(VALU_DEP_1) | instskip(NEXT) | instid1(VALU_DEP_1)
	v_fmac_f32_e32 v6, v7, v4
	v_fma_f32 v1, -v1, v6, v5
	s_delay_alu instid0(VALU_DEP_1) | instskip(NEXT) | instid1(VALU_DEP_1)
	v_div_fmas_f32 v1, v1, v4, v6
	v_div_fixup_f32 v1, v1, v2, v3
.LBB4_31:
	s_lshl_b32 s0, s11, 6
	s_delay_alu instid0(SALU_CYCLE_1) | instskip(NEXT) | instid1(SALU_CYCLE_1)
	s_ashr_i32 s1, s0, 31
	s_lshl_b64 s[0:1], s[0:1], 2
	s_delay_alu instid0(SALU_CYCLE_1)
	s_add_nc_u64 s[0:1], s[8:9], s[0:1]
	global_store_b32 v0, v1, s[0:1] scale_offset
	s_endpgm
	.section	.rodata,"a",@progbits
	.p2align	6, 0x0
	.amdhsa_kernel _ZL26flash_attn_combine_resultsILi64EEvPKfPK15HIP_vector_typeIfLj2EEPfi
		.amdhsa_group_segment_fixed_size 0
		.amdhsa_private_segment_fixed_size 0
		.amdhsa_kernarg_size 288
		.amdhsa_user_sgpr_count 2
		.amdhsa_user_sgpr_dispatch_ptr 0
		.amdhsa_user_sgpr_queue_ptr 0
		.amdhsa_user_sgpr_kernarg_segment_ptr 1
		.amdhsa_user_sgpr_dispatch_id 0
		.amdhsa_user_sgpr_kernarg_preload_length 0
		.amdhsa_user_sgpr_kernarg_preload_offset 0
		.amdhsa_user_sgpr_private_segment_size 0
		.amdhsa_wavefront_size32 1
		.amdhsa_uses_dynamic_stack 0
		.amdhsa_enable_private_segment 0
		.amdhsa_system_sgpr_workgroup_id_x 1
		.amdhsa_system_sgpr_workgroup_id_y 1
		.amdhsa_system_sgpr_workgroup_id_z 1
		.amdhsa_system_sgpr_workgroup_info 0
		.amdhsa_system_vgpr_workitem_id 0
		.amdhsa_next_free_vgpr 36
		.amdhsa_next_free_sgpr 43
		.amdhsa_named_barrier_count 0
		.amdhsa_reserve_vcc 1
		.amdhsa_float_round_mode_32 0
		.amdhsa_float_round_mode_16_64 0
		.amdhsa_float_denorm_mode_32 3
		.amdhsa_float_denorm_mode_16_64 3
		.amdhsa_fp16_overflow 0
		.amdhsa_memory_ordered 1
		.amdhsa_forward_progress 1
		.amdhsa_inst_pref_size 28
		.amdhsa_round_robin_scheduling 0
		.amdhsa_exception_fp_ieee_invalid_op 0
		.amdhsa_exception_fp_denorm_src 0
		.amdhsa_exception_fp_ieee_div_zero 0
		.amdhsa_exception_fp_ieee_overflow 0
		.amdhsa_exception_fp_ieee_underflow 0
		.amdhsa_exception_fp_ieee_inexact 0
		.amdhsa_exception_int_div_zero 0
	.end_amdhsa_kernel
	.section	.text._ZL26flash_attn_combine_resultsILi64EEvPKfPK15HIP_vector_typeIfLj2EEPfi,"axG",@progbits,_ZL26flash_attn_combine_resultsILi64EEvPKfPK15HIP_vector_typeIfLj2EEPfi,comdat
.Lfunc_end4:
	.size	_ZL26flash_attn_combine_resultsILi64EEvPKfPK15HIP_vector_typeIfLj2EEPfi, .Lfunc_end4-_ZL26flash_attn_combine_resultsILi64EEvPKfPK15HIP_vector_typeIfLj2EEPfi
                                        ; -- End function
	.set _ZL26flash_attn_combine_resultsILi64EEvPKfPK15HIP_vector_typeIfLj2EEPfi.num_vgpr, 36
	.set _ZL26flash_attn_combine_resultsILi64EEvPKfPK15HIP_vector_typeIfLj2EEPfi.num_agpr, 0
	.set _ZL26flash_attn_combine_resultsILi64EEvPKfPK15HIP_vector_typeIfLj2EEPfi.numbered_sgpr, 43
	.set _ZL26flash_attn_combine_resultsILi64EEvPKfPK15HIP_vector_typeIfLj2EEPfi.num_named_barrier, 0
	.set _ZL26flash_attn_combine_resultsILi64EEvPKfPK15HIP_vector_typeIfLj2EEPfi.private_seg_size, 0
	.set _ZL26flash_attn_combine_resultsILi64EEvPKfPK15HIP_vector_typeIfLj2EEPfi.uses_vcc, 1
	.set _ZL26flash_attn_combine_resultsILi64EEvPKfPK15HIP_vector_typeIfLj2EEPfi.uses_flat_scratch, 0
	.set _ZL26flash_attn_combine_resultsILi64EEvPKfPK15HIP_vector_typeIfLj2EEPfi.has_dyn_sized_stack, 0
	.set _ZL26flash_attn_combine_resultsILi64EEvPKfPK15HIP_vector_typeIfLj2EEPfi.has_recursion, 0
	.set _ZL26flash_attn_combine_resultsILi64EEvPKfPK15HIP_vector_typeIfLj2EEPfi.has_indirect_call, 0
	.section	.AMDGPU.csdata,"",@progbits
; Kernel info:
; codeLenInByte = 3580
; TotalNumSgprs: 45
; NumVgprs: 36
; ScratchSize: 0
; MemoryBound: 0
; FloatMode: 240
; IeeeMode: 1
; LDSByteSize: 0 bytes/workgroup (compile time only)
; SGPRBlocks: 0
; VGPRBlocks: 2
; NumSGPRsForWavesPerEU: 45
; NumVGPRsForWavesPerEU: 36
; NamedBarCnt: 0
; Occupancy: 16
; WaveLimiterHint : 0
; COMPUTE_PGM_RSRC2:SCRATCH_EN: 0
; COMPUTE_PGM_RSRC2:USER_SGPR: 2
; COMPUTE_PGM_RSRC2:TRAP_HANDLER: 0
; COMPUTE_PGM_RSRC2:TGID_X_EN: 1
; COMPUTE_PGM_RSRC2:TGID_Y_EN: 1
; COMPUTE_PGM_RSRC2:TGID_Z_EN: 1
; COMPUTE_PGM_RSRC2:TIDIG_COMP_CNT: 0
	.section	.text._ZL15flash_attn_tileILi64ELi64ELi4ELi8ELb0EEvPKcS1_S1_S1_S1_PKiPfP15HIP_vector_typeIfLj2EEffffjfiS5_IjLj3EEiiiiiiiiiiiliiliiiiil,"axG",@progbits,_ZL15flash_attn_tileILi64ELi64ELi4ELi8ELb0EEvPKcS1_S1_S1_S1_PKiPfP15HIP_vector_typeIfLj2EEffffjfiS5_IjLj3EEiiiiiiiiiiiliiliiiiil,comdat
	.globl	_ZL15flash_attn_tileILi64ELi64ELi4ELi8ELb0EEvPKcS1_S1_S1_S1_PKiPfP15HIP_vector_typeIfLj2EEffffjfiS5_IjLj3EEiiiiiiiiiiiliiliiiiil ; -- Begin function _ZL15flash_attn_tileILi64ELi64ELi4ELi8ELb0EEvPKcS1_S1_S1_S1_PKiPfP15HIP_vector_typeIfLj2EEffffjfiS5_IjLj3EEiiiiiiiiiiiliiliiiiil
	.p2align	8
	.type	_ZL15flash_attn_tileILi64ELi64ELi4ELi8ELb0EEvPKcS1_S1_S1_S1_PKiPfP15HIP_vector_typeIfLj2EEffffjfiS5_IjLj3EEiiiiiiiiiiiliiliiiiil,@function
_ZL15flash_attn_tileILi64ELi64ELi4ELi8ELb0EEvPKcS1_S1_S1_S1_PKiPfP15HIP_vector_typeIfLj2EEffffjfiS5_IjLj3EEiiiiiiiiiiiliiliiiiil: ; @_ZL15flash_attn_tileILi64ELi64ELi4ELi8ELb0EEvPKcS1_S1_S1_S1_PKiPfP15HIP_vector_typeIfLj2EEffffjfiS5_IjLj3EEiiiiiiiiiiiliiliiiiil
; %bb.0:
	s_clause 0x1
	s_load_b128 s[20:23], s[0:1], 0x5c
	s_load_b64 s[30:31], s[0:1], 0x80
	s_bfe_u32 s5, ttmp6, 0x40014
	s_lshr_b32 s4, ttmp7, 16
	s_add_co_i32 s5, s5, 1
	s_bfe_u32 s6, ttmp6, 0x40008
	s_mul_i32 s5, s4, s5
	s_getreg_b32 s24, hwreg(HW_REG_IB_STS2, 6, 4)
	s_add_co_i32 s6, s6, s5
	s_load_b64 s[38:39], s[0:1], 0xb8
	s_mov_b32 s37, 0
	s_mov_b64 s[34:35], 0
	s_wait_kmcnt 0x0
	s_ashr_i32 s2, s23, 31
	s_delay_alu instid0(SALU_CYCLE_1) | instskip(NEXT) | instid1(SALU_CYCLE_1)
	s_lshr_b32 s2, s2, 29
	s_add_co_i32 s2, s23, s2
	s_delay_alu instid0(SALU_CYCLE_1) | instskip(NEXT) | instid1(SALU_CYCLE_1)
	s_ashr_i32 s2, s2, 3
	s_cvt_f32_u32 s3, s2
	s_sub_co_i32 s7, 0, s2
	s_delay_alu instid0(SALU_CYCLE_2) | instskip(SKIP_1) | instid1(TRANS32_DEP_1)
	v_rcp_iflag_f32_e32 v1, s3
	v_nop
	v_readfirstlane_b32 s3, v1
	s_mul_f32 s3, s3, 0x4f7ffffe
	s_delay_alu instid0(SALU_CYCLE_3) | instskip(NEXT) | instid1(SALU_CYCLE_3)
	s_cvt_u32_f32 s3, s3
	s_mul_i32 s7, s7, s3
	s_delay_alu instid0(SALU_CYCLE_1) | instskip(NEXT) | instid1(SALU_CYCLE_1)
	s_mul_hi_u32 s7, s3, s7
	s_add_co_i32 s3, s3, s7
	s_cmp_eq_u32 s24, 0
	s_cselect_b32 s4, s4, s6
	s_delay_alu instid0(SALU_CYCLE_1) | instskip(NEXT) | instid1(SALU_CYCLE_1)
	s_mul_hi_u32 s3, s4, s3
	s_mul_i32 s5, s3, s2
	s_add_co_i32 s6, s3, 1
	s_sub_co_i32 s5, s4, s5
	s_delay_alu instid0(SALU_CYCLE_1)
	s_sub_co_i32 s7, s5, s2
	s_cmp_ge_u32 s5, s2
	s_cselect_b32 s3, s6, s3
	s_cselect_b32 s5, s7, s5
	s_add_co_i32 s6, s3, 1
	s_cmp_ge_u32 s5, s2
	s_cselect_b32 s2, s6, s3
	s_abs_i32 s3, s31
	s_lshl_b32 s4, s4, 3
	s_cvt_f32_u32 s5, s3
	s_sub_co_i32 s6, 0, s3
	s_mul_i32 s7, s2, s23
	s_abs_i32 s8, s23
	v_rcp_iflag_f32_e32 v1, s5
	s_sub_co_i32 s28, s4, s7
	v_nop
	s_delay_alu instid0(TRANS32_DEP_1) | instskip(SKIP_1) | instid1(SALU_CYCLE_3)
	v_readfirstlane_b32 s5, v1
	s_mul_f32 s5, s5, 0x4f7ffffe
	s_cvt_u32_f32 s5, s5
	s_delay_alu instid0(SALU_CYCLE_3) | instskip(NEXT) | instid1(SALU_CYCLE_1)
	s_mul_i32 s6, s6, s5
	s_mul_hi_u32 s6, s5, s6
	s_delay_alu instid0(SALU_CYCLE_1) | instskip(NEXT) | instid1(SALU_CYCLE_1)
	s_add_co_i32 s5, s5, s6
	s_mul_hi_u32 s4, s8, s5
	s_xor_b32 s5, s23, s31
	s_mul_i32 s6, s4, s3
	s_ashr_i32 s25, s5, 31
	s_sub_co_i32 s5, s8, s6
	s_add_co_i32 s6, s4, 1
	s_sub_co_i32 s7, s5, s3
	s_cmp_ge_u32 s5, s3
	s_cselect_b32 s4, s6, s4
	s_cselect_b32 s5, s7, s5
	s_add_co_i32 s6, s4, 1
	s_cmp_ge_u32 s5, s3
	s_cselect_b32 s3, s6, s4
	s_load_b512 s[4:19], s[0:1], 0x0
	s_xor_b32 s3, s3, s25
	s_delay_alu instid0(SALU_CYCLE_1) | instskip(NEXT) | instid1(SALU_CYCLE_1)
	s_sub_co_i32 s3, s3, s25
	s_abs_i32 s29, s3
	s_delay_alu instid0(SALU_CYCLE_1) | instskip(NEXT) | instid1(SALU_CYCLE_3)
	s_cvt_f32_u32 s25, s29
	v_rcp_iflag_f32_e32 v1, s25
	v_nop
	s_delay_alu instid0(TRANS32_DEP_1)
	v_readfirstlane_b32 s33, v1
	s_wait_kmcnt 0x0
	s_cmp_eq_u64 s[10:11], 0
	s_cbranch_scc1 .LBB5_2
; %bb.1:
	s_abs_i32 s25, s38
	s_abs_i32 s31, s2
	s_cvt_f32_u32 s26, s25
	s_sub_co_i32 s27, 0, s25
	s_delay_alu instid0(SALU_CYCLE_2) | instskip(SKIP_1) | instid1(TRANS32_DEP_1)
	v_rcp_iflag_f32_e32 v1, s26
	v_nop
	v_readfirstlane_b32 s26, v1
	s_mul_f32 s26, s26, 0x4f7ffffe
	s_delay_alu instid0(SALU_CYCLE_3) | instskip(NEXT) | instid1(SALU_CYCLE_3)
	s_cvt_u32_f32 s26, s26
	s_mul_i32 s27, s27, s26
	s_delay_alu instid0(SALU_CYCLE_1) | instskip(NEXT) | instid1(SALU_CYCLE_1)
	s_mul_hi_u32 s27, s26, s27
	s_add_co_i32 s26, s26, s27
	s_delay_alu instid0(SALU_CYCLE_1) | instskip(SKIP_2) | instid1(SALU_CYCLE_1)
	s_mul_hi_u32 s34, s31, s26
	s_load_b64 s[26:27], s[0:1], 0xc8
	s_mul_i32 s34, s34, s25
	s_sub_co_i32 s31, s31, s34
	s_ashr_i32 s34, s2, 31
	s_sub_co_i32 s35, s31, s25
	s_cmp_ge_u32 s31, s25
	s_cselect_b32 s31, s35, s31
	s_delay_alu instid0(SALU_CYCLE_1) | instskip(SKIP_2) | instid1(SALU_CYCLE_1)
	s_sub_co_i32 s35, s31, s25
	s_cmp_ge_u32 s31, s25
	s_cselect_b32 s25, s35, s31
	s_xor_b32 s25, s25, s34
	s_delay_alu instid0(SALU_CYCLE_1) | instskip(NEXT) | instid1(SALU_CYCLE_1)
	s_sub_co_i32 s34, s25, s34
	s_ashr_i32 s35, s34, 31
	s_wait_kmcnt 0x0
	s_mul_u64 s[26:27], s[26:27], s[34:35]
	s_delay_alu instid0(SALU_CYCLE_1)
	s_add_nc_u64 s[34:35], s[10:11], s[26:27]
.LBB5_2:
	s_bfe_u32 s10, ttmp6, 0x4000c
	s_and_b32 s11, ttmp6, 15
	s_add_co_i32 s10, s10, 1
	v_bfe_u32 v1, v0, 10, 10
	s_mul_i32 s10, ttmp9, s10
	s_load_b96 s[40:42], s[0:1], 0x70
	s_add_co_i32 s11, s11, s10
	s_cmp_eq_u32 s24, 0
	v_and_b32_e32 v66, 0x3ff, v0
	s_cselect_b32 s10, ttmp9, s11
	v_mov_b32_e32 v3, 0
	v_lshl_add_u32 v67, s10, 2, v1
	s_delay_alu instid0(VALU_DEP_3) | instskip(NEXT) | instid1(VALU_DEP_3)
	v_dual_lshlrev_b32 v0, 10, v1 :: v_dual_lshlrev_b32 v6, 3, v66
	v_mov_b32_e32 v7, v3
	s_delay_alu instid0(VALU_DEP_3) | instskip(NEXT) | instid1(VALU_DEP_3)
	v_mul_hi_u32 v2, s20, v67
	v_add_nc_u32_e32 v68, 0x3400, v0
	s_wait_kmcnt 0x0
	s_mul_i32 s20, s28, s41
	s_ashr_i32 s27, s41, 31
	s_delay_alu instid0(VALU_DEP_2) | instskip(SKIP_2) | instid1(SALU_CYCLE_1)
	v_add_nc_u32_e32 v2, v67, v2
	s_mov_b32 s26, s41
	s_ashr_i32 s41, s40, 31
	s_lshr_b64 s[40:41], s[40:41], 2
	s_delay_alu instid0(VALU_DEP_1) | instskip(SKIP_1) | instid1(VALU_DEP_1)
	v_lshrrev_b32_e32 v2, s21, v2
	s_ashr_i32 s21, s20, 31
	v_mul_lo_u32 v2, v2, s22
	s_delay_alu instid0(VALU_DEP_1) | instskip(NEXT) | instid1(VALU_DEP_1)
	v_sub_nc_u32_e32 v2, v67, v2
	v_mul_u64_e32 v[4:5], s[40:41], v[2:3]
	s_mul_i32 s40, s2, s42
	s_delay_alu instid0(SALU_CYCLE_1) | instskip(NEXT) | instid1(SALU_CYCLE_1)
	s_ashr_i32 s41, s40, 31
	s_add_nc_u64 s[4:5], s[4:5], s[40:41]
	s_delay_alu instid0(SALU_CYCLE_1) | instskip(SKIP_1) | instid1(VALU_DEP_1)
	s_add_nc_u64 s[4:5], s[4:5], s[20:21]
	s_and_b64 s[20:21], s[26:27], -4
	v_lshl_add_u64 v[4:5], v[4:5], 2, s[4:5]
	s_lshr_b64 s[4:5], s[26:27], 2
	s_delay_alu instid0(VALU_DEP_1) | instskip(NEXT) | instid1(VALU_DEP_1)
	v_add_nc_u64_e32 v[4:5], v[4:5], v[6:7]
	v_add_nc_u64_e32 v[8:9], s[20:21], v[4:5]
	v_mad_nc_u64_u32 v[10:11], s4, 12, v[4:5]
	s_and_b64 s[20:21], s[26:27], 0x3ffffffffffffffc
	v_mad_nc_u64_u32 v[12:13], s4, 20, v[4:5]
	v_mad_nc_u64_u32 v[16:17], s4, 24, v[4:5]
	global_load_b64 v[6:7], v[4:5], off
	v_lshl_add_u64 v[14:15], s[4:5], 3, v[4:5]
	v_lshl_add_u64 v[18:19], s[20:21], 2, v[4:5]
	global_load_b64 v[8:9], v[8:9], off
	s_wait_xcnt 0x1
	v_mad_nc_u64_u32 v[4:5], s4, 28, v[4:5]
	s_lshr_b32 s4, s27, 2
	s_clause 0x1
	global_load_b64 v[20:21], v[14:15], off
	global_load_b64 v[22:23], v[18:19], off
	v_mad_u32 v11, s4, 12, v11
	s_cmp_eq_u64 s[14:15], 0
	v_mad_u32 v13, s4, 20, v13
	v_mad_u32 v17, s4, 24, v17
	;; [unrolled: 1-line block ×3, first 2 shown]
	s_load_b32 s4, s[0:1], 0x40
	s_clause 0x3
	global_load_b64 v[14:15], v[10:11], off
	global_load_b64 v[18:19], v[12:13], off
	;; [unrolled: 1-line block ×4, first 2 shown]
	s_wait_xcnt 0x0
	v_lshl_add_u32 v5, v66, 2, v68
	s_wait_loadcnt 0x7
	s_wait_kmcnt 0x0
	v_fma_mixlo_f16 v3, s4, v7, 0
	v_fma_mixlo_f16 v4, s4, v6, 0
	s_wait_loadcnt 0x6
	v_fma_mixlo_f16 v6, s4, v8, 0
	v_fma_mixlo_f16 v7, s4, v9, 0
	s_wait_loadcnt 0x5
	v_fma_mixlo_f16 v8, s4, v20, 0
	v_fma_mixlo_f16 v9, s4, v21, 0
	v_lshlrev_b32_e32 v3, 16, v3
	v_and_b32_e32 v6, 0xffff, v6
	v_lshlrev_b32_e32 v7, 16, v7
	v_and_b32_e32 v8, 0xffff, v8
	;; [unrolled: 2-line block ×3, first 2 shown]
	s_wait_loadcnt 0x4
	v_fma_mixlo_f16 v11, s4, v23, 0
	v_fma_mixlo_f16 v10, s4, v22, 0
	v_or_b32_e32 v6, v7, v6
	v_or_b32_e32 v7, v9, v8
	s_delay_alu instid0(VALU_DEP_4) | instskip(NEXT) | instid1(VALU_DEP_4)
	v_dual_lshlrev_b32 v4, 16, v11 :: v_dual_bitop2_b32 v3, v3, v4 bitop3:0x54
	v_and_b32_e32 v10, 0xffff, v10
	s_wait_loadcnt 0x3
	v_fma_mixlo_f16 v8, s4, v14, 0
	v_fma_mixlo_f16 v9, s4, v15, 0
	s_wait_loadcnt 0x2
	v_fma_mixlo_f16 v11, s4, v18, 0
	v_fma_mixlo_f16 v12, s4, v19, 0
	;; [unrolled: 3-line block ×4, first 2 shown]
	v_lshlrev_b32_e32 v9, 16, v9
	v_and_b32_e32 v8, 0xffff, v8
	v_dual_lshlrev_b32 v12, 16, v12 :: v_dual_bitop2_b32 v4, v4, v10 bitop3:0x54
	v_and_b32_e32 v11, 0xffff, v11
	v_lshlrev_b32_e32 v14, 16, v14
	v_and_b32_e32 v13, 0xffff, v13
	v_lshlrev_b32_e32 v16, 16, v16
	v_and_b32_e32 v15, 0xffff, v15
	v_or_b32_e32 v8, v9, v8
	v_or_b32_e32 v9, v12, v11
	;; [unrolled: 1-line block ×3, first 2 shown]
	s_delay_alu instid0(VALU_DEP_4)
	v_or_b32_e32 v11, v16, v15
	ds_store_2addr_b32 v5, v3, v6 offset1:32
	ds_store_2addr_b32 v5, v7, v8 offset0:64 offset1:96
	ds_store_2addr_b32 v5, v4, v9 offset0:128 offset1:160
	;; [unrolled: 1-line block ×3, first 2 shown]
	s_wait_dscnt 0x0
	s_barrier_signal -1
	s_barrier_wait -1
	s_cbranch_scc1 .LBB5_4
; %bb.3:
	s_load_b32 s4, s[0:1], 0xd0
	s_wait_kmcnt 0x0
	s_mul_i32 s4, s4, s2
	s_delay_alu instid0(SALU_CYCLE_1)
	s_add_co_i32 s4, s4, s10
	s_load_b32 s30, s[14:15], s4 offset:0x0 scale_offset
.LBB5_4:
	s_wait_xcnt 0x0
	s_bfe_u32 s4, ttmp6, 0x40010
	s_and_b32 s5, ttmp7, 0xffff
	s_add_co_i32 s4, s4, 1
	s_bfe_u32 s10, ttmp6, 0x40004
	s_mul_i32 s4, s5, s4
	v_mbcnt_lo_u32_b32 v73, -1, 0
	s_add_co_i32 s10, s10, s4
	s_cmp_eq_u32 s24, 0
	s_cselect_b32 s31, s5, s10
	s_mov_b32 s5, 0
	s_lshl_b32 s4, s31, 6
	s_wait_kmcnt 0x0
	s_cmp_lt_i32 s4, s30
	s_cbranch_scc1 .LBB5_7
; %bb.5:
	v_mbcnt_lo_u32_b32 v8, -1, 0
	s_delay_alu instid0(VALU_DEP_1)
	v_dual_mov_b32 v69, 32 :: v_dual_bitop2_b32 v75, 16, v8 bitop3:0x14
	v_xor_b32_e32 v74, 8, v8
	v_xor_b32_e32 v72, 4, v8
	;; [unrolled: 1-line block ×4, first 2 shown]
	s_and_not1_b32 vcc_lo, exec_lo, s5
	s_cbranch_vccz .LBB5_8
; %bb.6:
	v_dual_mov_b32 v103, 0 :: v_dual_mov_b32 v41, 0
	v_dual_mov_b32 v7, 0xfeffffff :: v_dual_mov_b32 v6, 0xfeffffff
	;; [unrolled: 1-line block ×12, first 2 shown]
	s_branch .LBB5_11
.LBB5_7:
                                        ; implicit-def: $vgpr8
                                        ; implicit-def: $vgpr69
                                        ; implicit-def: $vgpr75
                                        ; implicit-def: $vgpr74
                                        ; implicit-def: $vgpr72
                                        ; implicit-def: $vgpr71
                                        ; implicit-def: $vgpr70
.LBB5_8:
	s_clause 0x1
	s_load_b64 s[14:15], s[0:1], 0x8c
	s_load_b128 s[24:27], s[0:1], 0x98
	s_mul_f32 s5, s33, 0x4f7ffffe
	s_sub_co_i32 s10, 0, s29
	s_load_b64 s[20:21], s[0:1], 0xa8
	v_dual_lshrrev_b32 v3, 3, v66 :: v_dual_lshlrev_b32 v76, 2, v66
	s_cvt_u32_f32 s5, s5
	s_ashr_i32 s38, s3, 31
	s_abs_i32 s36, s28
	s_mov_b32 s11, s37
	s_mul_i32 s10, s10, s5
	v_lshl_add_u32 v1, v1, 2, v3
	s_mul_hi_u32 s3, s5, s10
	s_ashr_i32 s33, s28, 31
	s_add_co_i32 s10, s5, s3
	s_ashr_i32 s5, s39, 1
	s_mul_u64 s[10:11], s[36:37], s[10:11]
	s_ashr_i32 s3, s2, 31
	s_mul_i32 s10, s11, s29
	s_wait_kmcnt 0x0
	s_ashr_i32 s14, s14, 2
	s_sub_co_i32 s36, s36, s10
	v_mul_lo_u32 v48, s14, v1
	s_xor_b32 s33, s33, s38
	s_ashr_i32 s10, s26, 2
	s_add_co_i32 s26, s11, 1
	s_sub_co_i32 s37, s36, s29
	s_cmp_ge_u32 s36, s29
	s_mul_u64 s[24:25], s[24:25], s[2:3]
	s_cselect_b32 s11, s26, s11
	s_cselect_b32 s26, s37, s36
	s_add_co_i32 s36, s11, 1
	s_cmp_ge_u32 s26, s29
	s_mul_u64 s[20:21], s[20:21], s[2:3]
	s_cselect_b32 s11, s36, s11
	s_lshl_b32 s3, s14, 4
	v_mul_lo_u32 v52, s10, v1
	v_dual_add_nc_u32 v50, s3, v48 :: v_dual_ashrrev_i32 v49, 31, v48
	v_and_b32_e32 v4, 28, v76
	v_mad_u32 v82, v2, s5, v66
	s_xor_b32 s11, s11, s33
	s_delay_alu instid0(VALU_DEP_3) | instskip(NEXT) | instid1(VALU_DEP_3)
	v_dual_mov_b32 v57, 0 :: v_dual_add_nc_u32 v54, s3, v50
	v_lshlrev_b32_e32 v3, 2, v4
	v_add_nc_u32_e32 v84, 0x2400, v0
	s_sub_co_i32 s11, s11, s33
	s_delay_alu instid0(VALU_DEP_3) | instskip(SKIP_1) | instid1(SALU_CYCLE_1)
	v_dual_add_nc_u32 v58, s3, v54 :: v_dual_ashrrev_i32 v55, 31, v54
	s_lshl_b32 s3, s10, 4
	v_dual_ashrrev_i32 v51, 31, v50 :: v_dual_add_nc_u32 v60, s3, v52
	s_delay_alu instid0(VALU_DEP_2)
	v_ashrrev_i32_e32 v59, 31, v58
	v_mad_u32_u24 v77, 0x90, v1, v3
	v_lshl_or_b32 v83, v1, 7, v3
	v_dual_lshlrev_b32 v1, 4, v66 :: v_dual_ashrrev_i32 v53, 31, v52
	v_add_nc_u32_e32 v62, s3, v60
	s_mul_i32 s36, s11, s15
	s_add_nc_u64 s[6:7], s[6:7], s[24:25]
	s_mul_i32 s24, s11, s27
	v_dual_mov_b32 v69, 32 :: v_dual_add_nc_u32 v78, 0x900, v77
	v_dual_add_nc_u32 v64, s3, v62 :: v_dual_ashrrev_i32 v61, 31, v60
	v_dual_mov_b32 v46, v57 :: v_dual_add_nc_u32 v79, 0x1200, v77
	v_dual_mov_b32 v47, v57 :: v_dual_add_nc_u32 v80, 0x1b00, v77
	v_mul_u32_u24_e32 v81, 0x90, v66
	v_dual_mov_b32 v44, v57 :: v_dual_add_nc_u32 v85, 0x800, v83
	v_dual_mov_b32 v43, v57 :: v_dual_add_nc_u32 v86, 0x1000, v83
	v_dual_ashrrev_i32 v63, 31, v62 :: v_dual_ashrrev_i32 v65, 31, v64
	v_dual_mov_b32 v42, v57 :: v_dual_add_nc_u32 v87, 0x1800, v83
	v_mov_b32_e32 v0, 0xfeffffff
	v_dual_lshlrev_b32 v56, 2, v4 :: v_dual_bitop2_b32 v75, 16, v73 bitop3:0x14
	v_dual_mov_b32 v40, v57 :: v_dual_bitop2_b32 v74, 8, v73 bitop3:0x14
	v_dual_mov_b32 v41, v57 :: v_dual_bitop2_b32 v72, 4, v73 bitop3:0x14
	v_dual_mov_b32 v96, v57 :: v_dual_bitop2_b32 v71, 2, v73 bitop3:0x14
	v_dual_mov_b32 v97, v57 :: v_dual_bitop2_b32 v70, 1, v73 bitop3:0x14
	v_dual_mov_b32 v98, v57 :: v_dual_add_nc_u32 v89, 0x400, v76
	v_dual_mov_b32 v99, v57 :: v_dual_add_nc_u32 v90, 0x800, v76
	;; [unrolled: 1-line block ×5, first 2 shown]
	v_dual_mov_b32 v2, 0xfeffffff :: v_dual_mov_b32 v5, 0xfeffffff
	v_dual_mov_b32 v3, 0xfeffffff :: v_dual_mov_b32 v4, 0xfeffffff
	;; [unrolled: 1-line block ×4, first 2 shown]
	v_dual_mov_b32 v1, 0xfeffffff :: v_dual_add_nc_u32 v88, v84, v1
	v_add_nc_u32_e32 v94, 0x1800, v76
	v_add_nc_u32_e32 v95, 0x1c00, v76
	s_ashr_i32 s37, s36, 31
	s_add_nc_u64 s[8:9], s[8:9], s[20:21]
	s_ashr_i32 s25, s24, 31
	s_add_nc_u64 s[6:7], s[6:7], s[36:37]
	s_add_nc_u64 s[8:9], s[8:9], s[24:25]
	s_ashr_i32 s15, s14, 31
	s_ashr_i32 s11, s10, 31
	s_add_nc_u64 s[20:21], s[0:1], 0xd0
.LBB5_9:                                ; =>This Inner Loop Header: Depth=1
	s_ashr_i32 s5, s4, 31
	v_dual_mov_b32 v110, v1 :: v_dual_mov_b32 v111, v0
	s_mul_u64 s[24:25], s[4:5], s[14:15]
	v_dual_mov_b32 v108, v3 :: v_dual_mov_b32 v109, v2
	s_lshl_b64 s[24:25], s[24:25], 2
	v_dual_mov_b32 v104, v7 :: v_dual_mov_b32 v105, v6
	s_add_nc_u64 s[24:25], s[6:7], s[24:25]
	v_dual_mov_b32 v106, v5 :: v_dual_mov_b32 v107, v4
	v_lshl_add_u64 v[0:1], v[48:49], 2, s[24:25]
	v_dual_mov_b32 v119, 0 :: v_dual_mov_b32 v118, 0
	v_dual_mov_b32 v117, 0 :: v_dual_mov_b32 v116, 0
	s_delay_alu instid0(VALU_DEP_3)
	v_add_nc_u64_e32 v[0:1], v[0:1], v[56:57]
	v_dual_mov_b32 v115, 0 :: v_dual_mov_b32 v114, 0
	v_dual_mov_b32 v113, 0 :: v_dual_mov_b32 v112, 0
	v_cmp_gt_i32_e32 vcc_lo, 32, v75
	global_load_b128 v[0:3], v[0:1], off
	s_wait_loadcnt 0x0
	ds_store_b128 v77, v[0:3]
	v_lshl_add_u64 v[0:1], v[50:51], 2, s[24:25]
	s_delay_alu instid0(VALU_DEP_1) | instskip(SKIP_4) | instid1(VALU_DEP_1)
	v_add_nc_u64_e32 v[0:1], v[0:1], v[56:57]
	global_load_b128 v[0:3], v[0:1], off
	s_wait_loadcnt 0x0
	ds_store_b128 v78, v[0:3]
	v_lshl_add_u64 v[0:1], v[54:55], 2, s[24:25]
	v_add_nc_u64_e32 v[0:1], v[0:1], v[56:57]
	global_load_b128 v[0:3], v[0:1], off
	s_wait_loadcnt 0x0
	ds_store_b128 v79, v[0:3]
	v_lshl_add_u64 v[0:1], v[58:59], 2, s[24:25]
	s_mul_u64 s[24:25], s[4:5], s[10:11]
	s_delay_alu instid0(SALU_CYCLE_1) | instskip(NEXT) | instid1(VALU_DEP_1)
	s_lshl_b64 s[24:25], s[24:25], 2
	v_add_nc_u64_e32 v[0:1], v[0:1], v[56:57]
	s_add_nc_u64 s[24:25], s[8:9], s[24:25]
	global_load_b128 v[0:3], v[0:1], off
	s_wait_loadcnt 0x0
	ds_store_b128 v80, v[0:3]
	s_wait_dscnt 0x0
	s_barrier_signal -1
	s_barrier_wait -1
	ds_load_b128 v[36:39], v81
	ds_load_b128 v[0:3], v81 offset:4608
	ds_load_b128 v[32:35], v68
	ds_load_b128 v[28:31], v68 offset:128
	ds_load_b128 v[24:27], v68 offset:256
	;; [unrolled: 1-line block ×7, first 2 shown]
	s_wait_dscnt 0x7
	;;#ASMSTART
	v_dot2_f32_f16 v119, v36, v32, v119
	;;#ASMEND
	;;#ASMSTART
	v_dot2_f32_f16 v119, v37, v33, v119
	;;#ASMEND
	;;#ASMSTART
	v_dot2_f32_f16 v119, v38, v34, v119
	;;#ASMEND
	;;#ASMSTART
	v_dot2_f32_f16 v119, v39, v35, v119
	;;#ASMEND
	s_wait_dscnt 0x6
	;;#ASMSTART
	v_dot2_f32_f16 v118, v36, v28, v118
	;;#ASMEND
	;;#ASMSTART
	v_dot2_f32_f16 v118, v37, v29, v118
	;;#ASMEND
	;;#ASMSTART
	v_dot2_f32_f16 v118, v38, v30, v118
	;;#ASMEND
	;;#ASMSTART
	v_dot2_f32_f16 v118, v39, v31, v118
	;;#ASMEND
	;; [unrolled: 13-line block ×7, first 2 shown]
	s_wait_dscnt 0x0
	;;#ASMSTART
	v_dot2_f32_f16 v112, v36, v4, v112
	;;#ASMEND
	;;#ASMSTART
	v_dot2_f32_f16 v112, v37, v5, v112
	;;#ASMEND
	;;#ASMSTART
	v_dot2_f32_f16 v112, v38, v6, v112
	;;#ASMEND
	v_mov_b32_e32 v36, 0
	;;#ASMSTART
	v_dot2_f32_f16 v112, v39, v7, v112
	;;#ASMEND
	;;#ASMSTART
	v_dot2_f32_f16 v36, v0, v32, v36
	;;#ASMEND
	;;#ASMSTART
	v_dot2_f32_f16 v36, v1, v33, v36
	;;#ASMEND
	;;#ASMSTART
	v_dot2_f32_f16 v36, v2, v34, v36
	;;#ASMEND
	v_mov_b32_e32 v32, 0
	;;#ASMSTART
	v_dot2_f32_f16 v36, v3, v35, v36
	;;#ASMEND
	;; [unrolled: 13-line block ×5, first 2 shown]
	v_mov_b32_e32 v23, 0
	;;#ASMSTART
	v_dot2_f32_f16 v21, v0, v16, v21
	;;#ASMEND
	;;#ASMSTART
	v_dot2_f32_f16 v21, v1, v17, v21
	;;#ASMEND
	;; [unrolled: 3-line block ×7, first 2 shown]
	v_dual_mov_b32 v24, 0 :: v_dual_mov_b32 v25, 0
	;;#ASMSTART
	v_dot2_f32_f16 v23, v3, v15, v23
	;;#ASMEND
	;;#ASMSTART
	v_dot2_f32_f16 v24, v0, v8, v24
	;;#ASMEND
	;;#ASMSTART
	v_dot2_f32_f16 v24, v1, v9, v24
	;;#ASMEND
	;;#ASMSTART
	v_dot2_f32_f16 v24, v2, v10, v24
	;;#ASMEND
	;;#ASMSTART
	v_dot2_f32_f16 v24, v3, v11, v24
	;;#ASMEND
	;;#ASMSTART
	v_dot2_f32_f16 v25, v0, v4, v25
	;;#ASMEND
	;;#ASMSTART
	v_dot2_f32_f16 v25, v1, v5, v25
	;;#ASMEND
	;;#ASMSTART
	v_dot2_f32_f16 v25, v2, v6, v25
	;;#ASMEND
	;;#ASMSTART
	v_dot2_f32_f16 v25, v3, v7, v25
	;;#ASMEND
	ds_load_b128 v[4:7], v81 offset:16
	ds_load_b128 v[0:3], v81 offset:4624
	;; [unrolled: 1-line block ×10, first 2 shown]
	s_wait_dscnt 0x7
	;;#ASMSTART
	v_dot2_f32_f16 v119, v4, v8, v119
	;;#ASMEND
	;;#ASMSTART
	v_dot2_f32_f16 v119, v5, v9, v119
	;;#ASMEND
	;;#ASMSTART
	v_dot2_f32_f16 v119, v6, v10, v119
	;;#ASMEND
	;;#ASMSTART
	v_dot2_f32_f16 v119, v7, v11, v119
	;;#ASMEND
	s_wait_dscnt 0x6
	;;#ASMSTART
	v_dot2_f32_f16 v118, v4, v12, v118
	;;#ASMEND
	;;#ASMSTART
	v_dot2_f32_f16 v118, v5, v13, v118
	;;#ASMEND
	;;#ASMSTART
	v_dot2_f32_f16 v118, v6, v14, v118
	;;#ASMEND
	;;#ASMSTART
	v_dot2_f32_f16 v118, v7, v15, v118
	;;#ASMEND
	;; [unrolled: 13-line block ×8, first 2 shown]
	;;#ASMSTART
	v_dot2_f32_f16 v36, v0, v8, v36
	;;#ASMEND
	;;#ASMSTART
	v_dot2_f32_f16 v36, v1, v9, v36
	;;#ASMEND
	;; [unrolled: 3-line block ×32, first 2 shown]
	ds_load_b128 v[4:7], v81 offset:32
	ds_load_b128 v[0:3], v81 offset:4640
	ds_load_b128 v[8:11], v68 offset:32
	ds_load_b128 v[12:15], v68 offset:160
	ds_load_b128 v[16:19], v68 offset:288
	ds_load_b128 v[120:123], v68 offset:416
	ds_load_b128 v[124:127], v68 offset:544
	ds_load_b128 v[128:131], v68 offset:672
	ds_load_b128 v[132:135], v68 offset:800
	ds_load_b128 v[136:139], v68 offset:928
	s_wait_dscnt 0x7
	;;#ASMSTART
	v_dot2_f32_f16 v119, v4, v8, v119
	;;#ASMEND
	;;#ASMSTART
	v_dot2_f32_f16 v119, v5, v9, v119
	;;#ASMEND
	;;#ASMSTART
	v_dot2_f32_f16 v119, v6, v10, v119
	;;#ASMEND
	;;#ASMSTART
	v_dot2_f32_f16 v119, v7, v11, v119
	;;#ASMEND
	s_wait_dscnt 0x6
	;;#ASMSTART
	v_dot2_f32_f16 v118, v4, v12, v118
	;;#ASMEND
	;;#ASMSTART
	v_dot2_f32_f16 v118, v5, v13, v118
	;;#ASMEND
	;;#ASMSTART
	v_dot2_f32_f16 v118, v6, v14, v118
	;;#ASMEND
	;;#ASMSTART
	v_dot2_f32_f16 v118, v7, v15, v118
	;;#ASMEND
	;; [unrolled: 13-line block ×8, first 2 shown]
	;;#ASMSTART
	v_dot2_f32_f16 v36, v0, v8, v36
	;;#ASMEND
	;;#ASMSTART
	v_dot2_f32_f16 v36, v1, v9, v36
	;;#ASMEND
	;; [unrolled: 3-line block ×32, first 2 shown]
	ds_load_b128 v[4:7], v81 offset:48
	ds_load_b128 v[0:3], v81 offset:4656
	ds_load_b128 v[8:11], v68 offset:48
	ds_load_b128 v[12:15], v68 offset:176
	ds_load_b128 v[16:19], v68 offset:304
	ds_load_b128 v[120:123], v68 offset:432
	ds_load_b128 v[124:127], v68 offset:560
	ds_load_b128 v[128:131], v68 offset:688
	ds_load_b128 v[132:135], v68 offset:816
	ds_load_b128 v[136:139], v68 offset:944
	s_wait_dscnt 0x7
	;;#ASMSTART
	v_dot2_f32_f16 v119, v4, v8, v119
	;;#ASMEND
	;;#ASMSTART
	v_dot2_f32_f16 v119, v5, v9, v119
	;;#ASMEND
	;;#ASMSTART
	v_dot2_f32_f16 v119, v6, v10, v119
	;;#ASMEND
	;;#ASMSTART
	v_dot2_f32_f16 v119, v7, v11, v119
	;;#ASMEND
	s_wait_dscnt 0x6
	;;#ASMSTART
	v_dot2_f32_f16 v118, v4, v12, v118
	;;#ASMEND
	;;#ASMSTART
	v_dot2_f32_f16 v118, v5, v13, v118
	;;#ASMEND
	;;#ASMSTART
	v_dot2_f32_f16 v118, v6, v14, v118
	;;#ASMEND
	;;#ASMSTART
	v_dot2_f32_f16 v118, v7, v15, v118
	;;#ASMEND
	;; [unrolled: 13-line block ×8, first 2 shown]
	;;#ASMSTART
	v_dot2_f32_f16 v36, v0, v8, v36
	;;#ASMEND
	;;#ASMSTART
	v_dot2_f32_f16 v36, v1, v9, v36
	;;#ASMEND
	;; [unrolled: 3-line block ×32, first 2 shown]
	ds_load_b128 v[4:7], v81 offset:64
	ds_load_b128 v[0:3], v81 offset:4672
	;; [unrolled: 1-line block ×10, first 2 shown]
	s_wait_dscnt 0x7
	;;#ASMSTART
	v_dot2_f32_f16 v119, v4, v8, v119
	;;#ASMEND
	;;#ASMSTART
	v_dot2_f32_f16 v119, v5, v9, v119
	;;#ASMEND
	;;#ASMSTART
	v_dot2_f32_f16 v119, v6, v10, v119
	;;#ASMEND
	;;#ASMSTART
	v_dot2_f32_f16 v119, v7, v11, v119
	;;#ASMEND
	s_wait_dscnt 0x6
	;;#ASMSTART
	v_dot2_f32_f16 v118, v4, v12, v118
	;;#ASMEND
	;;#ASMSTART
	v_dot2_f32_f16 v118, v5, v13, v118
	;;#ASMEND
	;;#ASMSTART
	v_dot2_f32_f16 v118, v6, v14, v118
	;;#ASMEND
	;;#ASMSTART
	v_dot2_f32_f16 v118, v7, v15, v118
	;;#ASMEND
	;; [unrolled: 13-line block ×8, first 2 shown]
	;;#ASMSTART
	v_dot2_f32_f16 v36, v0, v8, v36
	;;#ASMEND
	;;#ASMSTART
	v_dot2_f32_f16 v36, v1, v9, v36
	;;#ASMEND
	;; [unrolled: 3-line block ×32, first 2 shown]
	ds_load_b128 v[4:7], v81 offset:80
	ds_load_b128 v[0:3], v81 offset:4688
	;; [unrolled: 1-line block ×10, first 2 shown]
	s_wait_dscnt 0x7
	;;#ASMSTART
	v_dot2_f32_f16 v119, v4, v8, v119
	;;#ASMEND
	;;#ASMSTART
	v_dot2_f32_f16 v119, v5, v9, v119
	;;#ASMEND
	;;#ASMSTART
	v_dot2_f32_f16 v119, v6, v10, v119
	;;#ASMEND
	;;#ASMSTART
	v_dot2_f32_f16 v119, v7, v11, v119
	;;#ASMEND
	s_wait_dscnt 0x6
	;;#ASMSTART
	v_dot2_f32_f16 v118, v4, v12, v118
	;;#ASMEND
	;;#ASMSTART
	v_dot2_f32_f16 v118, v5, v13, v118
	;;#ASMEND
	;;#ASMSTART
	v_dot2_f32_f16 v118, v6, v14, v118
	;;#ASMEND
	;;#ASMSTART
	v_dot2_f32_f16 v118, v7, v15, v118
	;;#ASMEND
	;; [unrolled: 13-line block ×8, first 2 shown]
	;;#ASMSTART
	v_dot2_f32_f16 v36, v0, v8, v36
	;;#ASMEND
	;;#ASMSTART
	v_dot2_f32_f16 v36, v1, v9, v36
	;;#ASMEND
	;; [unrolled: 3-line block ×32, first 2 shown]
	ds_load_b128 v[4:7], v81 offset:96
	ds_load_b128 v[0:3], v81 offset:4704
	;; [unrolled: 1-line block ×10, first 2 shown]
	s_wait_dscnt 0x7
	;;#ASMSTART
	v_dot2_f32_f16 v119, v4, v8, v119
	;;#ASMEND
	;;#ASMSTART
	v_dot2_f32_f16 v119, v5, v9, v119
	;;#ASMEND
	;;#ASMSTART
	v_dot2_f32_f16 v119, v6, v10, v119
	;;#ASMEND
	;;#ASMSTART
	v_dot2_f32_f16 v119, v7, v11, v119
	;;#ASMEND
	s_wait_dscnt 0x6
	;;#ASMSTART
	v_dot2_f32_f16 v118, v4, v12, v118
	;;#ASMEND
	;;#ASMSTART
	v_dot2_f32_f16 v118, v5, v13, v118
	;;#ASMEND
	;;#ASMSTART
	v_dot2_f32_f16 v118, v6, v14, v118
	;;#ASMEND
	;;#ASMSTART
	v_dot2_f32_f16 v118, v7, v15, v118
	;;#ASMEND
	s_wait_dscnt 0x5
	;;#ASMSTART
	v_dot2_f32_f16 v117, v4, v16, v117
	;;#ASMEND
	;;#ASMSTART
	v_dot2_f32_f16 v117, v5, v17, v117
	;;#ASMEND
	;;#ASMSTART
	v_dot2_f32_f16 v117, v6, v18, v117
	;;#ASMEND
	;;#ASMSTART
	v_dot2_f32_f16 v117, v7, v19, v117
	;;#ASMEND
	s_wait_dscnt 0x4
	;;#ASMSTART
	v_dot2_f32_f16 v116, v4, v120, v116
	;;#ASMEND
	;;#ASMSTART
	v_dot2_f32_f16 v116, v5, v121, v116
	;;#ASMEND
	;;#ASMSTART
	v_dot2_f32_f16 v116, v6, v122, v116
	;;#ASMEND
	;;#ASMSTART
	v_dot2_f32_f16 v116, v7, v123, v116
	;;#ASMEND
	s_wait_dscnt 0x3
	;;#ASMSTART
	v_dot2_f32_f16 v115, v4, v124, v115
	;;#ASMEND
	;;#ASMSTART
	v_dot2_f32_f16 v115, v5, v125, v115
	;;#ASMEND
	;;#ASMSTART
	v_dot2_f32_f16 v115, v6, v126, v115
	;;#ASMEND
	;;#ASMSTART
	v_dot2_f32_f16 v115, v7, v127, v115
	;;#ASMEND
	s_wait_dscnt 0x2
	;;#ASMSTART
	v_dot2_f32_f16 v114, v4, v128, v114
	;;#ASMEND
	;;#ASMSTART
	v_dot2_f32_f16 v114, v5, v129, v114
	;;#ASMEND
	;;#ASMSTART
	v_dot2_f32_f16 v114, v6, v130, v114
	;;#ASMEND
	;;#ASMSTART
	v_dot2_f32_f16 v114, v7, v131, v114
	;;#ASMEND
	s_wait_dscnt 0x1
	;;#ASMSTART
	v_dot2_f32_f16 v113, v4, v132, v113
	;;#ASMEND
	;;#ASMSTART
	v_dot2_f32_f16 v113, v5, v133, v113
	;;#ASMEND
	;;#ASMSTART
	v_dot2_f32_f16 v113, v6, v134, v113
	;;#ASMEND
	;;#ASMSTART
	v_dot2_f32_f16 v113, v7, v135, v113
	;;#ASMEND
	s_wait_dscnt 0x0
	;;#ASMSTART
	v_dot2_f32_f16 v112, v4, v136, v112
	;;#ASMEND
	;;#ASMSTART
	v_dot2_f32_f16 v112, v5, v137, v112
	;;#ASMEND
	;;#ASMSTART
	v_dot2_f32_f16 v112, v6, v138, v112
	;;#ASMEND
	;;#ASMSTART
	v_dot2_f32_f16 v112, v7, v139, v112
	;;#ASMEND
	;;#ASMSTART
	v_dot2_f32_f16 v36, v0, v8, v36
	;;#ASMEND
	;;#ASMSTART
	v_dot2_f32_f16 v36, v1, v9, v36
	;;#ASMEND
	;; [unrolled: 3-line block ×32, first 2 shown]
	ds_load_b128 v[0:3], v81 offset:112
	ds_load_b128 v[4:7], v81 offset:4720
	;; [unrolled: 1-line block ×10, first 2 shown]
	s_wait_dscnt 0x7
	;;#ASMSTART
	v_dot2_f32_f16 v119, v0, v8, v119
	;;#ASMEND
	;;#ASMSTART
	v_dot2_f32_f16 v119, v1, v9, v119
	;;#ASMEND
	;;#ASMSTART
	v_dot2_f32_f16 v119, v2, v10, v119
	;;#ASMEND
	;;#ASMSTART
	v_dot2_f32_f16 v119, v3, v11, v119
	;;#ASMEND
	s_wait_dscnt 0x6
	;;#ASMSTART
	v_dot2_f32_f16 v118, v0, v12, v118
	;;#ASMEND
	;;#ASMSTART
	v_dot2_f32_f16 v118, v1, v13, v118
	;;#ASMEND
	;;#ASMSTART
	v_dot2_f32_f16 v118, v2, v14, v118
	;;#ASMEND
	;;#ASMSTART
	v_dot2_f32_f16 v118, v3, v15, v118
	;;#ASMEND
	;; [unrolled: 13-line block ×8, first 2 shown]
	;;#ASMSTART
	v_dot2_f32_f16 v36, v4, v8, v36
	;;#ASMEND
	;;#ASMSTART
	v_dot2_f32_f16 v36, v5, v9, v36
	;;#ASMEND
	;; [unrolled: 3-line block ×6, first 2 shown]
	v_dual_cndmask_b32 v1, v73, v75 :: v_dual_add_nc_u32 v0, s4, v82
	v_cmp_gt_i32_e32 vcc_lo, 32, v74
	;;#ASMSTART
	v_dot2_f32_f16 v32, v6, v14, v32
	;;#ASMEND
	;;#ASMSTART
	v_dot2_f32_f16 v32, v7, v15, v32
	;;#ASMEND
	;; [unrolled: 3-line block ×6, first 2 shown]
	v_dual_lshlrev_b32 v19, 2, v1 :: v_dual_cndmask_b32 v1, v73, v74, vcc_lo
	v_cmp_gt_i32_e32 vcc_lo, 32, v72
	;;#ASMSTART
	v_dot2_f32_f16 v26, v4, v120, v26
	;;#ASMEND
	;;#ASMSTART
	v_dot2_f32_f16 v26, v5, v121, v26
	;;#ASMEND
	;; [unrolled: 3-line block ×3, first 2 shown]
	v_dual_cndmask_b32 v1, v73, v72 :: v_dual_lshlrev_b32 v18, 2, v1
	v_cmp_gt_i32_e32 vcc_lo, 32, v71
	;;#ASMSTART
	v_dot2_f32_f16 v26, v7, v123, v26
	;;#ASMEND
	;;#ASMSTART
	v_dot2_f32_f16 v21, v4, v124, v21
	;;#ASMEND
	;; [unrolled: 3-line block ×4, first 2 shown]
	v_dual_lshlrev_b32 v13, 2, v1 :: v_dual_cndmask_b32 v1, v73, v71, vcc_lo
	v_cmp_gt_i32_e32 vcc_lo, 32, v70
	;;#ASMSTART
	v_dot2_f32_f16 v21, v7, v127, v21
	;;#ASMEND
	;;#ASMSTART
	v_dot2_f32_f16 v23, v4, v128, v23
	;;#ASMEND
	;; [unrolled: 3-line block ×7, first 2 shown]
	v_dual_cndmask_b32 v1, v73, v70 :: v_dual_lshlrev_b32 v12, 2, v1
	;;#ASMSTART
	v_dot2_f32_f16 v24, v6, v134, v24
	;;#ASMEND
	;;#ASMSTART
	v_dot2_f32_f16 v24, v7, v135, v24
	;;#ASMEND
	;; [unrolled: 3-line block ×6, first 2 shown]
	v_lshlrev_b32_e32 v7, 2, v1
	s_clause 0x1
	global_load_u16 v1, v0, s[34:35] scale_offset
	global_load_u16 v0, v0, s[34:35] offset:64 scale_offset
	s_wait_loadcnt 0x0
	s_barrier_signal -1
	s_barrier_wait -1
	v_cvt_f32_f16_e32 v27, v1
	v_cvt_f32_f16_e32 v29, v0
	s_delay_alu instid0(VALU_DEP_1) | instskip(SKIP_3) | instid1(VALU_DEP_3)
	v_dual_add_f32 v8, v119, v27 :: v_dual_add_f32 v10, v36, v29
	v_add_f32_e32 v11, v32, v29
	v_dual_add_f32 v15, v116, v27 :: v_dual_add_f32 v17, v26, v29
	s_wait_xcnt 0x0
	v_dual_add_f32 v1, 0x40051340, v8 :: v_dual_add_f32 v0, 0x40051340, v10
	v_dual_add_f32 v9, v118, v27 :: v_dual_add_f32 v23, v23, v29
	v_add_f32_e32 v26, v113, v27
	v_add_f32_e32 v2, 0x40051340, v11
	s_delay_alu instid0(VALU_DEP_4)
	v_max3_num_f32 v0, v111, v1, v0
	v_dual_add_f32 v16, v28, v29 :: v_dual_add_f32 v14, v117, v27
	v_add_f32_e32 v4, 0x40051340, v17
	v_add_f32_e32 v22, v21, v29
	ds_bpermute_b32 v1, v19, v0
	v_dual_add_f32 v3, 0x40051340, v16 :: v_dual_add_f32 v20, v115, v27
	v_add_f32_e32 v21, v114, v27
	v_dual_add_f32 v5, 0x40051340, v22 :: v_dual_add_f32 v6, 0x40051340, v23
	v_add_f32_e32 v28, v24, v29
	v_dual_add_f32 v27, v112, v27 :: v_dual_add_f32 v29, v25, v29
	s_delay_alu instid0(VALU_DEP_1) | instskip(SKIP_2) | instid1(VALU_DEP_1)
	v_dual_add_f32 v24, 0x40051340, v28 :: v_dual_add_f32 v25, 0x40051340, v29
	s_wait_dscnt 0x0
	v_max_num_f32_e32 v1, v1, v1
	v_max_num_f32_e32 v0, v0, v1
	ds_bpermute_b32 v1, v18, v0
	s_wait_dscnt 0x0
	v_max_num_f32_e32 v1, v1, v1
	s_delay_alu instid0(VALU_DEP_1) | instskip(SKIP_3) | instid1(VALU_DEP_1)
	v_max_num_f32_e32 v0, v0, v1
	ds_bpermute_b32 v1, v13, v0
	s_wait_dscnt 0x0
	v_max_num_f32_e32 v1, v1, v1
	v_max_num_f32_e32 v0, v0, v1
	ds_bpermute_b32 v1, v12, v0
	s_wait_dscnt 0x0
	v_max_num_f32_e32 v1, v1, v1
	s_delay_alu instid0(VALU_DEP_1) | instskip(SKIP_3) | instid1(VALU_DEP_1)
	v_max_num_f32_e32 v0, v0, v1
	ds_bpermute_b32 v1, v7, v0
	s_wait_dscnt 0x0
	v_max_num_f32_e32 v1, v1, v1
	v_max_num_f32_e32 v0, v0, v1
	s_delay_alu instid0(VALU_DEP_1) | instskip(NEXT) | instid1(VALU_DEP_1)
	v_dual_add_f32 v1, 0x40051340, v9 :: v_dual_sub_f32 v8, v8, v0
	v_max3_num_f32 v1, v110, v1, v2
	v_sub_f32_e32 v10, v10, v0
	ds_bpermute_b32 v2, v19, v1
	s_wait_dscnt 0x0
	v_max_num_f32_e32 v2, v2, v2
	s_delay_alu instid0(VALU_DEP_1) | instskip(SKIP_3) | instid1(VALU_DEP_1)
	v_max_num_f32_e32 v1, v1, v2
	ds_bpermute_b32 v2, v18, v1
	s_wait_dscnt 0x0
	v_max_num_f32_e32 v2, v2, v2
	v_max_num_f32_e32 v1, v1, v2
	ds_bpermute_b32 v2, v13, v1
	s_wait_dscnt 0x0
	v_max_num_f32_e32 v2, v2, v2
	s_delay_alu instid0(VALU_DEP_1) | instskip(SKIP_3) | instid1(VALU_DEP_1)
	v_max_num_f32_e32 v1, v1, v2
	ds_bpermute_b32 v2, v12, v1
	s_wait_dscnt 0x0
	v_max_num_f32_e32 v2, v2, v2
	v_max_num_f32_e32 v1, v1, v2
	ds_bpermute_b32 v2, v7, v1
	s_wait_dscnt 0x0
	v_max_num_f32_e32 v2, v2, v2
	s_delay_alu instid0(VALU_DEP_1) | instskip(NEXT) | instid1(VALU_DEP_1)
	v_max_num_f32_e32 v1, v1, v2
	v_dual_add_f32 v2, 0x40051340, v14 :: v_dual_sub_f32 v9, v9, v1
	v_sub_f32_e32 v11, v11, v1
	s_delay_alu instid0(VALU_DEP_2) | instskip(SKIP_3) | instid1(VALU_DEP_1)
	v_max3_num_f32 v2, v109, v2, v3
	ds_bpermute_b32 v3, v19, v2
	s_wait_dscnt 0x0
	v_max_num_f32_e32 v3, v3, v3
	v_max_num_f32_e32 v2, v2, v3
	ds_bpermute_b32 v3, v18, v2
	s_wait_dscnt 0x0
	v_max_num_f32_e32 v3, v3, v3
	s_delay_alu instid0(VALU_DEP_1) | instskip(SKIP_3) | instid1(VALU_DEP_1)
	v_max_num_f32_e32 v2, v2, v3
	ds_bpermute_b32 v3, v13, v2
	s_wait_dscnt 0x0
	v_max_num_f32_e32 v3, v3, v3
	v_max_num_f32_e32 v2, v2, v3
	ds_bpermute_b32 v3, v12, v2
	s_wait_dscnt 0x0
	v_max_num_f32_e32 v3, v3, v3
	s_delay_alu instid0(VALU_DEP_1) | instskip(SKIP_3) | instid1(VALU_DEP_1)
	v_max_num_f32_e32 v2, v2, v3
	ds_bpermute_b32 v3, v7, v2
	s_wait_dscnt 0x0
	v_max_num_f32_e32 v3, v3, v3
	v_max_num_f32_e32 v2, v2, v3
	v_add_f32_e32 v3, 0x40051340, v15
	s_delay_alu instid0(VALU_DEP_1) | instskip(SKIP_3) | instid1(VALU_DEP_1)
	v_max3_num_f32 v3, v108, v3, v4
	ds_bpermute_b32 v4, v19, v3
	s_wait_dscnt 0x0
	v_dual_max_num_f32 v4, v4, v4 :: v_dual_sub_f32 v14, v14, v2
	v_dual_sub_f32 v16, v16, v2 :: v_dual_max_num_f32 v3, v3, v4
	ds_bpermute_b32 v4, v18, v3
	s_wait_dscnt 0x0
	v_max_num_f32_e32 v4, v4, v4
	s_delay_alu instid0(VALU_DEP_1) | instskip(SKIP_3) | instid1(VALU_DEP_1)
	v_max_num_f32_e32 v3, v3, v4
	ds_bpermute_b32 v4, v13, v3
	s_wait_dscnt 0x0
	v_max_num_f32_e32 v4, v4, v4
	v_max_num_f32_e32 v3, v3, v4
	ds_bpermute_b32 v4, v12, v3
	s_wait_dscnt 0x0
	v_max_num_f32_e32 v4, v4, v4
	s_delay_alu instid0(VALU_DEP_1) | instskip(SKIP_3) | instid1(VALU_DEP_1)
	v_max_num_f32_e32 v3, v3, v4
	ds_bpermute_b32 v4, v7, v3
	s_wait_dscnt 0x0
	v_max_num_f32_e32 v4, v4, v4
	v_max_num_f32_e32 v3, v3, v4
	s_delay_alu instid0(VALU_DEP_1) | instskip(NEXT) | instid1(VALU_DEP_1)
	v_dual_add_f32 v4, 0x40051340, v20 :: v_dual_sub_f32 v15, v15, v3
	v_max3_num_f32 v4, v107, v4, v5
	v_sub_f32_e32 v17, v17, v3
	ds_bpermute_b32 v5, v19, v4
	s_wait_dscnt 0x0
	v_max_num_f32_e32 v5, v5, v5
	s_delay_alu instid0(VALU_DEP_1) | instskip(SKIP_3) | instid1(VALU_DEP_1)
	v_max_num_f32_e32 v4, v4, v5
	ds_bpermute_b32 v5, v18, v4
	s_wait_dscnt 0x0
	v_max_num_f32_e32 v5, v5, v5
	v_max_num_f32_e32 v4, v4, v5
	ds_bpermute_b32 v5, v13, v4
	s_wait_dscnt 0x0
	v_max_num_f32_e32 v5, v5, v5
	s_delay_alu instid0(VALU_DEP_1) | instskip(SKIP_3) | instid1(VALU_DEP_1)
	v_max_num_f32_e32 v4, v4, v5
	ds_bpermute_b32 v5, v12, v4
	s_wait_dscnt 0x0
	v_max_num_f32_e32 v5, v5, v5
	v_max_num_f32_e32 v4, v4, v5
	ds_bpermute_b32 v5, v7, v4
	s_wait_dscnt 0x0
	v_max_num_f32_e32 v5, v5, v5
	s_delay_alu instid0(VALU_DEP_1) | instskip(NEXT) | instid1(VALU_DEP_1)
	v_max_num_f32_e32 v4, v4, v5
	v_dual_add_f32 v5, 0x40051340, v21 :: v_dual_sub_f32 v20, v20, v4
	s_delay_alu instid0(VALU_DEP_1) | instskip(SKIP_4) | instid1(VALU_DEP_1)
	v_max3_num_f32 v5, v106, v5, v6
	v_sub_f32_e32 v22, v22, v4
	ds_bpermute_b32 v6, v19, v5
	s_wait_dscnt 0x0
	v_max_num_f32_e32 v6, v6, v6
	v_max_num_f32_e32 v5, v5, v6
	ds_bpermute_b32 v6, v18, v5
	s_wait_dscnt 0x0
	v_max_num_f32_e32 v6, v6, v6
	s_delay_alu instid0(VALU_DEP_1) | instskip(SKIP_3) | instid1(VALU_DEP_1)
	v_max_num_f32_e32 v5, v5, v6
	ds_bpermute_b32 v6, v13, v5
	s_wait_dscnt 0x0
	v_max_num_f32_e32 v6, v6, v6
	v_max_num_f32_e32 v5, v5, v6
	ds_bpermute_b32 v6, v12, v5
	s_wait_dscnt 0x0
	v_max_num_f32_e32 v6, v6, v6
	s_delay_alu instid0(VALU_DEP_1) | instskip(SKIP_3) | instid1(VALU_DEP_1)
	v_max_num_f32_e32 v5, v5, v6
	ds_bpermute_b32 v6, v7, v5
	s_wait_dscnt 0x0
	v_max_num_f32_e32 v6, v6, v6
	v_max_num_f32_e32 v5, v5, v6
	s_delay_alu instid0(VALU_DEP_1) | instskip(SKIP_1) | instid1(VALU_DEP_2)
	v_dual_add_f32 v6, 0x40051340, v26 :: v_dual_sub_f32 v21, v21, v5
	v_sub_f32_e32 v23, v23, v5
	v_max3_num_f32 v6, v105, v6, v24
	ds_bpermute_b32 v24, v19, v6
	s_wait_dscnt 0x0
	v_max_num_f32_e32 v24, v24, v24
	s_delay_alu instid0(VALU_DEP_1) | instskip(SKIP_3) | instid1(VALU_DEP_1)
	v_max_num_f32_e32 v6, v6, v24
	ds_bpermute_b32 v24, v18, v6
	s_wait_dscnt 0x0
	v_max_num_f32_e32 v24, v24, v24
	v_max_num_f32_e32 v6, v6, v24
	ds_bpermute_b32 v24, v13, v6
	s_wait_dscnt 0x0
	v_max_num_f32_e32 v24, v24, v24
	s_delay_alu instid0(VALU_DEP_1) | instskip(SKIP_3) | instid1(VALU_DEP_1)
	v_max_num_f32_e32 v6, v6, v24
	ds_bpermute_b32 v24, v12, v6
	s_wait_dscnt 0x0
	v_max_num_f32_e32 v24, v24, v24
	v_max_num_f32_e32 v6, v6, v24
	ds_bpermute_b32 v24, v7, v6
	s_wait_dscnt 0x0
	v_max_num_f32_e32 v24, v24, v24
	s_delay_alu instid0(VALU_DEP_1) | instskip(SKIP_1) | instid1(VALU_DEP_2)
	v_max_num_f32_e32 v6, v6, v24
	v_add_f32_e32 v24, 0x40051340, v27
	v_sub_f32_e32 v26, v26, v6
	s_delay_alu instid0(VALU_DEP_2) | instskip(SKIP_4) | instid1(VALU_DEP_1)
	v_max3_num_f32 v24, v104, v24, v25
	v_sub_f32_e32 v28, v28, v6
	ds_bpermute_b32 v19, v19, v24
	s_wait_dscnt 0x0
	v_max_num_f32_e32 v19, v19, v19
	v_max_num_f32_e32 v19, v24, v19
	ds_bpermute_b32 v18, v18, v19
	s_wait_dscnt 0x0
	v_max_num_f32_e32 v18, v18, v18
	s_delay_alu instid0(VALU_DEP_1) | instskip(SKIP_3) | instid1(VALU_DEP_1)
	v_max_num_f32_e32 v18, v19, v18
	ds_bpermute_b32 v13, v13, v18
	s_wait_dscnt 0x0
	v_max_num_f32_e32 v13, v13, v13
	v_max_num_f32_e32 v13, v18, v13
	ds_bpermute_b32 v12, v12, v13
	s_wait_dscnt 0x0
	v_max_num_f32_e32 v12, v12, v12
	s_delay_alu instid0(VALU_DEP_1) | instskip(SKIP_4) | instid1(VALU_DEP_1)
	v_max_num_f32_e32 v12, v13, v12
	v_mul_f32_e32 v13, 0x3fb8aa3b, v8
	ds_bpermute_b32 v7, v7, v12
	v_fma_f32 v18, 0x3fb8aa3b, v8, -v13
	v_rndne_f32_e32 v19, v13
	v_sub_f32_e32 v13, v13, v19
	v_cmp_ngt_f32_e32 vcc_lo, 0xc2ce8ed0, v8
	s_delay_alu instid0(VALU_DEP_4) | instskip(NEXT) | instid1(VALU_DEP_1)
	v_fmac_f32_e32 v18, 0x32a5705f, v8
	v_add_f32_e32 v13, v13, v18
	v_cvt_i32_f32_e32 v18, v19
	s_delay_alu instid0(VALU_DEP_2) | instskip(SKIP_2) | instid1(VALU_DEP_1)
	v_exp_f32_e32 v13, v13
	s_wait_dscnt 0x0
	v_max_num_f32_e32 v7, v7, v7
	v_dual_max_num_f32 v7, v12, v7 :: v_dual_sub_f32 v12, v111, v0
	s_delay_alu instid0(TRANS32_DEP_1) | instskip(NEXT) | instid1(VALU_DEP_2)
	v_ldexp_f32 v13, v13, v18
	v_dual_sub_f32 v27, v27, v7 :: v_dual_sub_f32 v29, v29, v7
	s_delay_alu instid0(VALU_DEP_2) | instskip(SKIP_1) | instid1(VALU_DEP_2)
	v_cndmask_b32_e32 v13, 0, v13, vcc_lo
	v_cmp_nlt_f32_e32 vcc_lo, 0x42b17218, v8
	v_cndmask_b32_e32 v8, 0x7f800000, v13, vcc_lo
	v_mul_f32_e32 v13, 0x3fb8aa3b, v10
	v_cmp_ngt_f32_e32 vcc_lo, 0xc2ce8ed0, v10
	s_delay_alu instid0(VALU_DEP_2) | instskip(SKIP_1) | instid1(VALU_DEP_1)
	v_fma_f32 v18, 0x3fb8aa3b, v10, -v13
	v_rndne_f32_e32 v19, v13
	v_dual_fmac_f32 v18, 0x32a5705f, v10 :: v_dual_sub_f32 v13, v13, v19
	s_delay_alu instid0(VALU_DEP_1) | instskip(SKIP_1) | instid1(VALU_DEP_2)
	v_add_f32_e32 v13, v13, v18
	v_cvt_i32_f32_e32 v18, v19
	v_exp_f32_e32 v13, v13
	v_nop
	s_delay_alu instid0(TRANS32_DEP_1) | instskip(NEXT) | instid1(VALU_DEP_1)
	v_ldexp_f32 v13, v13, v18
	v_cndmask_b32_e32 v13, 0, v13, vcc_lo
	v_cmp_nlt_f32_e32 vcc_lo, 0x42b17218, v10
	s_delay_alu instid0(VALU_DEP_2) | instskip(SKIP_2) | instid1(VALU_DEP_2)
	v_cndmask_b32_e32 v10, 0x7f800000, v13, vcc_lo
	v_mul_f32_e32 v13, 0x3fb8aa3b, v12
	v_cmp_ngt_f32_e32 vcc_lo, 0xc2ce8ed0, v12
	v_fma_f32 v18, 0x3fb8aa3b, v12, -v13
	v_rndne_f32_e32 v19, v13
	s_delay_alu instid0(VALU_DEP_1) | instskip(NEXT) | instid1(VALU_DEP_1)
	v_dual_fmac_f32 v18, 0x32a5705f, v12 :: v_dual_sub_f32 v13, v13, v19
	v_add_f32_e32 v13, v13, v18
	v_cvt_i32_f32_e32 v18, v19
	s_delay_alu instid0(VALU_DEP_2) | instskip(SKIP_1) | instid1(TRANS32_DEP_1)
	v_exp_f32_e32 v13, v13
	v_nop
	v_ldexp_f32 v13, v13, v18
	v_mul_f32_e32 v18, 0x3fb8aa3b, v9
	s_delay_alu instid0(VALU_DEP_2) | instskip(NEXT) | instid1(VALU_DEP_2)
	v_cndmask_b32_e32 v13, 0, v13, vcc_lo
	v_fma_f32 v19, 0x3fb8aa3b, v9, -v18
	v_rndne_f32_e32 v24, v18
	v_cmp_nlt_f32_e32 vcc_lo, 0x42b17218, v12
	s_delay_alu instid0(VALU_DEP_2) | instskip(SKIP_2) | instid1(VALU_DEP_3)
	v_dual_fmac_f32 v19, 0x32a5705f, v9 :: v_dual_sub_f32 v18, v18, v24
	v_cndmask_b32_e32 v12, 0x7f800000, v13, vcc_lo
	v_cmp_ngt_f32_e32 vcc_lo, 0xc2ce8ed0, v9
	v_add_f32_e32 v18, v18, v19
	v_cvt_i32_f32_e32 v19, v24
	s_delay_alu instid0(VALU_DEP_4) | instskip(NEXT) | instid1(VALU_DEP_3)
	v_cvt_f16_f32_e32 v13, v12
	v_exp_f32_e32 v18, v18
	s_delay_alu instid0(VALU_DEP_1) | instskip(NEXT) | instid1(TRANS32_DEP_1)
	v_and_b32_e32 v13, 0xffff, v13
	v_ldexp_f32 v18, v18, v19
	s_delay_alu instid0(VALU_DEP_2) | instskip(NEXT) | instid1(VALU_DEP_2)
	v_mul_u32_u24_e32 v13, 0x10001, v13
	v_cndmask_b32_e32 v18, 0, v18, vcc_lo
	v_cmp_nlt_f32_e32 vcc_lo, 0x42b17218, v9
	s_delay_alu instid0(VALU_DEP_3) | instskip(NEXT) | instid1(VALU_DEP_3)
	v_pk_mul_f16 v32, v103, v13
	v_cndmask_b32_e32 v9, 0x7f800000, v18, vcc_lo
	v_mul_f32_e32 v18, 0x3fb8aa3b, v11
	v_cmp_ngt_f32_e32 vcc_lo, 0xc2ce8ed0, v11
	s_delay_alu instid0(VALU_DEP_2) | instskip(SKIP_1) | instid1(VALU_DEP_1)
	v_fma_f32 v19, 0x3fb8aa3b, v11, -v18
	v_rndne_f32_e32 v24, v18
	v_dual_fmac_f32 v19, 0x32a5705f, v11 :: v_dual_sub_f32 v18, v18, v24
	s_delay_alu instid0(VALU_DEP_1) | instskip(SKIP_1) | instid1(VALU_DEP_2)
	v_add_f32_e32 v18, v18, v19
	v_cvt_i32_f32_e32 v19, v24
	v_exp_f32_e32 v18, v18
	v_nop
	s_delay_alu instid0(TRANS32_DEP_1) | instskip(NEXT) | instid1(VALU_DEP_1)
	v_ldexp_f32 v18, v18, v19
	v_dual_sub_f32 v13, v110, v1 :: v_dual_cndmask_b32 v18, 0, v18
	v_cmp_nlt_f32_e32 vcc_lo, 0x42b17218, v11
	s_delay_alu instid0(VALU_DEP_2) | instskip(NEXT) | instid1(VALU_DEP_3)
	v_cndmask_b32_e32 v11, 0x7f800000, v18, vcc_lo
	v_mul_f32_e32 v18, 0x3fb8aa3b, v13
	v_cmp_ngt_f32_e32 vcc_lo, 0xc2ce8ed0, v13
	s_delay_alu instid0(VALU_DEP_2) | instskip(SKIP_1) | instid1(VALU_DEP_1)
	v_fma_f32 v19, 0x3fb8aa3b, v13, -v18
	v_rndne_f32_e32 v24, v18
	v_dual_fmac_f32 v19, 0x32a5705f, v13 :: v_dual_sub_f32 v18, v18, v24
	s_delay_alu instid0(VALU_DEP_1) | instskip(SKIP_1) | instid1(VALU_DEP_2)
	v_add_f32_e32 v18, v18, v19
	v_cvt_i32_f32_e32 v19, v24
	v_exp_f32_e32 v18, v18
	v_nop
	s_delay_alu instid0(TRANS32_DEP_1) | instskip(SKIP_1) | instid1(VALU_DEP_2)
	v_ldexp_f32 v18, v18, v19
	v_mul_f32_e32 v19, 0x3fb8aa3b, v14
	v_cndmask_b32_e32 v18, 0, v18, vcc_lo
	v_cmp_nlt_f32_e32 vcc_lo, 0x42b17218, v13
	s_delay_alu instid0(VALU_DEP_3) | instskip(SKIP_1) | instid1(VALU_DEP_4)
	v_fma_f32 v24, 0x3fb8aa3b, v14, -v19
	v_rndne_f32_e32 v25, v19
	v_cndmask_b32_e32 v13, 0x7f800000, v18, vcc_lo
	s_delay_alu instid0(VALU_DEP_2) | instskip(SKIP_1) | instid1(VALU_DEP_3)
	v_dual_fmac_f32 v24, 0x32a5705f, v14 :: v_dual_sub_f32 v19, v19, v25
	v_cmp_ngt_f32_e32 vcc_lo, 0xc2ce8ed0, v14
	v_cvt_f16_f32_e32 v18, v13
	s_delay_alu instid0(VALU_DEP_3) | instskip(SKIP_1) | instid1(VALU_DEP_3)
	v_add_f32_e32 v19, v19, v24
	v_cvt_i32_f32_e32 v24, v25
	v_and_b32_e32 v18, 0xffff, v18
	s_delay_alu instid0(VALU_DEP_3) | instskip(NEXT) | instid1(VALU_DEP_1)
	v_exp_f32_e32 v19, v19
	v_mul_u32_u24_e32 v18, 0x10001, v18
	s_delay_alu instid0(TRANS32_DEP_1) | instskip(NEXT) | instid1(VALU_DEP_2)
	v_ldexp_f32 v19, v19, v24
	v_pk_mul_f16 v33, v102, v18
	s_delay_alu instid0(VALU_DEP_2) | instskip(SKIP_1) | instid1(VALU_DEP_2)
	v_dual_sub_f32 v18, v109, v2 :: v_dual_cndmask_b32 v19, 0, v19
	v_cmp_nlt_f32_e32 vcc_lo, 0x42b17218, v14
	v_cndmask_b32_e32 v14, 0x7f800000, v19, vcc_lo
	v_mul_f32_e32 v19, 0x3fb8aa3b, v16
	v_cmp_ngt_f32_e32 vcc_lo, 0xc2ce8ed0, v16
	s_delay_alu instid0(VALU_DEP_2) | instskip(SKIP_1) | instid1(VALU_DEP_1)
	v_fma_f32 v24, 0x3fb8aa3b, v16, -v19
	v_rndne_f32_e32 v25, v19
	v_dual_fmac_f32 v24, 0x32a5705f, v16 :: v_dual_sub_f32 v19, v19, v25
	s_delay_alu instid0(VALU_DEP_1) | instskip(SKIP_1) | instid1(VALU_DEP_2)
	v_add_f32_e32 v19, v19, v24
	v_cvt_i32_f32_e32 v24, v25
	v_exp_f32_e32 v19, v19
	v_nop
	s_delay_alu instid0(TRANS32_DEP_1) | instskip(NEXT) | instid1(VALU_DEP_1)
	v_ldexp_f32 v19, v19, v24
	v_cndmask_b32_e32 v19, 0, v19, vcc_lo
	v_cmp_nlt_f32_e32 vcc_lo, 0x42b17218, v16
	s_delay_alu instid0(VALU_DEP_2) | instskip(SKIP_2) | instid1(VALU_DEP_2)
	v_cndmask_b32_e32 v16, 0x7f800000, v19, vcc_lo
	v_mul_f32_e32 v19, 0x3fb8aa3b, v18
	v_cmp_ngt_f32_e32 vcc_lo, 0xc2ce8ed0, v18
	v_fma_f32 v24, 0x3fb8aa3b, v18, -v19
	v_rndne_f32_e32 v25, v19
	s_delay_alu instid0(VALU_DEP_1) | instskip(NEXT) | instid1(VALU_DEP_1)
	v_dual_fmac_f32 v24, 0x32a5705f, v18 :: v_dual_sub_f32 v19, v19, v25
	v_add_f32_e32 v19, v19, v24
	v_cvt_i32_f32_e32 v24, v25
	s_delay_alu instid0(VALU_DEP_2) | instskip(SKIP_1) | instid1(TRANS32_DEP_1)
	v_exp_f32_e32 v19, v19
	v_nop
	v_ldexp_f32 v19, v19, v24
	v_mul_f32_e32 v24, 0x3fb8aa3b, v15
	s_delay_alu instid0(VALU_DEP_2) | instskip(NEXT) | instid1(VALU_DEP_2)
	v_cndmask_b32_e32 v19, 0, v19, vcc_lo
	v_fma_f32 v25, 0x3fb8aa3b, v15, -v24
	v_rndne_f32_e32 v30, v24
	v_cmp_nlt_f32_e32 vcc_lo, 0x42b17218, v18
	s_delay_alu instid0(VALU_DEP_2) | instskip(SKIP_2) | instid1(VALU_DEP_3)
	v_dual_sub_f32 v24, v24, v30 :: v_dual_fmac_f32 v25, 0x32a5705f, v15
	v_cndmask_b32_e32 v18, 0x7f800000, v19, vcc_lo
	v_cmp_ngt_f32_e32 vcc_lo, 0xc2ce8ed0, v15
	v_add_f32_e32 v24, v24, v25
	s_delay_alu instid0(VALU_DEP_3) | instskip(SKIP_1) | instid1(VALU_DEP_3)
	v_cvt_f16_f32_e32 v19, v18
	v_cvt_i32_f32_e32 v25, v30
	v_exp_f32_e32 v24, v24
	s_delay_alu instid0(VALU_DEP_2) | instskip(NEXT) | instid1(VALU_DEP_1)
	v_and_b32_e32 v19, 0xffff, v19
	v_mul_u32_u24_e32 v19, 0x10001, v19
	s_delay_alu instid0(TRANS32_DEP_1) | instskip(NEXT) | instid1(VALU_DEP_2)
	v_ldexp_f32 v24, v24, v25
	v_pk_mul_f16 v34, v101, v19
	s_delay_alu instid0(VALU_DEP_2) | instskip(SKIP_1) | instid1(VALU_DEP_2)
	v_dual_sub_f32 v19, v108, v3 :: v_dual_cndmask_b32 v24, 0, v24
	v_cmp_nlt_f32_e32 vcc_lo, 0x42b17218, v15
	v_cndmask_b32_e32 v15, 0x7f800000, v24, vcc_lo
	v_mul_f32_e32 v24, 0x3fb8aa3b, v17
	v_cmp_ngt_f32_e32 vcc_lo, 0xc2ce8ed0, v17
	s_delay_alu instid0(VALU_DEP_2) | instskip(SKIP_1) | instid1(VALU_DEP_1)
	v_fma_f32 v25, 0x3fb8aa3b, v17, -v24
	v_rndne_f32_e32 v30, v24
	v_dual_fmac_f32 v25, 0x32a5705f, v17 :: v_dual_sub_f32 v24, v24, v30
	s_delay_alu instid0(VALU_DEP_1) | instskip(SKIP_1) | instid1(VALU_DEP_2)
	v_add_f32_e32 v24, v24, v25
	v_cvt_i32_f32_e32 v25, v30
	v_exp_f32_e32 v24, v24
	v_nop
	s_delay_alu instid0(TRANS32_DEP_1) | instskip(NEXT) | instid1(VALU_DEP_1)
	v_ldexp_f32 v24, v24, v25
	v_cndmask_b32_e32 v24, 0, v24, vcc_lo
	v_cmp_nlt_f32_e32 vcc_lo, 0x42b17218, v17
	s_delay_alu instid0(VALU_DEP_2) | instskip(SKIP_2) | instid1(VALU_DEP_2)
	v_cndmask_b32_e32 v17, 0x7f800000, v24, vcc_lo
	v_mul_f32_e32 v24, 0x3fb8aa3b, v19
	v_cmp_ngt_f32_e32 vcc_lo, 0xc2ce8ed0, v19
	v_fma_f32 v25, 0x3fb8aa3b, v19, -v24
	v_rndne_f32_e32 v30, v24
	s_delay_alu instid0(VALU_DEP_1) | instskip(NEXT) | instid1(VALU_DEP_1)
	v_dual_fmac_f32 v25, 0x32a5705f, v19 :: v_dual_sub_f32 v24, v24, v30
	v_add_f32_e32 v24, v24, v25
	v_cvt_i32_f32_e32 v25, v30
	s_delay_alu instid0(VALU_DEP_2) | instskip(SKIP_1) | instid1(TRANS32_DEP_1)
	v_exp_f32_e32 v24, v24
	v_nop
	v_ldexp_f32 v24, v24, v25
	v_mul_f32_e32 v25, 0x3fb8aa3b, v20
	s_delay_alu instid0(VALU_DEP_2) | instskip(NEXT) | instid1(VALU_DEP_2)
	v_cndmask_b32_e32 v24, 0, v24, vcc_lo
	v_fma_f32 v30, 0x3fb8aa3b, v20, -v25
	v_rndne_f32_e32 v31, v25
	v_cmp_nlt_f32_e32 vcc_lo, 0x42b17218, v19
	s_delay_alu instid0(VALU_DEP_2) | instskip(SKIP_2) | instid1(VALU_DEP_3)
	v_dual_fmac_f32 v30, 0x32a5705f, v20 :: v_dual_sub_f32 v25, v25, v31
	v_cndmask_b32_e32 v19, 0x7f800000, v24, vcc_lo
	v_cmp_ngt_f32_e32 vcc_lo, 0xc2ce8ed0, v20
	v_add_f32_e32 v25, v25, v30
	s_delay_alu instid0(VALU_DEP_3) | instskip(SKIP_1) | instid1(VALU_DEP_3)
	v_cvt_f16_f32_e32 v24, v19
	v_cvt_i32_f32_e32 v30, v31
	v_exp_f32_e32 v25, v25
	s_delay_alu instid0(VALU_DEP_2) | instskip(NEXT) | instid1(VALU_DEP_1)
	v_and_b32_e32 v24, 0xffff, v24
	v_mul_u32_u24_e32 v24, 0x10001, v24
	s_delay_alu instid0(TRANS32_DEP_1) | instskip(NEXT) | instid1(VALU_DEP_2)
	v_ldexp_f32 v25, v25, v30
	v_pk_mul_f16 v35, v100, v24
	s_delay_alu instid0(VALU_DEP_2)
	v_dual_sub_f32 v24, v107, v4 :: v_dual_cndmask_b32 v25, 0, v25
	v_cmp_nlt_f32_e32 vcc_lo, 0x42b17218, v20
	v_pk_add_f32 v[100:101], v[14:15], v[16:17]
	v_cvt_pk_f16_f32 v17, v16, v17
	v_cvt_pk_f16_f32 v16, v10, v11
	v_cndmask_b32_e32 v20, 0x7f800000, v25, vcc_lo
	v_mul_f32_e32 v25, 0x3fb8aa3b, v22
	v_cmp_ngt_f32_e32 vcc_lo, 0xc2ce8ed0, v22
	s_delay_alu instid0(VALU_DEP_2) | instskip(SKIP_1) | instid1(VALU_DEP_1)
	v_fma_f32 v30, 0x3fb8aa3b, v22, -v25
	v_rndne_f32_e32 v31, v25
	v_dual_fmac_f32 v30, 0x32a5705f, v22 :: v_dual_sub_f32 v25, v25, v31
	s_delay_alu instid0(VALU_DEP_1) | instskip(SKIP_1) | instid1(VALU_DEP_2)
	v_add_f32_e32 v25, v25, v30
	v_cvt_i32_f32_e32 v30, v31
	v_exp_f32_e32 v25, v25
	v_nop
	s_delay_alu instid0(TRANS32_DEP_1) | instskip(NEXT) | instid1(VALU_DEP_1)
	v_ldexp_f32 v25, v25, v30
	v_cndmask_b32_e32 v25, 0, v25, vcc_lo
	v_cmp_nlt_f32_e32 vcc_lo, 0x42b17218, v22
	s_delay_alu instid0(VALU_DEP_2) | instskip(SKIP_2) | instid1(VALU_DEP_2)
	v_cndmask_b32_e32 v22, 0x7f800000, v25, vcc_lo
	v_mul_f32_e32 v25, 0x3fb8aa3b, v24
	v_cmp_ngt_f32_e32 vcc_lo, 0xc2ce8ed0, v24
	v_fma_f32 v30, 0x3fb8aa3b, v24, -v25
	v_rndne_f32_e32 v31, v25
	s_delay_alu instid0(VALU_DEP_1) | instskip(NEXT) | instid1(VALU_DEP_1)
	v_dual_fmac_f32 v30, 0x32a5705f, v24 :: v_dual_sub_f32 v25, v25, v31
	v_add_f32_e32 v25, v25, v30
	v_cvt_i32_f32_e32 v30, v31
	s_delay_alu instid0(VALU_DEP_2) | instskip(SKIP_1) | instid1(TRANS32_DEP_1)
	v_exp_f32_e32 v25, v25
	v_nop
	v_ldexp_f32 v25, v25, v30
	v_mul_f32_e32 v30, 0x3fb8aa3b, v21
	s_delay_alu instid0(VALU_DEP_2) | instskip(NEXT) | instid1(VALU_DEP_2)
	v_cndmask_b32_e32 v25, 0, v25, vcc_lo
	v_fma_f32 v31, 0x3fb8aa3b, v21, -v30
	v_rndne_f32_e32 v37, v30
	v_cmp_nlt_f32_e32 vcc_lo, 0x42b17218, v24
	s_delay_alu instid0(VALU_DEP_3) | instskip(NEXT) | instid1(VALU_DEP_3)
	v_fmac_f32_e32 v31, 0x32a5705f, v21
	v_sub_f32_e32 v30, v30, v37
	v_cndmask_b32_e32 v24, 0x7f800000, v25, vcc_lo
	v_cmp_ngt_f32_e32 vcc_lo, 0xc2ce8ed0, v21
	v_pk_fma_f32 v[44:45], v[44:45], v[18:19], v[100:101]
	s_delay_alu instid0(VALU_DEP_4) | instskip(NEXT) | instid1(VALU_DEP_4)
	v_add_f32_e32 v30, v30, v31
	v_cvt_f16_f32_e32 v25, v24
	v_cvt_i32_f32_e32 v31, v37
	s_delay_alu instid0(VALU_DEP_3) | instskip(NEXT) | instid1(VALU_DEP_2)
	v_exp_f32_e32 v30, v30
	v_and_b32_e32 v25, 0xffff, v25
	s_delay_alu instid0(VALU_DEP_1) | instskip(NEXT) | instid1(TRANS32_DEP_1)
	v_mul_u32_u24_e32 v25, 0x10001, v25
	v_ldexp_f32 v30, v30, v31
	s_delay_alu instid0(VALU_DEP_2) | instskip(NEXT) | instid1(VALU_DEP_2)
	v_pk_mul_f16 v36, v99, v25
	v_dual_sub_f32 v25, v106, v5 :: v_dual_cndmask_b32 v30, 0, v30
	v_cmp_nlt_f32_e32 vcc_lo, 0x42b17218, v21
	s_delay_alu instid0(VALU_DEP_2) | instskip(SKIP_2) | instid1(VALU_DEP_2)
	v_cndmask_b32_e32 v21, 0x7f800000, v30, vcc_lo
	v_mul_f32_e32 v30, 0x3fb8aa3b, v23
	v_cmp_ngt_f32_e32 vcc_lo, 0xc2ce8ed0, v23
	v_fma_f32 v31, 0x3fb8aa3b, v23, -v30
	v_rndne_f32_e32 v37, v30
	s_delay_alu instid0(VALU_DEP_1) | instskip(NEXT) | instid1(VALU_DEP_1)
	v_dual_fmac_f32 v31, 0x32a5705f, v23 :: v_dual_sub_f32 v30, v30, v37
	v_add_f32_e32 v30, v30, v31
	v_cvt_i32_f32_e32 v31, v37
	s_delay_alu instid0(VALU_DEP_2) | instskip(SKIP_1) | instid1(TRANS32_DEP_1)
	v_exp_f32_e32 v30, v30
	v_nop
	v_ldexp_f32 v30, v30, v31
	s_delay_alu instid0(VALU_DEP_1) | instskip(SKIP_1) | instid1(VALU_DEP_2)
	v_cndmask_b32_e32 v30, 0, v30, vcc_lo
	v_cmp_nlt_f32_e32 vcc_lo, 0x42b17218, v23
	v_cndmask_b32_e32 v23, 0x7f800000, v30, vcc_lo
	v_mul_f32_e32 v30, 0x3fb8aa3b, v25
	v_cmp_ngt_f32_e32 vcc_lo, 0xc2ce8ed0, v25
	s_delay_alu instid0(VALU_DEP_2) | instskip(SKIP_1) | instid1(VALU_DEP_2)
	v_fma_f32 v31, 0x3fb8aa3b, v25, -v30
	v_rndne_f32_e32 v37, v30
	v_fmac_f32_e32 v31, 0x32a5705f, v25
	s_delay_alu instid0(VALU_DEP_2) | instskip(NEXT) | instid1(VALU_DEP_1)
	v_sub_f32_e32 v30, v30, v37
	v_add_f32_e32 v30, v30, v31
	v_cvt_i32_f32_e32 v31, v37
	v_pk_add_f32 v[102:103], v[20:21], v[22:23]
	v_cvt_pk_f16_f32 v18, v22, v23
	s_delay_alu instid0(VALU_DEP_4) | instskip(SKIP_1) | instid1(TRANS32_DEP_1)
	v_exp_f32_e32 v30, v30
	v_nop
	v_ldexp_f32 v30, v30, v31
	v_mul_f32_e32 v31, 0x3fb8aa3b, v26
	s_delay_alu instid0(VALU_DEP_1) | instskip(SKIP_1) | instid1(VALU_DEP_1)
	v_fma_f32 v38, 0x3fb8aa3b, v26, -v31
	v_rndne_f32_e32 v39, v31
	v_dual_fmac_f32 v38, 0x32a5705f, v26 :: v_dual_sub_f32 v31, v31, v39
	s_delay_alu instid0(VALU_DEP_1) | instskip(SKIP_1) | instid1(VALU_DEP_2)
	v_add_f32_e32 v31, v31, v38
	v_cvt_i32_f32_e32 v38, v39
	v_exp_f32_e32 v31, v31
	v_nop
	s_delay_alu instid0(TRANS32_DEP_1) | instskip(SKIP_2) | instid1(VALU_DEP_2)
	v_ldexp_f32 v31, v31, v38
	v_cndmask_b32_e32 v30, 0, v30, vcc_lo
	v_cmp_nlt_f32_e32 vcc_lo, 0x42b17218, v25
	v_cndmask_b32_e32 v25, 0x7f800000, v30, vcc_lo
	v_cmp_ngt_f32_e32 vcc_lo, 0xc2ce8ed0, v26
	s_delay_alu instid0(VALU_DEP_2)
	v_cvt_f16_f32_e32 v30, v25
	v_cndmask_b32_e32 v31, 0, v31, vcc_lo
	v_cmp_nlt_f32_e32 vcc_lo, 0x42b17218, v26
	v_pk_fma_f32 v[42:43], v[42:43], v[24:25], v[102:103]
	v_cvt_pk_f16_f32 v24, v8, v9
	v_and_b32_e32 v30, 0xffff, v30
	v_cvt_pk_f16_f32 v25, v14, v15
	v_cndmask_b32_e32 v26, 0x7f800000, v31, vcc_lo
	v_mul_f32_e32 v31, 0x3fb8aa3b, v28
	v_cmp_ngt_f32_e32 vcc_lo, 0xc2ce8ed0, v28
	v_mul_u32_u24_e32 v30, 0x10001, v30
	s_delay_alu instid0(VALU_DEP_3) | instskip(SKIP_1) | instid1(VALU_DEP_3)
	v_fma_f32 v38, 0x3fb8aa3b, v28, -v31
	v_rndne_f32_e32 v39, v31
	v_pk_mul_f16 v37, v98, v30
	v_sub_f32_e32 v30, v105, v6
	s_delay_alu instid0(VALU_DEP_3) | instskip(NEXT) | instid1(VALU_DEP_1)
	v_dual_fmac_f32 v38, 0x32a5705f, v28 :: v_dual_sub_f32 v31, v31, v39
	v_add_f32_e32 v31, v31, v38
	v_cvt_i32_f32_e32 v38, v39
	s_delay_alu instid0(VALU_DEP_2) | instskip(SKIP_1) | instid1(TRANS32_DEP_1)
	v_exp_f32_e32 v31, v31
	v_nop
	v_ldexp_f32 v31, v31, v38
	s_delay_alu instid0(VALU_DEP_1) | instskip(SKIP_1) | instid1(VALU_DEP_2)
	v_cndmask_b32_e32 v31, 0, v31, vcc_lo
	v_cmp_nlt_f32_e32 vcc_lo, 0x42b17218, v28
	v_cndmask_b32_e32 v28, 0x7f800000, v31, vcc_lo
	v_mul_f32_e32 v31, 0x3fb8aa3b, v30
	v_cmp_ngt_f32_e32 vcc_lo, 0xc2ce8ed0, v30
	s_delay_alu instid0(VALU_DEP_2) | instskip(SKIP_1) | instid1(VALU_DEP_1)
	v_fma_f32 v38, 0x3fb8aa3b, v30, -v31
	v_rndne_f32_e32 v39, v31
	v_dual_fmac_f32 v38, 0x32a5705f, v30 :: v_dual_sub_f32 v31, v31, v39
	s_delay_alu instid0(VALU_DEP_1) | instskip(SKIP_2) | instid1(VALU_DEP_3)
	v_add_f32_e32 v31, v31, v38
	v_cvt_i32_f32_e32 v38, v39
	v_mul_f32_e32 v39, 0x3fb8aa3b, v27
	v_exp_f32_e32 v31, v31
	s_delay_alu instid0(VALU_DEP_1) | instskip(NEXT) | instid1(TRANS32_DEP_1)
	v_rndne_f32_e32 v98, v39
	v_ldexp_f32 v31, v31, v38
	s_delay_alu instid0(VALU_DEP_1) | instskip(SKIP_1) | instid1(VALU_DEP_2)
	v_cndmask_b32_e32 v31, 0, v31, vcc_lo
	v_cmp_nlt_f32_e32 vcc_lo, 0x42b17218, v30
	v_cndmask_b32_e32 v30, 0x7f800000, v31, vcc_lo
	v_cmp_ngt_f32_e32 vcc_lo, 0xc2ce8ed0, v27
	s_delay_alu instid0(VALU_DEP_2) | instskip(NEXT) | instid1(VALU_DEP_1)
	v_cvt_f16_f32_e32 v31, v30
	v_and_b32_e32 v31, 0xffff, v31
	s_delay_alu instid0(VALU_DEP_1) | instskip(NEXT) | instid1(VALU_DEP_1)
	v_mul_u32_u24_e32 v31, 0x10001, v31
	v_pk_mul_f16 v38, v97, v31
	v_fma_f32 v97, 0x3fb8aa3b, v27, -v39
	v_dual_sub_f32 v39, v39, v98 :: v_dual_sub_f32 v31, v104, v7
	s_delay_alu instid0(VALU_DEP_2) | instskip(NEXT) | instid1(VALU_DEP_1)
	v_fmac_f32_e32 v97, 0x32a5705f, v27
	v_add_f32_e32 v39, v39, v97
	v_cvt_i32_f32_e32 v97, v98
	s_delay_alu instid0(VALU_DEP_2) | instskip(SKIP_1) | instid1(TRANS32_DEP_1)
	v_exp_f32_e32 v39, v39
	v_nop
	v_ldexp_f32 v39, v39, v97
	s_delay_alu instid0(VALU_DEP_1) | instskip(SKIP_1) | instid1(VALU_DEP_2)
	v_cndmask_b32_e32 v39, 0, v39, vcc_lo
	v_cmp_nlt_f32_e32 vcc_lo, 0x42b17218, v27
	v_cndmask_b32_e32 v27, 0x7f800000, v39, vcc_lo
	v_mul_f32_e32 v39, 0x3fb8aa3b, v29
	v_cmp_ngt_f32_e32 vcc_lo, 0xc2ce8ed0, v29
	s_delay_alu instid0(VALU_DEP_2) | instskip(SKIP_1) | instid1(VALU_DEP_2)
	v_fma_f32 v97, 0x3fb8aa3b, v29, -v39
	v_rndne_f32_e32 v98, v39
	v_fmac_f32_e32 v97, 0x32a5705f, v29
	s_delay_alu instid0(VALU_DEP_2) | instskip(NEXT) | instid1(VALU_DEP_1)
	v_sub_f32_e32 v39, v39, v98
	v_add_f32_e32 v39, v39, v97
	v_cvt_i32_f32_e32 v97, v98
	s_delay_alu instid0(VALU_DEP_2) | instskip(SKIP_1) | instid1(TRANS32_DEP_1)
	v_exp_f32_e32 v39, v39
	v_nop
	v_ldexp_f32 v39, v39, v97
	s_delay_alu instid0(VALU_DEP_1) | instskip(SKIP_1) | instid1(VALU_DEP_2)
	v_cndmask_b32_e32 v39, 0, v39, vcc_lo
	v_cmp_nlt_f32_e32 vcc_lo, 0x42b17218, v29
	v_cndmask_b32_e32 v29, 0x7f800000, v39, vcc_lo
	v_mul_f32_e32 v39, 0x3fb8aa3b, v31
	v_cmp_ngt_f32_e32 vcc_lo, 0xc2ce8ed0, v31
	s_delay_alu instid0(VALU_DEP_3) | instskip(NEXT) | instid1(VALU_DEP_3)
	v_pk_add_f32 v[104:105], v[26:27], v[28:29]
	v_fma_f32 v97, 0x3fb8aa3b, v31, -v39
	v_rndne_f32_e32 v98, v39
	v_cvt_pk_f16_f32 v27, v26, v27
	v_cvt_pk_f16_f32 v26, v20, v21
	;; [unrolled: 1-line block ×3, first 2 shown]
	v_fmac_f32_e32 v97, 0x32a5705f, v31
	v_sub_f32_e32 v39, v39, v98
	ds_store_b128 v88, v[24:27]
	ds_store_b128 v88, v[16:19] offset:512
	v_add_f32_e32 v39, v39, v97
	v_cvt_i32_f32_e32 v97, v98
	v_pk_add_f32 v[98:99], v[8:9], v[10:11]
	v_lshl_add_u64 v[10:11], v[60:61], 2, s[24:25]
	v_lshl_add_u64 v[8:9], v[52:53], 2, s[24:25]
	v_exp_f32_e32 v39, v39
	s_delay_alu instid0(VALU_DEP_3) | instskip(NEXT) | instid1(VALU_DEP_3)
	v_pk_fma_f32 v[46:47], v[46:47], v[12:13], v[98:99]
	v_add_nc_u64_e32 v[14:15], v[10:11], v[56:57]
	v_lshl_add_u64 v[10:11], v[62:63], 2, s[24:25]
	v_add_nc_u64_e32 v[8:9], v[8:9], v[56:57]
	s_delay_alu instid0(TRANS32_DEP_1) | instskip(NEXT) | instid1(VALU_DEP_3)
	v_ldexp_f32 v39, v39, v97
	v_add_nc_u64_e32 v[16:17], v[10:11], v[56:57]
	v_lshl_add_u64 v[10:11], v[64:65], 2, s[24:25]
	s_delay_alu instid0(VALU_DEP_3) | instskip(SKIP_1) | instid1(VALU_DEP_3)
	v_cndmask_b32_e32 v39, 0, v39, vcc_lo
	v_cmp_nlt_f32_e32 vcc_lo, 0x42b17218, v31
	v_add_nc_u64_e32 v[18:19], v[10:11], v[56:57]
	global_load_b128 v[8:11], v[8:9], off
	v_cndmask_b32_e32 v31, 0x7f800000, v39, vcc_lo
	s_delay_alu instid0(VALU_DEP_1) | instskip(SKIP_1) | instid1(VALU_DEP_2)
	v_cvt_f16_f32_e32 v12, v31
	v_pk_fma_f32 v[40:41], v[40:41], v[30:31], v[104:105]
	v_and_b32_e32 v12, 0xffff, v12
	s_delay_alu instid0(VALU_DEP_1) | instskip(NEXT) | instid1(VALU_DEP_1)
	v_mul_u32_u24_e32 v12, 0x10001, v12
	v_pk_mul_f16 v12, v96, v12
	s_wait_loadcnt 0x0
	ds_store_b128 v83, v[8:11]
	global_load_b128 v[8:11], v[14:15], off
	s_wait_loadcnt 0x0
	ds_store_b128 v85, v[8:11]
	global_load_b128 v[8:11], v[16:17], off
	;; [unrolled: 3-line block ×3, first 2 shown]
	s_wait_loadcnt 0x0
	ds_store_b128 v87, v[8:11]
	s_wait_dscnt 0x0
	s_barrier_signal -1
	s_barrier_wait -1
	ds_load_2addr_b32 v[26:27], v76 offset1:32
	ds_load_b128 v[14:17], v84
	ds_load_b128 v[18:21], v84 offset:16
	ds_load_b128 v[22:25], v84 offset:32
	;; [unrolled: 1-line block ×3, first 2 shown]
	s_wait_dscnt 0x3
	v_dual_lshrrev_b32 v13, 16, v14 :: v_dual_lshrrev_b32 v28, 16, v15
	v_dual_lshrrev_b32 v29, 16, v16 :: v_dual_lshrrev_b32 v30, 16, v17
	v_and_b32_e32 v14, 0xffff, v14
	v_and_b32_e32 v15, 0xffff, v15
	;; [unrolled: 1-line block ×4, first 2 shown]
	v_mul_u32_u24_e32 v13, 0x10001, v13
	v_mul_u32_u24_e32 v14, 0x10001, v14
	;; [unrolled: 1-line block ×8, first 2 shown]
	v_pk_fma_f16 v14, v26, v14, v32
	v_pk_fma_f16 v13, v26, v13, v33
	;; [unrolled: 1-line block ×8, first 2 shown]
	s_wait_dscnt 0x2
	v_dual_lshrrev_b32 v26, 16, v18 :: v_dual_lshrrev_b32 v32, 16, v21
	v_and_b32_e32 v18, 0xffff, v18
	v_and_b32_e32 v21, 0xffff, v21
	v_lshrrev_b32_e32 v30, 16, v19
	s_delay_alu instid0(VALU_DEP_4)
	v_mul_u32_u24_e32 v26, 0x10001, v26
	v_mul_u32_u24_e32 v32, 0x10001, v32
	v_mul_u32_u24_e32 v18, 0x10001, v18
	v_mul_u32_u24_e32 v21, 0x10001, v21
	v_lshrrev_b32_e32 v31, 16, v20
	v_and_b32_e32 v19, 0xffff, v19
	v_and_b32_e32 v20, 0xffff, v20
	v_pk_fma_f16 v14, v27, v18, v14
	v_pk_fma_f16 v18, v27, v26, v13
	;; [unrolled: 1-line block ×4, first 2 shown]
	ds_load_2addr_b32 v[12:13], v76 offset0:64 offset1:96
	v_mul_u32_u24_e32 v19, 0x10001, v19
	v_mul_u32_u24_e32 v30, 0x10001, v30
	;; [unrolled: 1-line block ×4, first 2 shown]
	s_wait_dscnt 0x2
	v_lshrrev_b32_e32 v26, 16, v22
	v_pk_fma_f16 v15, v27, v19, v15
	v_pk_fma_f16 v19, v27, v30, v28
	;; [unrolled: 1-line block ×4, first 2 shown]
	v_dual_lshrrev_b32 v27, 16, v23 :: v_dual_lshrrev_b32 v28, 16, v24
	v_lshrrev_b32_e32 v29, 16, v25
	v_and_b32_e32 v22, 0xffff, v22
	v_and_b32_e32 v23, 0xffff, v23
	;; [unrolled: 1-line block ×4, first 2 shown]
	v_mul_u32_u24_e32 v26, 0x10001, v26
	v_mul_u32_u24_e32 v22, 0x10001, v22
	;; [unrolled: 1-line block ×8, first 2 shown]
	s_wait_dscnt 0x0
	v_pk_fma_f16 v14, v12, v22, v14
	v_pk_fma_f16 v18, v12, v26, v18
	;; [unrolled: 1-line block ×8, first 2 shown]
	v_dual_lshrrev_b32 v21, 16, v8 :: v_dual_lshrrev_b32 v22, 16, v9
	v_dual_lshrrev_b32 v23, 16, v10 :: v_dual_lshrrev_b32 v24, 16, v11
	v_and_b32_e32 v8, 0xffff, v8
	v_and_b32_e32 v9, 0xffff, v9
	;; [unrolled: 1-line block ×4, first 2 shown]
	v_mul_u32_u24_e32 v21, 0x10001, v21
	v_mul_u32_u24_e32 v8, 0x10001, v8
	;; [unrolled: 1-line block ×8, first 2 shown]
	v_pk_fma_f16 v14, v13, v8, v14
	v_pk_fma_f16 v18, v13, v21, v18
	;; [unrolled: 1-line block ×8, first 2 shown]
	ds_load_2addr_b32 v[12:13], v76 offset0:128 offset1:160
	ds_load_b128 v[8:11], v84 offset:64
	s_wait_dscnt 0x0
	v_dual_lshrrev_b32 v22, 16, v8 :: v_dual_lshrrev_b32 v23, 16, v9
	v_dual_lshrrev_b32 v24, 16, v10 :: v_dual_lshrrev_b32 v25, 16, v11
	v_and_b32_e32 v8, 0xffff, v8
	v_and_b32_e32 v9, 0xffff, v9
	;; [unrolled: 1-line block ×4, first 2 shown]
	v_mul_u32_u24_e32 v22, 0x10001, v22
	v_mul_u32_u24_e32 v8, 0x10001, v8
	;; [unrolled: 1-line block ×6, first 2 shown]
	v_pk_fma_f16 v14, v12, v8, v14
	v_pk_fma_f16 v15, v12, v9, v15
	;; [unrolled: 1-line block ×4, first 2 shown]
	ds_load_b128 v[8:11], v84 offset:80
	v_mul_u32_u24_e32 v24, 0x10001, v24
	v_mul_u32_u24_e32 v25, 0x10001, v25
	v_pk_fma_f16 v18, v12, v22, v18
	v_pk_fma_f16 v19, v12, v23, v19
	s_delay_alu instid0(VALU_DEP_4) | instskip(NEXT) | instid1(VALU_DEP_4)
	v_pk_fma_f16 v20, v12, v24, v20
	v_pk_fma_f16 v12, v12, v25, v21
	s_wait_dscnt 0x0
	v_dual_lshrrev_b32 v21, 16, v8 :: v_dual_lshrrev_b32 v23, 16, v10
	v_dual_lshrrev_b32 v22, 16, v9 :: v_dual_lshrrev_b32 v24, 16, v11
	v_and_b32_e32 v8, 0xffff, v8
	v_and_b32_e32 v9, 0xffff, v9
	;; [unrolled: 1-line block ×4, first 2 shown]
	v_mul_u32_u24_e32 v21, 0x10001, v21
	v_mul_u32_u24_e32 v8, 0x10001, v8
	;; [unrolled: 1-line block ×8, first 2 shown]
	v_pk_fma_f16 v14, v13, v8, v14
	v_pk_fma_f16 v18, v13, v21, v18
	;; [unrolled: 1-line block ×8, first 2 shown]
	ds_load_2addr_b32 v[12:13], v76 offset0:192 offset1:224
	ds_load_b128 v[8:11], v84 offset:96
	s_wait_dscnt 0x0
	v_dual_lshrrev_b32 v22, 16, v8 :: v_dual_lshrrev_b32 v23, 16, v9
	v_dual_lshrrev_b32 v24, 16, v10 :: v_dual_lshrrev_b32 v25, 16, v11
	v_and_b32_e32 v8, 0xffff, v8
	v_and_b32_e32 v9, 0xffff, v9
	;; [unrolled: 1-line block ×4, first 2 shown]
	v_mul_u32_u24_e32 v22, 0x10001, v22
	v_mul_u32_u24_e32 v8, 0x10001, v8
	;; [unrolled: 1-line block ×6, first 2 shown]
	v_pk_fma_f16 v14, v12, v8, v14
	v_pk_fma_f16 v15, v12, v9, v15
	;; [unrolled: 1-line block ×4, first 2 shown]
	ds_load_b128 v[8:11], v84 offset:112
	v_mul_u32_u24_e32 v24, 0x10001, v24
	v_mul_u32_u24_e32 v25, 0x10001, v25
	v_pk_fma_f16 v18, v12, v22, v18
	v_pk_fma_f16 v19, v12, v23, v19
	s_delay_alu instid0(VALU_DEP_4) | instskip(NEXT) | instid1(VALU_DEP_4)
	v_pk_fma_f16 v20, v12, v24, v20
	v_pk_fma_f16 v12, v12, v25, v21
	s_wait_dscnt 0x0
	v_dual_lshrrev_b32 v21, 16, v8 :: v_dual_lshrrev_b32 v22, 16, v9
	v_dual_lshrrev_b32 v23, 16, v10 :: v_dual_lshrrev_b32 v24, 16, v11
	v_and_b32_e32 v8, 0xffff, v8
	v_and_b32_e32 v9, 0xffff, v9
	;; [unrolled: 1-line block ×4, first 2 shown]
	v_mul_u32_u24_e32 v21, 0x10001, v21
	v_mul_u32_u24_e32 v8, 0x10001, v8
	;; [unrolled: 1-line block ×8, first 2 shown]
	v_pk_fma_f16 v14, v13, v8, v14
	v_pk_fma_f16 v18, v13, v21, v18
	;; [unrolled: 1-line block ×8, first 2 shown]
	ds_load_2addr_b32 v[12:13], v89 offset1:32
	ds_load_b128 v[8:11], v84 offset:128
	s_wait_dscnt 0x0
	v_dual_lshrrev_b32 v22, 16, v8 :: v_dual_lshrrev_b32 v23, 16, v9
	v_dual_lshrrev_b32 v24, 16, v10 :: v_dual_lshrrev_b32 v25, 16, v11
	v_and_b32_e32 v8, 0xffff, v8
	v_and_b32_e32 v9, 0xffff, v9
	v_and_b32_e32 v10, 0xffff, v10
	v_and_b32_e32 v11, 0xffff, v11
	v_mul_u32_u24_e32 v22, 0x10001, v22
	v_mul_u32_u24_e32 v8, 0x10001, v8
	v_mul_u32_u24_e32 v9, 0x10001, v9
	v_mul_u32_u24_e32 v10, 0x10001, v10
	v_mul_u32_u24_e32 v11, 0x10001, v11
	v_mul_u32_u24_e32 v23, 0x10001, v23
	v_pk_fma_f16 v14, v12, v8, v14
	v_pk_fma_f16 v15, v12, v9, v15
	v_pk_fma_f16 v16, v12, v10, v16
	v_pk_fma_f16 v17, v12, v11, v17
	ds_load_b128 v[8:11], v84 offset:144
	v_mul_u32_u24_e32 v24, 0x10001, v24
	v_mul_u32_u24_e32 v25, 0x10001, v25
	v_pk_fma_f16 v18, v12, v22, v18
	v_pk_fma_f16 v19, v12, v23, v19
	s_delay_alu instid0(VALU_DEP_4) | instskip(NEXT) | instid1(VALU_DEP_4)
	v_pk_fma_f16 v20, v12, v24, v20
	v_pk_fma_f16 v12, v12, v25, v21
	s_wait_dscnt 0x0
	v_dual_lshrrev_b32 v21, 16, v8 :: v_dual_lshrrev_b32 v22, 16, v9
	v_dual_lshrrev_b32 v23, 16, v10 :: v_dual_lshrrev_b32 v24, 16, v11
	v_and_b32_e32 v8, 0xffff, v8
	v_and_b32_e32 v9, 0xffff, v9
	v_and_b32_e32 v10, 0xffff, v10
	v_and_b32_e32 v11, 0xffff, v11
	v_mul_u32_u24_e32 v21, 0x10001, v21
	v_mul_u32_u24_e32 v8, 0x10001, v8
	v_mul_u32_u24_e32 v9, 0x10001, v9
	v_mul_u32_u24_e32 v22, 0x10001, v22
	v_mul_u32_u24_e32 v10, 0x10001, v10
	v_mul_u32_u24_e32 v23, 0x10001, v23
	v_mul_u32_u24_e32 v11, 0x10001, v11
	v_mul_u32_u24_e32 v24, 0x10001, v24
	v_pk_fma_f16 v14, v13, v8, v14
	v_pk_fma_f16 v18, v13, v21, v18
	v_pk_fma_f16 v15, v13, v9, v15
	v_pk_fma_f16 v19, v13, v22, v19
	v_pk_fma_f16 v16, v13, v10, v16
	v_pk_fma_f16 v20, v13, v23, v20
	v_pk_fma_f16 v17, v13, v11, v17
	v_pk_fma_f16 v21, v13, v24, v12
	ds_load_2addr_b32 v[12:13], v89 offset0:64 offset1:96
	ds_load_b128 v[8:11], v84 offset:160
	s_wait_dscnt 0x0
	v_dual_lshrrev_b32 v22, 16, v8 :: v_dual_lshrrev_b32 v23, 16, v9
	v_dual_lshrrev_b32 v24, 16, v10 :: v_dual_lshrrev_b32 v25, 16, v11
	v_and_b32_e32 v8, 0xffff, v8
	v_and_b32_e32 v9, 0xffff, v9
	v_and_b32_e32 v10, 0xffff, v10
	v_and_b32_e32 v11, 0xffff, v11
	v_mul_u32_u24_e32 v22, 0x10001, v22
	v_mul_u32_u24_e32 v8, 0x10001, v8
	v_mul_u32_u24_e32 v9, 0x10001, v9
	v_mul_u32_u24_e32 v10, 0x10001, v10
	v_mul_u32_u24_e32 v11, 0x10001, v11
	v_mul_u32_u24_e32 v23, 0x10001, v23
	v_pk_fma_f16 v14, v12, v8, v14
	v_pk_fma_f16 v15, v12, v9, v15
	v_pk_fma_f16 v16, v12, v10, v16
	v_pk_fma_f16 v17, v12, v11, v17
	ds_load_b128 v[8:11], v84 offset:176
	v_mul_u32_u24_e32 v24, 0x10001, v24
	v_mul_u32_u24_e32 v25, 0x10001, v25
	v_pk_fma_f16 v18, v12, v22, v18
	v_pk_fma_f16 v19, v12, v23, v19
	s_delay_alu instid0(VALU_DEP_4) | instskip(NEXT) | instid1(VALU_DEP_4)
	v_pk_fma_f16 v20, v12, v24, v20
	v_pk_fma_f16 v12, v12, v25, v21
	s_wait_dscnt 0x0
	v_dual_lshrrev_b32 v21, 16, v8 :: v_dual_lshrrev_b32 v22, 16, v9
	v_dual_lshrrev_b32 v23, 16, v10 :: v_dual_lshrrev_b32 v24, 16, v11
	v_and_b32_e32 v8, 0xffff, v8
	v_and_b32_e32 v9, 0xffff, v9
	v_and_b32_e32 v10, 0xffff, v10
	v_and_b32_e32 v11, 0xffff, v11
	v_mul_u32_u24_e32 v21, 0x10001, v21
	v_mul_u32_u24_e32 v8, 0x10001, v8
	v_mul_u32_u24_e32 v9, 0x10001, v9
	v_mul_u32_u24_e32 v22, 0x10001, v22
	v_mul_u32_u24_e32 v10, 0x10001, v10
	v_mul_u32_u24_e32 v23, 0x10001, v23
	v_mul_u32_u24_e32 v11, 0x10001, v11
	v_mul_u32_u24_e32 v24, 0x10001, v24
	v_pk_fma_f16 v14, v13, v8, v14
	v_pk_fma_f16 v18, v13, v21, v18
	v_pk_fma_f16 v15, v13, v9, v15
	v_pk_fma_f16 v19, v13, v22, v19
	v_pk_fma_f16 v16, v13, v10, v16
	v_pk_fma_f16 v20, v13, v23, v20
	v_pk_fma_f16 v17, v13, v11, v17
	v_pk_fma_f16 v21, v13, v24, v12
	ds_load_2addr_b32 v[12:13], v89 offset0:128 offset1:160
	;; [unrolled: 50-line block ×3, first 2 shown]
	ds_load_b128 v[8:11], v84 offset:224
	s_wait_dscnt 0x0
	v_dual_lshrrev_b32 v22, 16, v8 :: v_dual_lshrrev_b32 v23, 16, v9
	v_dual_lshrrev_b32 v24, 16, v10 :: v_dual_lshrrev_b32 v25, 16, v11
	v_and_b32_e32 v8, 0xffff, v8
	v_and_b32_e32 v9, 0xffff, v9
	;; [unrolled: 1-line block ×4, first 2 shown]
	v_mul_u32_u24_e32 v22, 0x10001, v22
	v_mul_u32_u24_e32 v8, 0x10001, v8
	;; [unrolled: 1-line block ×6, first 2 shown]
	v_pk_fma_f16 v14, v12, v8, v14
	v_pk_fma_f16 v15, v12, v9, v15
	;; [unrolled: 1-line block ×4, first 2 shown]
	ds_load_b128 v[8:11], v84 offset:240
	v_mul_u32_u24_e32 v24, 0x10001, v24
	v_mul_u32_u24_e32 v25, 0x10001, v25
	v_pk_fma_f16 v18, v12, v22, v18
	v_pk_fma_f16 v19, v12, v23, v19
	s_delay_alu instid0(VALU_DEP_4) | instskip(NEXT) | instid1(VALU_DEP_4)
	v_pk_fma_f16 v20, v12, v24, v20
	v_pk_fma_f16 v12, v12, v25, v21
	s_wait_dscnt 0x0
	v_dual_lshrrev_b32 v21, 16, v8 :: v_dual_lshrrev_b32 v22, 16, v9
	v_dual_lshrrev_b32 v23, 16, v10 :: v_dual_lshrrev_b32 v24, 16, v11
	v_and_b32_e32 v8, 0xffff, v8
	v_and_b32_e32 v9, 0xffff, v9
	;; [unrolled: 1-line block ×4, first 2 shown]
	v_mul_u32_u24_e32 v21, 0x10001, v21
	v_mul_u32_u24_e32 v8, 0x10001, v8
	;; [unrolled: 1-line block ×8, first 2 shown]
	v_pk_fma_f16 v14, v13, v8, v14
	v_pk_fma_f16 v18, v13, v21, v18
	;; [unrolled: 1-line block ×8, first 2 shown]
	ds_load_2addr_b32 v[12:13], v90 offset1:32
	ds_load_b128 v[8:11], v84 offset:256
	s_wait_dscnt 0x0
	v_dual_lshrrev_b32 v22, 16, v8 :: v_dual_lshrrev_b32 v23, 16, v9
	v_dual_lshrrev_b32 v24, 16, v10 :: v_dual_lshrrev_b32 v25, 16, v11
	v_and_b32_e32 v8, 0xffff, v8
	v_and_b32_e32 v9, 0xffff, v9
	v_and_b32_e32 v10, 0xffff, v10
	v_and_b32_e32 v11, 0xffff, v11
	v_mul_u32_u24_e32 v22, 0x10001, v22
	v_mul_u32_u24_e32 v8, 0x10001, v8
	v_mul_u32_u24_e32 v9, 0x10001, v9
	v_mul_u32_u24_e32 v10, 0x10001, v10
	v_mul_u32_u24_e32 v11, 0x10001, v11
	v_mul_u32_u24_e32 v23, 0x10001, v23
	v_pk_fma_f16 v14, v12, v8, v14
	v_pk_fma_f16 v15, v12, v9, v15
	v_pk_fma_f16 v16, v12, v10, v16
	v_pk_fma_f16 v17, v12, v11, v17
	ds_load_b128 v[8:11], v84 offset:272
	v_mul_u32_u24_e32 v24, 0x10001, v24
	v_mul_u32_u24_e32 v25, 0x10001, v25
	v_pk_fma_f16 v18, v12, v22, v18
	v_pk_fma_f16 v19, v12, v23, v19
	s_delay_alu instid0(VALU_DEP_4) | instskip(NEXT) | instid1(VALU_DEP_4)
	v_pk_fma_f16 v20, v12, v24, v20
	v_pk_fma_f16 v12, v12, v25, v21
	s_wait_dscnt 0x0
	v_dual_lshrrev_b32 v21, 16, v8 :: v_dual_lshrrev_b32 v22, 16, v9
	v_dual_lshrrev_b32 v23, 16, v10 :: v_dual_lshrrev_b32 v24, 16, v11
	v_and_b32_e32 v8, 0xffff, v8
	v_and_b32_e32 v9, 0xffff, v9
	v_and_b32_e32 v10, 0xffff, v10
	v_and_b32_e32 v11, 0xffff, v11
	v_mul_u32_u24_e32 v21, 0x10001, v21
	v_mul_u32_u24_e32 v8, 0x10001, v8
	v_mul_u32_u24_e32 v9, 0x10001, v9
	v_mul_u32_u24_e32 v22, 0x10001, v22
	v_mul_u32_u24_e32 v10, 0x10001, v10
	v_mul_u32_u24_e32 v23, 0x10001, v23
	v_mul_u32_u24_e32 v11, 0x10001, v11
	v_mul_u32_u24_e32 v24, 0x10001, v24
	v_pk_fma_f16 v14, v13, v8, v14
	v_pk_fma_f16 v18, v13, v21, v18
	v_pk_fma_f16 v15, v13, v9, v15
	v_pk_fma_f16 v19, v13, v22, v19
	v_pk_fma_f16 v16, v13, v10, v16
	v_pk_fma_f16 v20, v13, v23, v20
	v_pk_fma_f16 v17, v13, v11, v17
	v_pk_fma_f16 v21, v13, v24, v12
	ds_load_2addr_b32 v[12:13], v90 offset0:64 offset1:96
	ds_load_b128 v[8:11], v84 offset:288
	s_wait_dscnt 0x0
	v_dual_lshrrev_b32 v22, 16, v8 :: v_dual_lshrrev_b32 v23, 16, v9
	v_dual_lshrrev_b32 v24, 16, v10 :: v_dual_lshrrev_b32 v25, 16, v11
	v_and_b32_e32 v8, 0xffff, v8
	v_and_b32_e32 v9, 0xffff, v9
	v_and_b32_e32 v10, 0xffff, v10
	v_and_b32_e32 v11, 0xffff, v11
	v_mul_u32_u24_e32 v22, 0x10001, v22
	v_mul_u32_u24_e32 v8, 0x10001, v8
	v_mul_u32_u24_e32 v9, 0x10001, v9
	v_mul_u32_u24_e32 v10, 0x10001, v10
	v_mul_u32_u24_e32 v11, 0x10001, v11
	v_mul_u32_u24_e32 v23, 0x10001, v23
	v_pk_fma_f16 v14, v12, v8, v14
	v_pk_fma_f16 v15, v12, v9, v15
	v_pk_fma_f16 v16, v12, v10, v16
	v_pk_fma_f16 v17, v12, v11, v17
	ds_load_b128 v[8:11], v84 offset:304
	v_mul_u32_u24_e32 v24, 0x10001, v24
	v_mul_u32_u24_e32 v25, 0x10001, v25
	v_pk_fma_f16 v18, v12, v22, v18
	v_pk_fma_f16 v19, v12, v23, v19
	s_delay_alu instid0(VALU_DEP_4) | instskip(NEXT) | instid1(VALU_DEP_4)
	v_pk_fma_f16 v20, v12, v24, v20
	v_pk_fma_f16 v12, v12, v25, v21
	s_wait_dscnt 0x0
	v_dual_lshrrev_b32 v21, 16, v8 :: v_dual_lshrrev_b32 v22, 16, v9
	v_dual_lshrrev_b32 v23, 16, v10 :: v_dual_lshrrev_b32 v24, 16, v11
	v_and_b32_e32 v8, 0xffff, v8
	v_and_b32_e32 v9, 0xffff, v9
	v_and_b32_e32 v10, 0xffff, v10
	v_and_b32_e32 v11, 0xffff, v11
	v_mul_u32_u24_e32 v21, 0x10001, v21
	v_mul_u32_u24_e32 v8, 0x10001, v8
	v_mul_u32_u24_e32 v9, 0x10001, v9
	v_mul_u32_u24_e32 v22, 0x10001, v22
	v_mul_u32_u24_e32 v10, 0x10001, v10
	v_mul_u32_u24_e32 v23, 0x10001, v23
	v_mul_u32_u24_e32 v11, 0x10001, v11
	v_mul_u32_u24_e32 v24, 0x10001, v24
	v_pk_fma_f16 v14, v13, v8, v14
	v_pk_fma_f16 v18, v13, v21, v18
	v_pk_fma_f16 v15, v13, v9, v15
	v_pk_fma_f16 v19, v13, v22, v19
	v_pk_fma_f16 v16, v13, v10, v16
	v_pk_fma_f16 v20, v13, v23, v20
	v_pk_fma_f16 v17, v13, v11, v17
	v_pk_fma_f16 v21, v13, v24, v12
	ds_load_2addr_b32 v[12:13], v90 offset0:128 offset1:160
	;; [unrolled: 50-line block ×3, first 2 shown]
	ds_load_b128 v[8:11], v84 offset:352
	s_wait_dscnt 0x0
	v_dual_lshrrev_b32 v22, 16, v8 :: v_dual_lshrrev_b32 v23, 16, v9
	v_dual_lshrrev_b32 v24, 16, v10 :: v_dual_lshrrev_b32 v25, 16, v11
	v_and_b32_e32 v8, 0xffff, v8
	v_and_b32_e32 v9, 0xffff, v9
	v_and_b32_e32 v10, 0xffff, v10
	v_and_b32_e32 v11, 0xffff, v11
	v_mul_u32_u24_e32 v22, 0x10001, v22
	v_mul_u32_u24_e32 v8, 0x10001, v8
	;; [unrolled: 1-line block ×6, first 2 shown]
	v_pk_fma_f16 v14, v12, v8, v14
	v_pk_fma_f16 v15, v12, v9, v15
	;; [unrolled: 1-line block ×4, first 2 shown]
	ds_load_b128 v[8:11], v84 offset:368
	v_mul_u32_u24_e32 v24, 0x10001, v24
	v_mul_u32_u24_e32 v25, 0x10001, v25
	v_pk_fma_f16 v18, v12, v22, v18
	v_pk_fma_f16 v19, v12, v23, v19
	s_delay_alu instid0(VALU_DEP_4) | instskip(NEXT) | instid1(VALU_DEP_4)
	v_pk_fma_f16 v20, v12, v24, v20
	v_pk_fma_f16 v12, v12, v25, v21
	s_wait_dscnt 0x0
	v_dual_lshrrev_b32 v21, 16, v8 :: v_dual_lshrrev_b32 v22, 16, v9
	v_dual_lshrrev_b32 v23, 16, v10 :: v_dual_lshrrev_b32 v24, 16, v11
	v_and_b32_e32 v8, 0xffff, v8
	v_and_b32_e32 v9, 0xffff, v9
	;; [unrolled: 1-line block ×4, first 2 shown]
	v_mul_u32_u24_e32 v21, 0x10001, v21
	v_mul_u32_u24_e32 v8, 0x10001, v8
	;; [unrolled: 1-line block ×8, first 2 shown]
	v_pk_fma_f16 v14, v13, v8, v14
	v_pk_fma_f16 v18, v13, v21, v18
	;; [unrolled: 1-line block ×8, first 2 shown]
	ds_load_2addr_b32 v[12:13], v91 offset1:32
	ds_load_b128 v[8:11], v84 offset:384
	s_wait_dscnt 0x0
	v_dual_lshrrev_b32 v22, 16, v8 :: v_dual_lshrrev_b32 v23, 16, v9
	v_dual_lshrrev_b32 v24, 16, v10 :: v_dual_lshrrev_b32 v25, 16, v11
	v_and_b32_e32 v8, 0xffff, v8
	v_and_b32_e32 v9, 0xffff, v9
	v_and_b32_e32 v10, 0xffff, v10
	v_and_b32_e32 v11, 0xffff, v11
	v_mul_u32_u24_e32 v22, 0x10001, v22
	v_mul_u32_u24_e32 v8, 0x10001, v8
	v_mul_u32_u24_e32 v9, 0x10001, v9
	v_mul_u32_u24_e32 v10, 0x10001, v10
	v_mul_u32_u24_e32 v11, 0x10001, v11
	v_mul_u32_u24_e32 v23, 0x10001, v23
	v_pk_fma_f16 v14, v12, v8, v14
	v_pk_fma_f16 v15, v12, v9, v15
	v_pk_fma_f16 v16, v12, v10, v16
	v_pk_fma_f16 v17, v12, v11, v17
	ds_load_b128 v[8:11], v84 offset:400
	v_mul_u32_u24_e32 v24, 0x10001, v24
	v_mul_u32_u24_e32 v25, 0x10001, v25
	v_pk_fma_f16 v18, v12, v22, v18
	v_pk_fma_f16 v19, v12, v23, v19
	s_delay_alu instid0(VALU_DEP_4) | instskip(NEXT) | instid1(VALU_DEP_4)
	v_pk_fma_f16 v20, v12, v24, v20
	v_pk_fma_f16 v12, v12, v25, v21
	s_wait_dscnt 0x0
	v_dual_lshrrev_b32 v21, 16, v8 :: v_dual_lshrrev_b32 v22, 16, v9
	v_dual_lshrrev_b32 v23, 16, v10 :: v_dual_lshrrev_b32 v24, 16, v11
	v_and_b32_e32 v8, 0xffff, v8
	v_and_b32_e32 v9, 0xffff, v9
	v_and_b32_e32 v10, 0xffff, v10
	v_and_b32_e32 v11, 0xffff, v11
	v_mul_u32_u24_e32 v21, 0x10001, v21
	v_mul_u32_u24_e32 v8, 0x10001, v8
	v_mul_u32_u24_e32 v9, 0x10001, v9
	v_mul_u32_u24_e32 v22, 0x10001, v22
	v_mul_u32_u24_e32 v10, 0x10001, v10
	v_mul_u32_u24_e32 v23, 0x10001, v23
	v_mul_u32_u24_e32 v11, 0x10001, v11
	v_mul_u32_u24_e32 v24, 0x10001, v24
	v_pk_fma_f16 v14, v13, v8, v14
	v_pk_fma_f16 v18, v13, v21, v18
	v_pk_fma_f16 v15, v13, v9, v15
	v_pk_fma_f16 v19, v13, v22, v19
	v_pk_fma_f16 v16, v13, v10, v16
	v_pk_fma_f16 v20, v13, v23, v20
	v_pk_fma_f16 v17, v13, v11, v17
	v_pk_fma_f16 v21, v13, v24, v12
	ds_load_2addr_b32 v[12:13], v91 offset0:64 offset1:96
	ds_load_b128 v[8:11], v84 offset:416
	s_wait_dscnt 0x0
	v_dual_lshrrev_b32 v22, 16, v8 :: v_dual_lshrrev_b32 v23, 16, v9
	v_dual_lshrrev_b32 v24, 16, v10 :: v_dual_lshrrev_b32 v25, 16, v11
	v_and_b32_e32 v8, 0xffff, v8
	v_and_b32_e32 v9, 0xffff, v9
	v_and_b32_e32 v10, 0xffff, v10
	v_and_b32_e32 v11, 0xffff, v11
	v_mul_u32_u24_e32 v22, 0x10001, v22
	v_mul_u32_u24_e32 v8, 0x10001, v8
	v_mul_u32_u24_e32 v9, 0x10001, v9
	v_mul_u32_u24_e32 v10, 0x10001, v10
	v_mul_u32_u24_e32 v11, 0x10001, v11
	v_mul_u32_u24_e32 v23, 0x10001, v23
	v_pk_fma_f16 v14, v12, v8, v14
	v_pk_fma_f16 v15, v12, v9, v15
	v_pk_fma_f16 v16, v12, v10, v16
	v_pk_fma_f16 v17, v12, v11, v17
	ds_load_b128 v[8:11], v84 offset:432
	v_mul_u32_u24_e32 v24, 0x10001, v24
	v_mul_u32_u24_e32 v25, 0x10001, v25
	v_pk_fma_f16 v18, v12, v22, v18
	v_pk_fma_f16 v19, v12, v23, v19
	s_delay_alu instid0(VALU_DEP_4) | instskip(NEXT) | instid1(VALU_DEP_4)
	v_pk_fma_f16 v20, v12, v24, v20
	v_pk_fma_f16 v12, v12, v25, v21
	s_wait_dscnt 0x0
	v_dual_lshrrev_b32 v21, 16, v8 :: v_dual_lshrrev_b32 v22, 16, v9
	v_dual_lshrrev_b32 v23, 16, v10 :: v_dual_lshrrev_b32 v24, 16, v11
	v_and_b32_e32 v8, 0xffff, v8
	v_and_b32_e32 v9, 0xffff, v9
	v_and_b32_e32 v10, 0xffff, v10
	v_and_b32_e32 v11, 0xffff, v11
	v_mul_u32_u24_e32 v21, 0x10001, v21
	v_mul_u32_u24_e32 v8, 0x10001, v8
	v_mul_u32_u24_e32 v9, 0x10001, v9
	v_mul_u32_u24_e32 v22, 0x10001, v22
	v_mul_u32_u24_e32 v10, 0x10001, v10
	v_mul_u32_u24_e32 v23, 0x10001, v23
	v_mul_u32_u24_e32 v11, 0x10001, v11
	v_mul_u32_u24_e32 v24, 0x10001, v24
	v_pk_fma_f16 v14, v13, v8, v14
	v_pk_fma_f16 v18, v13, v21, v18
	v_pk_fma_f16 v15, v13, v9, v15
	v_pk_fma_f16 v19, v13, v22, v19
	v_pk_fma_f16 v16, v13, v10, v16
	v_pk_fma_f16 v20, v13, v23, v20
	v_pk_fma_f16 v17, v13, v11, v17
	v_pk_fma_f16 v21, v13, v24, v12
	ds_load_2addr_b32 v[12:13], v91 offset0:128 offset1:160
	;; [unrolled: 50-line block ×3, first 2 shown]
	ds_load_b128 v[8:11], v84 offset:480
	s_wait_dscnt 0x0
	v_dual_lshrrev_b32 v22, 16, v8 :: v_dual_lshrrev_b32 v23, 16, v9
	v_dual_lshrrev_b32 v24, 16, v10 :: v_dual_lshrrev_b32 v25, 16, v11
	v_and_b32_e32 v8, 0xffff, v8
	v_and_b32_e32 v9, 0xffff, v9
	;; [unrolled: 1-line block ×4, first 2 shown]
	v_mul_u32_u24_e32 v22, 0x10001, v22
	v_mul_u32_u24_e32 v8, 0x10001, v8
	;; [unrolled: 1-line block ×6, first 2 shown]
	v_pk_fma_f16 v14, v12, v8, v14
	v_pk_fma_f16 v15, v12, v9, v15
	;; [unrolled: 1-line block ×4, first 2 shown]
	ds_load_b128 v[8:11], v84 offset:496
	v_mul_u32_u24_e32 v24, 0x10001, v24
	v_mul_u32_u24_e32 v25, 0x10001, v25
	v_pk_fma_f16 v18, v12, v22, v18
	v_pk_fma_f16 v19, v12, v23, v19
	s_delay_alu instid0(VALU_DEP_4) | instskip(NEXT) | instid1(VALU_DEP_4)
	v_pk_fma_f16 v20, v12, v24, v20
	v_pk_fma_f16 v12, v12, v25, v21
	s_wait_dscnt 0x0
	v_dual_lshrrev_b32 v21, 16, v8 :: v_dual_lshrrev_b32 v22, 16, v9
	v_dual_lshrrev_b32 v23, 16, v10 :: v_dual_lshrrev_b32 v24, 16, v11
	v_and_b32_e32 v8, 0xffff, v8
	v_and_b32_e32 v9, 0xffff, v9
	;; [unrolled: 1-line block ×4, first 2 shown]
	v_mul_u32_u24_e32 v21, 0x10001, v21
	v_mul_u32_u24_e32 v8, 0x10001, v8
	;; [unrolled: 1-line block ×8, first 2 shown]
	v_pk_fma_f16 v14, v13, v8, v14
	v_pk_fma_f16 v18, v13, v21, v18
	v_pk_fma_f16 v15, v13, v9, v15
	v_pk_fma_f16 v19, v13, v22, v19
	v_pk_fma_f16 v16, v13, v10, v16
	v_pk_fma_f16 v20, v13, v23, v20
	v_pk_fma_f16 v17, v13, v11, v17
	v_pk_fma_f16 v21, v13, v24, v12
	ds_load_2addr_b32 v[8:9], v92 offset1:32
	ds_load_b128 v[10:13], v84 offset:512
	s_wait_dscnt 0x0
	v_dual_lshrrev_b32 v22, 16, v10 :: v_dual_lshrrev_b32 v23, 16, v11
	v_dual_lshrrev_b32 v24, 16, v12 :: v_dual_lshrrev_b32 v25, 16, v13
	v_and_b32_e32 v10, 0xffff, v10
	v_and_b32_e32 v11, 0xffff, v11
	v_and_b32_e32 v12, 0xffff, v12
	v_and_b32_e32 v13, 0xffff, v13
	v_mul_u32_u24_e32 v22, 0x10001, v22
	v_mul_u32_u24_e32 v10, 0x10001, v10
	v_mul_u32_u24_e32 v11, 0x10001, v11
	v_mul_u32_u24_e32 v12, 0x10001, v12
	v_mul_u32_u24_e32 v13, 0x10001, v13
	v_mul_u32_u24_e32 v23, 0x10001, v23
	v_pk_fma_f16 v14, v8, v10, v14
	v_pk_fma_f16 v15, v8, v11, v15
	v_pk_fma_f16 v16, v8, v12, v16
	v_pk_fma_f16 v17, v8, v13, v17
	ds_load_b128 v[10:13], v84 offset:528
	v_mul_u32_u24_e32 v24, 0x10001, v24
	v_mul_u32_u24_e32 v25, 0x10001, v25
	v_pk_fma_f16 v18, v8, v22, v18
	v_pk_fma_f16 v19, v8, v23, v19
	s_delay_alu instid0(VALU_DEP_4) | instskip(NEXT) | instid1(VALU_DEP_4)
	v_pk_fma_f16 v20, v8, v24, v20
	v_pk_fma_f16 v8, v8, v25, v21
	s_wait_dscnt 0x0
	v_dual_lshrrev_b32 v21, 16, v10 :: v_dual_lshrrev_b32 v22, 16, v11
	v_dual_lshrrev_b32 v23, 16, v12 :: v_dual_lshrrev_b32 v24, 16, v13
	v_and_b32_e32 v10, 0xffff, v10
	v_and_b32_e32 v11, 0xffff, v11
	v_and_b32_e32 v12, 0xffff, v12
	v_and_b32_e32 v13, 0xffff, v13
	v_mul_u32_u24_e32 v21, 0x10001, v21
	v_mul_u32_u24_e32 v10, 0x10001, v10
	v_mul_u32_u24_e32 v11, 0x10001, v11
	v_mul_u32_u24_e32 v22, 0x10001, v22
	v_mul_u32_u24_e32 v12, 0x10001, v12
	v_mul_u32_u24_e32 v23, 0x10001, v23
	v_mul_u32_u24_e32 v13, 0x10001, v13
	v_mul_u32_u24_e32 v24, 0x10001, v24
	v_pk_fma_f16 v14, v9, v10, v14
	v_pk_fma_f16 v18, v9, v21, v18
	v_pk_fma_f16 v15, v9, v11, v15
	v_pk_fma_f16 v19, v9, v22, v19
	v_pk_fma_f16 v16, v9, v12, v16
	v_pk_fma_f16 v20, v9, v23, v20
	v_pk_fma_f16 v17, v9, v13, v17
	v_pk_fma_f16 v21, v9, v24, v8
	ds_load_2addr_b32 v[12:13], v92 offset0:64 offset1:96
	ds_load_b128 v[8:11], v84 offset:544
	s_wait_dscnt 0x0
	v_dual_lshrrev_b32 v22, 16, v8 :: v_dual_lshrrev_b32 v23, 16, v9
	v_dual_lshrrev_b32 v24, 16, v10 :: v_dual_lshrrev_b32 v25, 16, v11
	v_and_b32_e32 v8, 0xffff, v8
	v_and_b32_e32 v9, 0xffff, v9
	v_and_b32_e32 v10, 0xffff, v10
	v_and_b32_e32 v11, 0xffff, v11
	v_mul_u32_u24_e32 v22, 0x10001, v22
	v_mul_u32_u24_e32 v8, 0x10001, v8
	v_mul_u32_u24_e32 v9, 0x10001, v9
	v_mul_u32_u24_e32 v10, 0x10001, v10
	v_mul_u32_u24_e32 v11, 0x10001, v11
	v_mul_u32_u24_e32 v23, 0x10001, v23
	v_pk_fma_f16 v14, v12, v8, v14
	v_pk_fma_f16 v15, v12, v9, v15
	v_pk_fma_f16 v16, v12, v10, v16
	v_pk_fma_f16 v17, v12, v11, v17
	ds_load_b128 v[8:11], v84 offset:560
	v_mul_u32_u24_e32 v24, 0x10001, v24
	v_mul_u32_u24_e32 v25, 0x10001, v25
	v_pk_fma_f16 v18, v12, v22, v18
	v_pk_fma_f16 v19, v12, v23, v19
	s_delay_alu instid0(VALU_DEP_4) | instskip(NEXT) | instid1(VALU_DEP_4)
	v_pk_fma_f16 v20, v12, v24, v20
	v_pk_fma_f16 v12, v12, v25, v21
	s_wait_dscnt 0x0
	v_dual_lshrrev_b32 v21, 16, v8 :: v_dual_lshrrev_b32 v22, 16, v9
	v_dual_lshrrev_b32 v23, 16, v10 :: v_dual_lshrrev_b32 v24, 16, v11
	v_and_b32_e32 v8, 0xffff, v8
	v_and_b32_e32 v9, 0xffff, v9
	v_and_b32_e32 v10, 0xffff, v10
	v_and_b32_e32 v11, 0xffff, v11
	v_mul_u32_u24_e32 v21, 0x10001, v21
	v_mul_u32_u24_e32 v8, 0x10001, v8
	v_mul_u32_u24_e32 v9, 0x10001, v9
	v_mul_u32_u24_e32 v22, 0x10001, v22
	v_mul_u32_u24_e32 v10, 0x10001, v10
	v_mul_u32_u24_e32 v23, 0x10001, v23
	v_mul_u32_u24_e32 v11, 0x10001, v11
	v_mul_u32_u24_e32 v24, 0x10001, v24
	v_pk_fma_f16 v14, v13, v8, v14
	v_pk_fma_f16 v18, v13, v21, v18
	v_pk_fma_f16 v15, v13, v9, v15
	v_pk_fma_f16 v19, v13, v22, v19
	v_pk_fma_f16 v16, v13, v10, v16
	v_pk_fma_f16 v20, v13, v23, v20
	v_pk_fma_f16 v17, v13, v11, v17
	v_pk_fma_f16 v21, v13, v24, v12
	ds_load_2addr_b32 v[12:13], v92 offset0:128 offset1:160
	ds_load_b128 v[8:11], v84 offset:576
	s_wait_dscnt 0x0
	v_dual_lshrrev_b32 v22, 16, v8 :: v_dual_lshrrev_b32 v23, 16, v9
	v_dual_lshrrev_b32 v24, 16, v10 :: v_dual_lshrrev_b32 v25, 16, v11
	v_and_b32_e32 v8, 0xffff, v8
	v_and_b32_e32 v9, 0xffff, v9
	v_and_b32_e32 v10, 0xffff, v10
	v_and_b32_e32 v11, 0xffff, v11
	v_mul_u32_u24_e32 v22, 0x10001, v22
	v_mul_u32_u24_e32 v8, 0x10001, v8
	v_mul_u32_u24_e32 v9, 0x10001, v9
	v_mul_u32_u24_e32 v10, 0x10001, v10
	v_mul_u32_u24_e32 v11, 0x10001, v11
	v_mul_u32_u24_e32 v23, 0x10001, v23
	v_pk_fma_f16 v14, v12, v8, v14
	v_pk_fma_f16 v15, v12, v9, v15
	v_pk_fma_f16 v16, v12, v10, v16
	v_pk_fma_f16 v17, v12, v11, v17
	ds_load_b128 v[8:11], v84 offset:592
	v_mul_u32_u24_e32 v24, 0x10001, v24
	v_mul_u32_u24_e32 v25, 0x10001, v25
	v_pk_fma_f16 v18, v12, v22, v18
	v_pk_fma_f16 v19, v12, v23, v19
	s_delay_alu instid0(VALU_DEP_4) | instskip(NEXT) | instid1(VALU_DEP_4)
	v_pk_fma_f16 v20, v12, v24, v20
	v_pk_fma_f16 v12, v12, v25, v21
	s_wait_dscnt 0x0
	v_dual_lshrrev_b32 v21, 16, v8 :: v_dual_lshrrev_b32 v22, 16, v9
	v_dual_lshrrev_b32 v23, 16, v10 :: v_dual_lshrrev_b32 v24, 16, v11
	v_and_b32_e32 v8, 0xffff, v8
	v_and_b32_e32 v9, 0xffff, v9
	v_and_b32_e32 v10, 0xffff, v10
	v_and_b32_e32 v11, 0xffff, v11
	v_mul_u32_u24_e32 v21, 0x10001, v21
	v_mul_u32_u24_e32 v8, 0x10001, v8
	v_mul_u32_u24_e32 v9, 0x10001, v9
	v_mul_u32_u24_e32 v22, 0x10001, v22
	v_mul_u32_u24_e32 v10, 0x10001, v10
	v_mul_u32_u24_e32 v23, 0x10001, v23
	v_mul_u32_u24_e32 v11, 0x10001, v11
	v_mul_u32_u24_e32 v24, 0x10001, v24
	v_pk_fma_f16 v14, v13, v8, v14
	v_pk_fma_f16 v18, v13, v21, v18
	v_pk_fma_f16 v15, v13, v9, v15
	v_pk_fma_f16 v19, v13, v22, v19
	v_pk_fma_f16 v16, v13, v10, v16
	v_pk_fma_f16 v20, v13, v23, v20
	v_pk_fma_f16 v17, v13, v11, v17
	v_pk_fma_f16 v21, v13, v24, v12
	ds_load_2addr_b32 v[12:13], v92 offset0:192 offset1:224
	ds_load_b128 v[8:11], v84 offset:608
	s_wait_dscnt 0x0
	v_dual_lshrrev_b32 v22, 16, v8 :: v_dual_lshrrev_b32 v23, 16, v9
	v_dual_lshrrev_b32 v24, 16, v10 :: v_dual_lshrrev_b32 v25, 16, v11
	v_and_b32_e32 v8, 0xffff, v8
	v_and_b32_e32 v9, 0xffff, v9
	;; [unrolled: 1-line block ×4, first 2 shown]
	v_mul_u32_u24_e32 v22, 0x10001, v22
	v_mul_u32_u24_e32 v8, 0x10001, v8
	;; [unrolled: 1-line block ×6, first 2 shown]
	v_pk_fma_f16 v14, v12, v8, v14
	v_pk_fma_f16 v15, v12, v9, v15
	;; [unrolled: 1-line block ×4, first 2 shown]
	ds_load_b128 v[8:11], v84 offset:624
	v_mul_u32_u24_e32 v24, 0x10001, v24
	v_mul_u32_u24_e32 v25, 0x10001, v25
	v_pk_fma_f16 v18, v12, v22, v18
	v_pk_fma_f16 v19, v12, v23, v19
	s_delay_alu instid0(VALU_DEP_4) | instskip(NEXT) | instid1(VALU_DEP_4)
	v_pk_fma_f16 v20, v12, v24, v20
	v_pk_fma_f16 v12, v12, v25, v21
	s_wait_dscnt 0x0
	v_dual_lshrrev_b32 v21, 16, v8 :: v_dual_lshrrev_b32 v22, 16, v9
	v_dual_lshrrev_b32 v23, 16, v10 :: v_dual_lshrrev_b32 v24, 16, v11
	v_and_b32_e32 v8, 0xffff, v8
	v_and_b32_e32 v9, 0xffff, v9
	;; [unrolled: 1-line block ×4, first 2 shown]
	v_mul_u32_u24_e32 v21, 0x10001, v21
	v_mul_u32_u24_e32 v8, 0x10001, v8
	;; [unrolled: 1-line block ×8, first 2 shown]
	v_pk_fma_f16 v14, v13, v8, v14
	v_pk_fma_f16 v18, v13, v21, v18
	v_pk_fma_f16 v15, v13, v9, v15
	v_pk_fma_f16 v19, v13, v22, v19
	v_pk_fma_f16 v16, v13, v10, v16
	v_pk_fma_f16 v20, v13, v23, v20
	v_pk_fma_f16 v17, v13, v11, v17
	v_pk_fma_f16 v21, v13, v24, v12
	ds_load_2addr_b32 v[12:13], v93 offset1:32
	ds_load_b128 v[8:11], v84 offset:640
	s_wait_dscnt 0x0
	v_dual_lshrrev_b32 v22, 16, v8 :: v_dual_lshrrev_b32 v23, 16, v9
	v_dual_lshrrev_b32 v24, 16, v10 :: v_dual_lshrrev_b32 v25, 16, v11
	v_and_b32_e32 v8, 0xffff, v8
	v_and_b32_e32 v9, 0xffff, v9
	v_and_b32_e32 v10, 0xffff, v10
	v_and_b32_e32 v11, 0xffff, v11
	v_mul_u32_u24_e32 v22, 0x10001, v22
	v_mul_u32_u24_e32 v8, 0x10001, v8
	v_mul_u32_u24_e32 v9, 0x10001, v9
	v_mul_u32_u24_e32 v10, 0x10001, v10
	v_mul_u32_u24_e32 v11, 0x10001, v11
	v_mul_u32_u24_e32 v23, 0x10001, v23
	v_pk_fma_f16 v14, v12, v8, v14
	v_pk_fma_f16 v15, v12, v9, v15
	v_pk_fma_f16 v16, v12, v10, v16
	v_pk_fma_f16 v17, v12, v11, v17
	ds_load_b128 v[8:11], v84 offset:656
	v_mul_u32_u24_e32 v24, 0x10001, v24
	v_mul_u32_u24_e32 v25, 0x10001, v25
	v_pk_fma_f16 v18, v12, v22, v18
	v_pk_fma_f16 v19, v12, v23, v19
	s_delay_alu instid0(VALU_DEP_4) | instskip(NEXT) | instid1(VALU_DEP_4)
	v_pk_fma_f16 v20, v12, v24, v20
	v_pk_fma_f16 v12, v12, v25, v21
	s_wait_dscnt 0x0
	v_dual_lshrrev_b32 v21, 16, v8 :: v_dual_lshrrev_b32 v22, 16, v9
	v_dual_lshrrev_b32 v23, 16, v10 :: v_dual_lshrrev_b32 v24, 16, v11
	v_and_b32_e32 v8, 0xffff, v8
	v_and_b32_e32 v9, 0xffff, v9
	v_and_b32_e32 v10, 0xffff, v10
	v_and_b32_e32 v11, 0xffff, v11
	v_mul_u32_u24_e32 v21, 0x10001, v21
	v_mul_u32_u24_e32 v8, 0x10001, v8
	v_mul_u32_u24_e32 v9, 0x10001, v9
	v_mul_u32_u24_e32 v22, 0x10001, v22
	v_mul_u32_u24_e32 v10, 0x10001, v10
	v_mul_u32_u24_e32 v23, 0x10001, v23
	v_mul_u32_u24_e32 v11, 0x10001, v11
	v_mul_u32_u24_e32 v24, 0x10001, v24
	v_pk_fma_f16 v14, v13, v8, v14
	v_pk_fma_f16 v18, v13, v21, v18
	v_pk_fma_f16 v15, v13, v9, v15
	v_pk_fma_f16 v19, v13, v22, v19
	v_pk_fma_f16 v16, v13, v10, v16
	v_pk_fma_f16 v20, v13, v23, v20
	v_pk_fma_f16 v17, v13, v11, v17
	v_pk_fma_f16 v21, v13, v24, v12
	ds_load_2addr_b32 v[12:13], v93 offset0:64 offset1:96
	ds_load_b128 v[8:11], v84 offset:672
	s_wait_dscnt 0x0
	v_dual_lshrrev_b32 v22, 16, v8 :: v_dual_lshrrev_b32 v23, 16, v9
	v_dual_lshrrev_b32 v24, 16, v10 :: v_dual_lshrrev_b32 v25, 16, v11
	v_and_b32_e32 v8, 0xffff, v8
	v_and_b32_e32 v9, 0xffff, v9
	v_and_b32_e32 v10, 0xffff, v10
	v_and_b32_e32 v11, 0xffff, v11
	v_mul_u32_u24_e32 v22, 0x10001, v22
	v_mul_u32_u24_e32 v8, 0x10001, v8
	v_mul_u32_u24_e32 v9, 0x10001, v9
	v_mul_u32_u24_e32 v10, 0x10001, v10
	v_mul_u32_u24_e32 v11, 0x10001, v11
	v_mul_u32_u24_e32 v23, 0x10001, v23
	v_pk_fma_f16 v14, v12, v8, v14
	v_pk_fma_f16 v15, v12, v9, v15
	v_pk_fma_f16 v16, v12, v10, v16
	v_pk_fma_f16 v17, v12, v11, v17
	ds_load_b128 v[8:11], v84 offset:688
	v_mul_u32_u24_e32 v24, 0x10001, v24
	v_mul_u32_u24_e32 v25, 0x10001, v25
	v_pk_fma_f16 v18, v12, v22, v18
	v_pk_fma_f16 v19, v12, v23, v19
	s_delay_alu instid0(VALU_DEP_4) | instskip(NEXT) | instid1(VALU_DEP_4)
	v_pk_fma_f16 v20, v12, v24, v20
	v_pk_fma_f16 v12, v12, v25, v21
	s_wait_dscnt 0x0
	v_dual_lshrrev_b32 v21, 16, v8 :: v_dual_lshrrev_b32 v22, 16, v9
	v_dual_lshrrev_b32 v23, 16, v10 :: v_dual_lshrrev_b32 v24, 16, v11
	v_and_b32_e32 v8, 0xffff, v8
	v_and_b32_e32 v9, 0xffff, v9
	v_and_b32_e32 v10, 0xffff, v10
	v_and_b32_e32 v11, 0xffff, v11
	v_mul_u32_u24_e32 v21, 0x10001, v21
	v_mul_u32_u24_e32 v8, 0x10001, v8
	v_mul_u32_u24_e32 v9, 0x10001, v9
	v_mul_u32_u24_e32 v22, 0x10001, v22
	v_mul_u32_u24_e32 v10, 0x10001, v10
	v_mul_u32_u24_e32 v23, 0x10001, v23
	v_mul_u32_u24_e32 v11, 0x10001, v11
	v_mul_u32_u24_e32 v24, 0x10001, v24
	v_pk_fma_f16 v14, v13, v8, v14
	v_pk_fma_f16 v18, v13, v21, v18
	v_pk_fma_f16 v15, v13, v9, v15
	v_pk_fma_f16 v19, v13, v22, v19
	v_pk_fma_f16 v16, v13, v10, v16
	v_pk_fma_f16 v20, v13, v23, v20
	v_pk_fma_f16 v17, v13, v11, v17
	v_pk_fma_f16 v21, v13, v24, v12
	ds_load_2addr_b32 v[12:13], v93 offset0:128 offset1:160
	;; [unrolled: 50-line block ×3, first 2 shown]
	ds_load_b128 v[8:11], v84 offset:736
	s_wait_dscnt 0x0
	v_dual_lshrrev_b32 v22, 16, v8 :: v_dual_lshrrev_b32 v23, 16, v9
	v_dual_lshrrev_b32 v24, 16, v10 :: v_dual_lshrrev_b32 v25, 16, v11
	v_and_b32_e32 v8, 0xffff, v8
	v_and_b32_e32 v9, 0xffff, v9
	;; [unrolled: 1-line block ×4, first 2 shown]
	v_mul_u32_u24_e32 v22, 0x10001, v22
	v_mul_u32_u24_e32 v8, 0x10001, v8
	;; [unrolled: 1-line block ×6, first 2 shown]
	v_pk_fma_f16 v14, v12, v8, v14
	v_pk_fma_f16 v15, v12, v9, v15
	;; [unrolled: 1-line block ×4, first 2 shown]
	ds_load_b128 v[8:11], v84 offset:752
	v_mul_u32_u24_e32 v24, 0x10001, v24
	v_mul_u32_u24_e32 v25, 0x10001, v25
	v_pk_fma_f16 v18, v12, v22, v18
	v_pk_fma_f16 v19, v12, v23, v19
	s_delay_alu instid0(VALU_DEP_4) | instskip(NEXT) | instid1(VALU_DEP_4)
	v_pk_fma_f16 v20, v12, v24, v20
	v_pk_fma_f16 v12, v12, v25, v21
	s_wait_dscnt 0x0
	v_dual_lshrrev_b32 v21, 16, v8 :: v_dual_lshrrev_b32 v22, 16, v9
	v_dual_lshrrev_b32 v23, 16, v10 :: v_dual_lshrrev_b32 v24, 16, v11
	v_and_b32_e32 v8, 0xffff, v8
	v_and_b32_e32 v9, 0xffff, v9
	;; [unrolled: 1-line block ×4, first 2 shown]
	v_mul_u32_u24_e32 v21, 0x10001, v21
	v_mul_u32_u24_e32 v8, 0x10001, v8
	;; [unrolled: 1-line block ×8, first 2 shown]
	v_pk_fma_f16 v14, v13, v8, v14
	v_pk_fma_f16 v18, v13, v21, v18
	;; [unrolled: 1-line block ×8, first 2 shown]
	ds_load_2addr_b32 v[12:13], v94 offset1:32
	ds_load_b128 v[8:11], v84 offset:768
	s_wait_dscnt 0x0
	v_dual_lshrrev_b32 v22, 16, v8 :: v_dual_lshrrev_b32 v23, 16, v9
	v_dual_lshrrev_b32 v24, 16, v10 :: v_dual_lshrrev_b32 v25, 16, v11
	v_and_b32_e32 v8, 0xffff, v8
	v_and_b32_e32 v9, 0xffff, v9
	v_and_b32_e32 v10, 0xffff, v10
	v_and_b32_e32 v11, 0xffff, v11
	v_mul_u32_u24_e32 v22, 0x10001, v22
	v_mul_u32_u24_e32 v8, 0x10001, v8
	v_mul_u32_u24_e32 v9, 0x10001, v9
	v_mul_u32_u24_e32 v10, 0x10001, v10
	v_mul_u32_u24_e32 v11, 0x10001, v11
	v_mul_u32_u24_e32 v23, 0x10001, v23
	v_pk_fma_f16 v14, v12, v8, v14
	v_pk_fma_f16 v15, v12, v9, v15
	v_pk_fma_f16 v16, v12, v10, v16
	v_pk_fma_f16 v17, v12, v11, v17
	ds_load_b128 v[8:11], v84 offset:784
	v_mul_u32_u24_e32 v24, 0x10001, v24
	v_mul_u32_u24_e32 v25, 0x10001, v25
	v_pk_fma_f16 v18, v12, v22, v18
	v_pk_fma_f16 v19, v12, v23, v19
	s_delay_alu instid0(VALU_DEP_4) | instskip(NEXT) | instid1(VALU_DEP_4)
	v_pk_fma_f16 v20, v12, v24, v20
	v_pk_fma_f16 v12, v12, v25, v21
	s_wait_dscnt 0x0
	v_dual_lshrrev_b32 v21, 16, v8 :: v_dual_lshrrev_b32 v22, 16, v9
	v_dual_lshrrev_b32 v23, 16, v10 :: v_dual_lshrrev_b32 v24, 16, v11
	v_and_b32_e32 v8, 0xffff, v8
	v_and_b32_e32 v9, 0xffff, v9
	v_and_b32_e32 v10, 0xffff, v10
	v_and_b32_e32 v11, 0xffff, v11
	v_mul_u32_u24_e32 v21, 0x10001, v21
	v_mul_u32_u24_e32 v8, 0x10001, v8
	v_mul_u32_u24_e32 v9, 0x10001, v9
	v_mul_u32_u24_e32 v22, 0x10001, v22
	v_mul_u32_u24_e32 v10, 0x10001, v10
	v_mul_u32_u24_e32 v23, 0x10001, v23
	v_mul_u32_u24_e32 v11, 0x10001, v11
	v_mul_u32_u24_e32 v24, 0x10001, v24
	v_pk_fma_f16 v14, v13, v8, v14
	v_pk_fma_f16 v18, v13, v21, v18
	v_pk_fma_f16 v15, v13, v9, v15
	v_pk_fma_f16 v19, v13, v22, v19
	v_pk_fma_f16 v16, v13, v10, v16
	v_pk_fma_f16 v20, v13, v23, v20
	v_pk_fma_f16 v17, v13, v11, v17
	v_pk_fma_f16 v21, v13, v24, v12
	ds_load_2addr_b32 v[12:13], v94 offset0:64 offset1:96
	ds_load_b128 v[8:11], v84 offset:800
	s_wait_dscnt 0x0
	v_dual_lshrrev_b32 v22, 16, v8 :: v_dual_lshrrev_b32 v23, 16, v9
	v_dual_lshrrev_b32 v24, 16, v10 :: v_dual_lshrrev_b32 v25, 16, v11
	v_and_b32_e32 v8, 0xffff, v8
	v_and_b32_e32 v9, 0xffff, v9
	v_and_b32_e32 v10, 0xffff, v10
	v_and_b32_e32 v11, 0xffff, v11
	v_mul_u32_u24_e32 v22, 0x10001, v22
	v_mul_u32_u24_e32 v8, 0x10001, v8
	v_mul_u32_u24_e32 v9, 0x10001, v9
	v_mul_u32_u24_e32 v10, 0x10001, v10
	v_mul_u32_u24_e32 v11, 0x10001, v11
	v_mul_u32_u24_e32 v23, 0x10001, v23
	v_pk_fma_f16 v14, v12, v8, v14
	v_pk_fma_f16 v15, v12, v9, v15
	v_pk_fma_f16 v16, v12, v10, v16
	v_pk_fma_f16 v17, v12, v11, v17
	ds_load_b128 v[8:11], v84 offset:816
	v_mul_u32_u24_e32 v24, 0x10001, v24
	v_mul_u32_u24_e32 v25, 0x10001, v25
	v_pk_fma_f16 v18, v12, v22, v18
	v_pk_fma_f16 v19, v12, v23, v19
	s_delay_alu instid0(VALU_DEP_4) | instskip(NEXT) | instid1(VALU_DEP_4)
	v_pk_fma_f16 v20, v12, v24, v20
	v_pk_fma_f16 v12, v12, v25, v21
	s_wait_dscnt 0x0
	v_dual_lshrrev_b32 v21, 16, v8 :: v_dual_lshrrev_b32 v22, 16, v9
	v_dual_lshrrev_b32 v23, 16, v10 :: v_dual_lshrrev_b32 v24, 16, v11
	v_and_b32_e32 v8, 0xffff, v8
	v_and_b32_e32 v9, 0xffff, v9
	v_and_b32_e32 v10, 0xffff, v10
	v_and_b32_e32 v11, 0xffff, v11
	v_mul_u32_u24_e32 v21, 0x10001, v21
	v_mul_u32_u24_e32 v8, 0x10001, v8
	v_mul_u32_u24_e32 v9, 0x10001, v9
	v_mul_u32_u24_e32 v22, 0x10001, v22
	v_mul_u32_u24_e32 v10, 0x10001, v10
	v_mul_u32_u24_e32 v23, 0x10001, v23
	v_mul_u32_u24_e32 v11, 0x10001, v11
	v_mul_u32_u24_e32 v24, 0x10001, v24
	v_pk_fma_f16 v14, v13, v8, v14
	v_pk_fma_f16 v18, v13, v21, v18
	v_pk_fma_f16 v15, v13, v9, v15
	v_pk_fma_f16 v19, v13, v22, v19
	v_pk_fma_f16 v16, v13, v10, v16
	v_pk_fma_f16 v20, v13, v23, v20
	v_pk_fma_f16 v17, v13, v11, v17
	v_pk_fma_f16 v21, v13, v24, v12
	ds_load_2addr_b32 v[12:13], v94 offset0:128 offset1:160
	;; [unrolled: 50-line block ×3, first 2 shown]
	ds_load_b128 v[8:11], v84 offset:864
	s_wait_dscnt 0x0
	v_dual_lshrrev_b32 v22, 16, v8 :: v_dual_lshrrev_b32 v23, 16, v9
	v_dual_lshrrev_b32 v24, 16, v10 :: v_dual_lshrrev_b32 v25, 16, v11
	v_and_b32_e32 v8, 0xffff, v8
	v_and_b32_e32 v9, 0xffff, v9
	;; [unrolled: 1-line block ×4, first 2 shown]
	v_mul_u32_u24_e32 v22, 0x10001, v22
	v_mul_u32_u24_e32 v8, 0x10001, v8
	;; [unrolled: 1-line block ×6, first 2 shown]
	v_pk_fma_f16 v14, v12, v8, v14
	v_pk_fma_f16 v15, v12, v9, v15
	v_pk_fma_f16 v16, v12, v10, v16
	v_pk_fma_f16 v17, v12, v11, v17
	ds_load_b128 v[8:11], v84 offset:880
	v_mul_u32_u24_e32 v24, 0x10001, v24
	v_mul_u32_u24_e32 v25, 0x10001, v25
	v_pk_fma_f16 v18, v12, v22, v18
	v_pk_fma_f16 v19, v12, v23, v19
	s_delay_alu instid0(VALU_DEP_4) | instskip(NEXT) | instid1(VALU_DEP_4)
	v_pk_fma_f16 v20, v12, v24, v20
	v_pk_fma_f16 v12, v12, v25, v21
	s_wait_dscnt 0x0
	v_dual_lshrrev_b32 v21, 16, v8 :: v_dual_lshrrev_b32 v22, 16, v9
	v_dual_lshrrev_b32 v23, 16, v10 :: v_dual_lshrrev_b32 v24, 16, v11
	v_and_b32_e32 v8, 0xffff, v8
	v_and_b32_e32 v9, 0xffff, v9
	;; [unrolled: 1-line block ×4, first 2 shown]
	v_mul_u32_u24_e32 v21, 0x10001, v21
	v_mul_u32_u24_e32 v8, 0x10001, v8
	;; [unrolled: 1-line block ×8, first 2 shown]
	v_pk_fma_f16 v14, v13, v8, v14
	v_pk_fma_f16 v18, v13, v21, v18
	v_pk_fma_f16 v15, v13, v9, v15
	v_pk_fma_f16 v19, v13, v22, v19
	v_pk_fma_f16 v16, v13, v10, v16
	v_pk_fma_f16 v20, v13, v23, v20
	v_pk_fma_f16 v17, v13, v11, v17
	v_pk_fma_f16 v21, v13, v24, v12
	ds_load_2addr_b32 v[12:13], v95 offset1:32
	ds_load_b128 v[8:11], v84 offset:896
	s_wait_dscnt 0x0
	v_dual_lshrrev_b32 v22, 16, v8 :: v_dual_lshrrev_b32 v23, 16, v9
	v_dual_lshrrev_b32 v24, 16, v10 :: v_dual_lshrrev_b32 v25, 16, v11
	v_and_b32_e32 v8, 0xffff, v8
	v_and_b32_e32 v9, 0xffff, v9
	v_and_b32_e32 v10, 0xffff, v10
	v_and_b32_e32 v11, 0xffff, v11
	v_mul_u32_u24_e32 v22, 0x10001, v22
	v_mul_u32_u24_e32 v8, 0x10001, v8
	v_mul_u32_u24_e32 v9, 0x10001, v9
	v_mul_u32_u24_e32 v10, 0x10001, v10
	v_mul_u32_u24_e32 v11, 0x10001, v11
	v_mul_u32_u24_e32 v23, 0x10001, v23
	v_pk_fma_f16 v14, v12, v8, v14
	v_pk_fma_f16 v15, v12, v9, v15
	v_pk_fma_f16 v16, v12, v10, v16
	v_pk_fma_f16 v17, v12, v11, v17
	ds_load_b128 v[8:11], v84 offset:912
	v_mul_u32_u24_e32 v24, 0x10001, v24
	v_mul_u32_u24_e32 v25, 0x10001, v25
	v_pk_fma_f16 v18, v12, v22, v18
	v_pk_fma_f16 v19, v12, v23, v19
	s_delay_alu instid0(VALU_DEP_4) | instskip(NEXT) | instid1(VALU_DEP_4)
	v_pk_fma_f16 v20, v12, v24, v20
	v_pk_fma_f16 v12, v12, v25, v21
	s_wait_dscnt 0x0
	v_dual_lshrrev_b32 v21, 16, v8 :: v_dual_lshrrev_b32 v22, 16, v9
	v_dual_lshrrev_b32 v23, 16, v10 :: v_dual_lshrrev_b32 v24, 16, v11
	v_and_b32_e32 v8, 0xffff, v8
	v_and_b32_e32 v9, 0xffff, v9
	v_and_b32_e32 v10, 0xffff, v10
	v_and_b32_e32 v11, 0xffff, v11
	v_mul_u32_u24_e32 v21, 0x10001, v21
	v_mul_u32_u24_e32 v8, 0x10001, v8
	v_mul_u32_u24_e32 v9, 0x10001, v9
	v_mul_u32_u24_e32 v22, 0x10001, v22
	v_mul_u32_u24_e32 v10, 0x10001, v10
	v_mul_u32_u24_e32 v23, 0x10001, v23
	v_mul_u32_u24_e32 v11, 0x10001, v11
	v_mul_u32_u24_e32 v24, 0x10001, v24
	v_pk_fma_f16 v14, v13, v8, v14
	v_pk_fma_f16 v18, v13, v21, v18
	v_pk_fma_f16 v15, v13, v9, v15
	v_pk_fma_f16 v19, v13, v22, v19
	v_pk_fma_f16 v16, v13, v10, v16
	v_pk_fma_f16 v20, v13, v23, v20
	v_pk_fma_f16 v17, v13, v11, v17
	v_pk_fma_f16 v21, v13, v24, v12
	ds_load_2addr_b32 v[12:13], v95 offset0:64 offset1:96
	ds_load_b128 v[8:11], v84 offset:928
	s_wait_dscnt 0x0
	v_dual_lshrrev_b32 v22, 16, v8 :: v_dual_lshrrev_b32 v23, 16, v9
	v_dual_lshrrev_b32 v24, 16, v10 :: v_dual_lshrrev_b32 v25, 16, v11
	v_and_b32_e32 v8, 0xffff, v8
	v_and_b32_e32 v9, 0xffff, v9
	v_and_b32_e32 v10, 0xffff, v10
	v_and_b32_e32 v11, 0xffff, v11
	v_mul_u32_u24_e32 v22, 0x10001, v22
	v_mul_u32_u24_e32 v8, 0x10001, v8
	v_mul_u32_u24_e32 v9, 0x10001, v9
	v_mul_u32_u24_e32 v10, 0x10001, v10
	v_mul_u32_u24_e32 v11, 0x10001, v11
	v_mul_u32_u24_e32 v23, 0x10001, v23
	v_pk_fma_f16 v14, v12, v8, v14
	v_pk_fma_f16 v15, v12, v9, v15
	v_pk_fma_f16 v16, v12, v10, v16
	v_pk_fma_f16 v17, v12, v11, v17
	ds_load_b128 v[8:11], v84 offset:944
	v_mul_u32_u24_e32 v24, 0x10001, v24
	v_mul_u32_u24_e32 v25, 0x10001, v25
	v_pk_fma_f16 v18, v12, v22, v18
	v_pk_fma_f16 v19, v12, v23, v19
	s_delay_alu instid0(VALU_DEP_4) | instskip(NEXT) | instid1(VALU_DEP_4)
	v_pk_fma_f16 v20, v12, v24, v20
	v_pk_fma_f16 v12, v12, v25, v21
	s_wait_dscnt 0x0
	v_dual_lshrrev_b32 v21, 16, v8 :: v_dual_lshrrev_b32 v22, 16, v9
	v_dual_lshrrev_b32 v23, 16, v10 :: v_dual_lshrrev_b32 v24, 16, v11
	v_and_b32_e32 v8, 0xffff, v8
	v_and_b32_e32 v9, 0xffff, v9
	v_and_b32_e32 v10, 0xffff, v10
	v_and_b32_e32 v11, 0xffff, v11
	v_mul_u32_u24_e32 v21, 0x10001, v21
	v_mul_u32_u24_e32 v8, 0x10001, v8
	v_mul_u32_u24_e32 v9, 0x10001, v9
	v_mul_u32_u24_e32 v22, 0x10001, v22
	v_mul_u32_u24_e32 v10, 0x10001, v10
	v_mul_u32_u24_e32 v23, 0x10001, v23
	v_mul_u32_u24_e32 v11, 0x10001, v11
	v_mul_u32_u24_e32 v24, 0x10001, v24
	v_pk_fma_f16 v14, v13, v8, v14
	v_pk_fma_f16 v18, v13, v21, v18
	v_pk_fma_f16 v15, v13, v9, v15
	v_pk_fma_f16 v19, v13, v22, v19
	v_pk_fma_f16 v16, v13, v10, v16
	v_pk_fma_f16 v20, v13, v23, v20
	v_pk_fma_f16 v17, v13, v11, v17
	v_pk_fma_f16 v21, v13, v24, v12
	ds_load_2addr_b32 v[12:13], v95 offset0:128 offset1:160
	;; [unrolled: 50-line block ×3, first 2 shown]
	ds_load_b128 v[8:11], v84 offset:992
	s_wait_dscnt 0x0
	v_dual_lshrrev_b32 v15, 16, v8 :: v_dual_lshrrev_b32 v16, 16, v9
	v_dual_lshrrev_b32 v17, 16, v10 :: v_dual_lshrrev_b32 v25, 16, v11
	v_and_b32_e32 v8, 0xffff, v8
	v_and_b32_e32 v9, 0xffff, v9
	;; [unrolled: 1-line block ×4, first 2 shown]
	v_mul_u32_u24_e32 v15, 0x10001, v15
	v_mul_u32_u24_e32 v8, 0x10001, v8
	;; [unrolled: 1-line block ×7, first 2 shown]
	v_pk_fma_f16 v14, v12, v8, v14
	v_pk_fma_f16 v15, v12, v15, v18
	;; [unrolled: 1-line block ×7, first 2 shown]
	ds_load_b128 v[8:11], v84 offset:1008
	s_wait_dscnt 0x0
	s_barrier_signal -1
	s_barrier_wait -1
	s_load_b32 s3, s[20:21], 0x4
	v_lshrrev_b32_e32 v21, 16, v8
	v_mul_u32_u24_e32 v25, 0x10001, v25
	v_dual_lshrrev_b32 v22, 16, v9 :: v_dual_lshrrev_b32 v23, 16, v10
	v_and_b32_e32 v8, 0xffff, v8
	v_and_b32_e32 v9, 0xffff, v9
	s_delay_alu instid0(VALU_DEP_4)
	v_pk_fma_f16 v12, v12, v25, v24
	v_lshrrev_b32_e32 v24, 16, v11
	v_and_b32_e32 v10, 0xffff, v10
	v_and_b32_e32 v11, 0xffff, v11
	v_mul_u32_u24_e32 v8, 0x10001, v8
	v_mul_u32_u24_e32 v21, 0x10001, v21
	;; [unrolled: 1-line block ×8, first 2 shown]
	s_wait_kmcnt 0x0
	s_lshl_b32 s3, s3, 6
	v_pk_fma_f16 v103, v13, v8, v14
	v_pk_fma_f16 v102, v13, v21, v15
	;; [unrolled: 1-line block ×8, first 2 shown]
	s_add_co_i32 s4, s3, s4
	s_delay_alu instid0(SALU_CYCLE_1)
	s_cmp_ge_i32 s4, s30
	s_cbranch_scc0 .LBB5_9
; %bb.10:
	v_mov_b32_e32 v8, v73
.LBB5_11:
	v_lshlrev_b32_e32 v32, 1, v66
	v_cmp_lt_i32_e32 vcc_lo, v75, v69
	s_cmp_lg_u64 s[12:13], 0
	s_cselect_b32 s3, -1, 0
	s_cmp_eq_u32 s31, 0
	v_cndmask_b32_e32 v9, v8, v75, vcc_lo
	v_cmp_lt_i32_e32 vcc_lo, v74, v69
	s_cselect_b32 s4, -1, 0
	s_delay_alu instid0(SALU_CYCLE_1) | instskip(NEXT) | instid1(VALU_DEP_2)
	s_and_b32 s3, s4, s3
	v_lshlrev_b32_e32 v9, 2, v9
	ds_bpermute_b32 v10, v9, v46
	ds_bpermute_b32 v11, v9, v47
	;; [unrolled: 1-line block ×8, first 2 shown]
	v_cndmask_b32_e32 v9, v8, v74, vcc_lo
	v_cmp_lt_i32_e32 vcc_lo, v72, v69
	s_delay_alu instid0(VALU_DEP_2)
	v_lshlrev_b32_e32 v9, 2, v9
	s_wait_dscnt 0x6
	v_pk_add_f32 v[10:11], v[46:47], v[10:11]
	s_wait_dscnt 0x4
	v_pk_add_f32 v[12:13], v[44:45], v[12:13]
	;; [unrolled: 2-line block ×3, first 2 shown]
	ds_bpermute_b32 v18, v9, v10
	s_wait_dscnt 0x1
	v_pk_add_f32 v[16:17], v[40:41], v[16:17]
	ds_bpermute_b32 v19, v9, v11
	ds_bpermute_b32 v20, v9, v12
	;; [unrolled: 1-line block ×7, first 2 shown]
	v_cndmask_b32_e32 v9, v8, v72, vcc_lo
	v_cmp_lt_i32_e32 vcc_lo, v71, v69
	s_delay_alu instid0(VALU_DEP_2)
	v_lshlrev_b32_e32 v9, 2, v9
	s_wait_dscnt 0x6
	v_pk_add_f32 v[10:11], v[10:11], v[18:19]
	s_wait_dscnt 0x4
	v_pk_add_f32 v[12:13], v[12:13], v[20:21]
	;; [unrolled: 2-line block ×3, first 2 shown]
	ds_bpermute_b32 v18, v9, v10
	s_wait_dscnt 0x1
	v_pk_add_f32 v[16:17], v[16:17], v[24:25]
	ds_bpermute_b32 v19, v9, v11
	ds_bpermute_b32 v20, v9, v12
	;; [unrolled: 1-line block ×7, first 2 shown]
	v_cndmask_b32_e32 v9, v8, v71, vcc_lo
	v_cmp_lt_i32_e32 vcc_lo, v70, v69
	s_delay_alu instid0(VALU_DEP_2) | instskip(SKIP_1) | instid1(VALU_DEP_1)
	v_dual_cndmask_b32 v8, v8, v70 :: v_dual_lshlrev_b32 v9, 2, v9
	s_and_b32 vcc_lo, exec_lo, s3
	v_lshlrev_b32_e32 v26, 2, v8
	s_wait_dscnt 0x6
	v_pk_add_f32 v[10:11], v[10:11], v[18:19]
	s_wait_dscnt 0x4
	v_pk_add_f32 v[12:13], v[12:13], v[20:21]
	;; [unrolled: 2-line block ×3, first 2 shown]
	ds_bpermute_b32 v18, v9, v10
	s_wait_dscnt 0x1
	v_pk_add_f32 v[16:17], v[16:17], v[24:25]
	ds_bpermute_b32 v19, v9, v11
	ds_bpermute_b32 v20, v9, v12
	;; [unrolled: 1-line block ×7, first 2 shown]
	s_wait_dscnt 0x6
	v_pk_add_f32 v[8:9], v[10:11], v[18:19]
	s_wait_dscnt 0x4
	v_pk_add_f32 v[10:11], v[12:13], v[20:21]
	;; [unrolled: 2-line block ×4, first 2 shown]
	ds_bpermute_b32 v16, v26, v8
	ds_bpermute_b32 v17, v26, v9
	;; [unrolled: 1-line block ×8, first 2 shown]
	s_wait_dscnt 0x6
	v_pk_add_f32 v[30:31], v[8:9], v[16:17]
	s_wait_dscnt 0x4
	v_pk_add_f32 v[28:29], v[10:11], v[18:19]
	;; [unrolled: 2-line block ×4, first 2 shown]
	s_cbranch_vccz .LBB5_13
; %bb.12:
	s_ashr_i32 s29, s28, 31
	v_dual_mov_b32 v8, 0 :: v_dual_max_num_f32 v9, v1, v1
	s_lshl_b64 s[4:5], s[28:29], 2
	v_dual_max_num_f32 v11, v3, v3 :: v_dual_max_num_f32 v12, v4, v4
	s_add_nc_u64 s[4:5], s[12:13], s[4:5]
	s_clause 0x1
	global_load_b128 v[20:23], v8, s[4:5]
	global_load_b128 v[16:19], v8, s[4:5] offset:16
	s_wait_xcnt 0x0
	v_dual_max_num_f32 v8, v0, v0 :: v_dual_max_num_f32 v10, v2, v2
	v_dual_max_num_f32 v15, v7, v7 :: v_dual_max_num_f32 v13, v5, v5
	s_wait_loadcnt 0x1
	v_dual_max_num_f32 v14, v6, v6 :: v_dual_max_num_f32 v33, v20, v20
	v_dual_max_num_f32 v34, v21, v21 :: v_dual_max_num_f32 v35, v22, v22
	s_wait_loadcnt 0x0
	v_max_num_f32_e32 v40, v19, v19
	v_dual_max_num_f32 v36, v23, v23 :: v_dual_max_num_f32 v37, v16, v16
	v_max_num_f32_e32 v8, v8, v33
	v_dual_max_num_f32 v38, v17, v17 :: v_dual_max_num_f32 v39, v18, v18
	v_dual_max_num_f32 v9, v9, v34 :: v_dual_max_num_f32 v10, v10, v35
	s_delay_alu instid0(VALU_DEP_3) | instskip(SKIP_1) | instid1(VALU_DEP_4)
	v_sub_f32_e32 v0, v0, v8
	v_dual_max_num_f32 v11, v11, v36 :: v_dual_max_num_f32 v12, v12, v37
	v_dual_max_num_f32 v13, v13, v38 :: v_dual_max_num_f32 v14, v14, v39
	s_delay_alu instid0(VALU_DEP_4)
	v_dual_max_num_f32 v15, v15, v40 :: v_dual_sub_f32 v1, v1, v9
	v_dual_sub_f32 v20, v20, v8 :: v_dual_sub_f32 v33, v2, v10
	v_dual_sub_f32 v21, v21, v9 :: v_dual_sub_f32 v22, v22, v10
	v_sub_f32_e32 v34, v3, v11
	v_dual_mul_f32 v2, 0x3fb8aa3b, v0 :: v_dual_sub_f32 v23, v23, v11
	v_sub_f32_e32 v35, v4, v12
	v_dual_sub_f32 v36, v16, v12 :: v_dual_sub_f32 v37, v5, v13
	v_dual_sub_f32 v38, v17, v13 :: v_dual_sub_f32 v39, v6, v14
	;; [unrolled: 1-line block ×3, first 2 shown]
	v_dual_sub_f32 v42, v19, v15 :: v_dual_mul_f32 v3, 0x3fb8aa3b, v20
	v_dual_mul_f32 v4, 0x3fb8aa3b, v1 :: v_dual_mul_f32 v7, 0x3fb8aa3b, v22
	v_mul_f32_e32 v5, 0x3fb8aa3b, v21
	v_fma_f32 v49, 0x3fb8aa3b, v0, -v2
	v_rndne_f32_e32 v50, v2
	v_dual_mul_f32 v6, 0x3fb8aa3b, v33 :: v_dual_mul_f32 v17, 0x3fb8aa3b, v23
	v_dual_mul_f32 v44, 0x3fb8aa3b, v38 :: v_dual_mul_f32 v45, 0x3fb8aa3b, v39
	v_fma_f32 v51, 0x3fb8aa3b, v20, -v3
	v_rndne_f32_e32 v52, v3
	v_fma_f32 v59, 0x3fb8aa3b, v22, -v7
	v_dual_fmac_f32 v49, 0x32a5705f, v0 :: v_dual_sub_f32 v2, v2, v50
	v_dual_mul_f32 v16, 0x3fb8aa3b, v34 :: v_dual_mul_f32 v19, 0x3fb8aa3b, v36
	v_dual_mul_f32 v46, 0x3fb8aa3b, v40 :: v_dual_mul_f32 v47, 0x3fb8aa3b, v41
	v_dual_mul_f32 v48, 0x3fb8aa3b, v42 :: v_dual_sub_f32 v3, v3, v52
	v_fma_f32 v53, 0x3fb8aa3b, v1, -v4
	v_rndne_f32_e32 v54, v4
	v_fma_f32 v63, 0x3fb8aa3b, v23, -v17
	v_rndne_f32_e32 v64, v17
	v_rndne_f32_e32 v76, v45
	s_delay_alu instid0(VALU_DEP_4)
	v_dual_fmac_f32 v51, 0x32a5705f, v20 :: v_dual_sub_f32 v4, v4, v54
	v_dual_fmac_f32 v59, 0x32a5705f, v22 :: v_dual_add_f32 v2, v2, v49
	v_dual_mul_f32 v18, 0x3fb8aa3b, v35 :: v_dual_mul_f32 v43, 0x3fb8aa3b, v37
	v_fma_f32 v55, 0x3fb8aa3b, v21, -v5
	v_rndne_f32_e32 v56, v5
	v_rndne_f32_e32 v58, v6
	v_fma_f32 v61, 0x3fb8aa3b, v34, -v16
	v_fma_f32 v75, 0x3fb8aa3b, v39, -v45
	v_rndne_f32_e32 v78, v46
	v_rndne_f32_e32 v80, v47
	;; [unrolled: 1-line block ×3, first 2 shown]
	v_fmac_f32_e32 v53, 0x32a5705f, v1
	v_fmac_f32_e32 v63, 0x32a5705f, v23
	v_sub_f32_e32 v17, v17, v64
	v_dual_sub_f32 v45, v45, v76 :: v_dual_add_f32 v3, v3, v51
	v_exp_f32_e32 v2, v2
	v_cvt_i32_f32_e32 v50, v50
	v_fma_f32 v57, 0x3fb8aa3b, v33, -v6
	v_rndne_f32_e32 v62, v16
	v_rndne_f32_e32 v70, v19
	v_rndne_f32_e32 v72, v43
	v_fma_f32 v77, 0x3fb8aa3b, v40, -v46
	v_fma_f32 v79, 0x3fb8aa3b, v41, -v47
	;; [unrolled: 1-line block ×3, first 2 shown]
	v_dual_fmac_f32 v55, 0x32a5705f, v21 :: v_dual_sub_f32 v16, v16, v62
	v_dual_sub_f32 v5, v5, v56 :: v_dual_sub_f32 v6, v6, v58
	v_dual_fmac_f32 v61, 0x32a5705f, v34 :: v_dual_add_f32 v4, v4, v53
	v_sub_f32_e32 v46, v46, v78
	v_dual_sub_f32 v48, v48, v82 :: v_dual_sub_f32 v47, v47, v80
	v_add_f32_e32 v17, v17, v63
	v_exp_f32_e32 v3, v3
	v_fma_f32 v71, 0x3fb8aa3b, v37, -v43
	v_cvt_i32_f32_e32 v52, v52
	v_ldexp_f32 v2, v2, v50
	v_cmp_ngt_f32_e32 vcc_lo, 0xc2ce8ed0, v0
	v_fma_f32 v69, 0x3fb8aa3b, v36, -v19
	v_sub_f32_e32 v19, v19, v70
	v_dual_sub_f32 v43, v43, v72 :: v_dual_add_f32 v5, v5, v55
	v_exp_f32_e32 v4, v4
	v_exp_f32_e32 v17, v17
	v_rndne_f32_e32 v60, v7
	v_fma_f32 v65, 0x3fb8aa3b, v35, -v18
	v_rndne_f32_e32 v68, v18
	v_cvt_i32_f32_e32 v54, v54
	v_fmac_f32_e32 v57, 0x32a5705f, v33
	v_cvt_i32_f32_e32 v64, v64
	v_dual_fmac_f32 v71, 0x32a5705f, v37 :: v_dual_cndmask_b32 v2, 0, v2
	v_ldexp_f32 v3, v3, v52
	v_cmp_ngt_f32_e32 vcc_lo, 0xc2ce8ed0, v20
	v_exp_f32_e32 v5, v5
	v_rndne_f32_e32 v74, v44
	v_cvt_i32_f32_e32 v56, v56
	v_sub_f32_e32 v7, v7, v60
	v_dual_sub_f32 v18, v18, v68 :: v_dual_fmac_f32 v65, 0x32a5705f, v35
	v_add_f32_e32 v6, v6, v57
	v_ldexp_f32 v4, v4, v54
	v_ldexp_f32 v17, v17, v64
	v_cndmask_b32_e32 v3, 0, v3, vcc_lo
	v_cmp_ngt_f32_e32 vcc_lo, 0xc2ce8ed0, v1
	v_fma_f32 v73, 0x3fb8aa3b, v38, -v44
	v_dual_sub_f32 v44, v44, v74 :: v_dual_fmac_f32 v79, 0x32a5705f, v41
	v_exp_f32_e32 v6, v6
	v_ldexp_f32 v5, v5, v56
	v_cndmask_b32_e32 v4, 0, v4, vcc_lo
	v_cmp_ngt_f32_e32 vcc_lo, 0xc2ce8ed0, v21
	v_add_f32_e32 v7, v7, v59
	v_cvt_i32_f32_e32 v58, v58
	v_dual_fmac_f32 v69, 0x32a5705f, v36 :: v_dual_add_f32 v16, v16, v61
	v_dual_fmac_f32 v73, 0x32a5705f, v38 :: v_dual_add_f32 v18, v18, v65
	v_cndmask_b32_e32 v5, 0, v5, vcc_lo
	v_exp_f32_e32 v7, v7
	v_cvt_i32_f32_e32 v60, v60
	v_ldexp_f32 v6, v6, v58
	v_cmp_ngt_f32_e32 vcc_lo, 0xc2ce8ed0, v33
	v_exp_f32_e32 v16, v16
	v_exp_f32_e32 v18, v18
	v_cvt_i32_f32_e32 v62, v62
	v_cvt_i32_f32_e32 v68, v68
	v_dual_add_f32 v43, v43, v71 :: v_dual_cndmask_b32 v6, 0, v6
	v_ldexp_f32 v7, v7, v60
	v_cmp_ngt_f32_e32 vcc_lo, 0xc2ce8ed0, v22
	v_ldexp_f32 v16, v16, v62
	v_ldexp_f32 v18, v18, v68
	v_dual_fmac_f32 v75, 0x32a5705f, v39 :: v_dual_add_f32 v44, v44, v73
	v_cndmask_b32_e32 v7, 0, v7, vcc_lo
	v_cmp_ngt_f32_e32 vcc_lo, 0xc2ce8ed0, v34
	s_delay_alu instid0(VALU_DEP_3)
	v_dual_add_f32 v19, v19, v69 :: v_dual_add_f32 v45, v45, v75
	v_add_f32_e32 v47, v47, v79
	v_cvt_i32_f32_e32 v70, v70
	v_cndmask_b32_e32 v16, 0, v16, vcc_lo
	v_cmp_ngt_f32_e32 vcc_lo, 0xc2ce8ed0, v23
	v_exp_f32_e32 v19, v19
	v_exp_f32_e32 v43, v43
	;; [unrolled: 1-line block ×3, first 2 shown]
	v_cvt_i32_f32_e32 v72, v72
	v_cndmask_b32_e32 v17, 0, v17, vcc_lo
	v_cmp_ngt_f32_e32 vcc_lo, 0xc2ce8ed0, v35
	v_cvt_i32_f32_e32 v74, v74
	v_ldexp_f32 v19, v19, v70
	v_fmac_f32_e32 v81, 0x32a5705f, v42
	v_dual_fmac_f32 v77, 0x32a5705f, v40 :: v_dual_cndmask_b32 v18, 0, v18
	v_cmp_ngt_f32_e32 vcc_lo, 0xc2ce8ed0, v36
	v_exp_f32_e32 v45, v45
	v_cvt_i32_f32_e32 v76, v76
	v_ldexp_f32 v43, v43, v72
	v_ldexp_f32 v44, v44, v74
	v_cndmask_b32_e32 v19, 0, v19, vcc_lo
	v_cmp_ngt_f32_e32 vcc_lo, 0xc2ce8ed0, v37
	v_add_f32_e32 v48, v48, v81
	v_add_f32_e32 v46, v46, v77
	v_ldexp_f32 v45, v45, v76
	v_cvt_i32_f32_e32 v78, v78
	v_cndmask_b32_e32 v43, 0, v43, vcc_lo
	v_cmp_ngt_f32_e32 vcc_lo, 0xc2ce8ed0, v38
	v_exp_f32_e32 v46, v46
	v_exp_f32_e32 v47, v47
	v_cvt_i32_f32_e32 v80, v80
	v_exp_f32_e32 v48, v48
	v_cndmask_b32_e32 v44, 0, v44, vcc_lo
	v_cmp_ngt_f32_e32 vcc_lo, 0xc2ce8ed0, v39
	v_cvt_i32_f32_e32 v82, v82
	v_ldexp_f32 v46, v46, v78
	v_ldexp_f32 v47, v47, v80
	v_cndmask_b32_e32 v45, 0, v45, vcc_lo
	v_cmp_ngt_f32_e32 vcc_lo, 0xc2ce8ed0, v40
	v_ldexp_f32 v48, v48, v82
	v_cndmask_b32_e32 v46, 0, v46, vcc_lo
	v_cmp_ngt_f32_e32 vcc_lo, 0xc2ce8ed0, v41
	v_cndmask_b32_e32 v47, 0, v47, vcc_lo
	v_cmp_ngt_f32_e32 vcc_lo, 0xc2ce8ed0, v42
	v_cndmask_b32_e32 v48, 0, v48, vcc_lo
	v_cmp_nlt_f32_e32 vcc_lo, 0x42b17218, v0
	v_cndmask_b32_e32 v0, 0x7f800000, v2, vcc_lo
	v_cmp_nlt_f32_e32 vcc_lo, 0x42b17218, v20
	;; [unrolled: 2-line block ×5, first 2 shown]
	v_cvt_f16_f32_e32 v33, v0
	s_delay_alu instid0(VALU_DEP_3)
	v_pk_fma_f32 v[30:31], v[30:31], v[0:1], v[2:3]
	v_cndmask_b32_e32 v4, 0x7f800000, v6, vcc_lo
	v_cmp_nlt_f32_e32 vcc_lo, 0x42b17218, v22
	v_cndmask_b32_e32 v6, 0x7f800000, v7, vcc_lo
	v_cmp_nlt_f32_e32 vcc_lo, 0x42b17218, v34
	v_cvt_f16_f32_e32 v34, v1
	v_and_b32_e32 v1, 0xffff, v33
	v_cndmask_b32_e32 v5, 0x7f800000, v16, vcc_lo
	v_cmp_nlt_f32_e32 vcc_lo, 0x42b17218, v23
	s_delay_alu instid0(VALU_DEP_4) | instskip(NEXT) | instid1(VALU_DEP_4)
	v_and_b32_e32 v2, 0xffff, v34
	v_mul_u32_u24_e32 v1, 0x10001, v1
	v_cndmask_b32_e32 v7, 0x7f800000, v17, vcc_lo
	v_cmp_nlt_f32_e32 vcc_lo, 0x42b17218, v35
	v_cvt_f16_f32_e32 v35, v4
	v_mul_u32_u24_e32 v2, 0x10001, v2
	v_pk_mul_f16 v103, v103, v1
	v_pk_fma_f32 v[28:29], v[28:29], v[4:5], v[6:7]
	v_cndmask_b32_e32 v16, 0x7f800000, v18, vcc_lo
	v_cmp_nlt_f32_e32 vcc_lo, 0x42b17218, v36
	v_cvt_f16_f32_e32 v36, v5
	v_and_b32_e32 v3, 0xffff, v35
	v_pk_mul_f16 v102, v102, v2
	v_cndmask_b32_e32 v18, 0x7f800000, v19, vcc_lo
	v_cmp_nlt_f32_e32 vcc_lo, 0x42b17218, v37
	v_cvt_f16_f32_e32 v37, v16
	v_and_b32_e32 v4, 0xffff, v36
	v_mul_u32_u24_e32 v3, 0x10001, v3
	v_cndmask_b32_e32 v17, 0x7f800000, v43, vcc_lo
	v_cmp_nlt_f32_e32 vcc_lo, 0x42b17218, v38
	v_and_b32_e32 v5, 0xffff, v37
	v_mul_u32_u24_e32 v4, 0x10001, v4
	v_pk_mul_f16 v101, v101, v3
	v_cvt_f16_f32_e32 v38, v17
	v_cndmask_b32_e32 v19, 0x7f800000, v44, vcc_lo
	v_cmp_nlt_f32_e32 vcc_lo, 0x42b17218, v39
	v_mul_u32_u24_e32 v5, 0x10001, v5
	v_pk_mul_f16 v100, v100, v4
	v_and_b32_e32 v6, 0xffff, v38
	v_pk_fma_f32 v[26:27], v[26:27], v[16:17], v[18:19]
	v_cndmask_b32_e32 v20, 0x7f800000, v45, vcc_lo
	v_cmp_nlt_f32_e32 vcc_lo, 0x42b17218, v40
	v_pk_mul_f16 v99, v99, v5
	v_mul_u32_u24_e32 v6, 0x10001, v6
	s_delay_alu instid0(VALU_DEP_4) | instskip(SKIP_2) | instid1(VALU_DEP_4)
	v_cvt_f16_f32_e32 v39, v20
	v_cndmask_b32_e32 v22, 0x7f800000, v46, vcc_lo
	v_cmp_nlt_f32_e32 vcc_lo, 0x42b17218, v41
	v_pk_mul_f16 v98, v98, v6
	s_delay_alu instid0(VALU_DEP_4) | instskip(SKIP_2) | instid1(VALU_DEP_3)
	v_and_b32_e32 v7, 0xffff, v39
	v_cndmask_b32_e32 v21, 0x7f800000, v47, vcc_lo
	v_cmp_nlt_f32_e32 vcc_lo, 0x42b17218, v42
	v_mul_u32_u24_e32 v7, 0x10001, v7
	s_delay_alu instid0(VALU_DEP_3) | instskip(SKIP_1) | instid1(VALU_DEP_3)
	v_cvt_f16_f32_e32 v0, v21
	v_cndmask_b32_e32 v23, 0x7f800000, v48, vcc_lo
	v_pk_mul_f16 v97, v97, v7
	s_delay_alu instid0(VALU_DEP_3) | instskip(NEXT) | instid1(VALU_DEP_3)
	v_and_b32_e32 v0, 0xffff, v0
	v_pk_fma_f32 v[24:25], v[24:25], v[20:21], v[22:23]
	s_delay_alu instid0(VALU_DEP_2) | instskip(NEXT) | instid1(VALU_DEP_1)
	v_mul_u32_u24_e32 v0, 0x10001, v0
	v_pk_mul_f16 v96, v96, v0
	v_mov_b64_e32 v[0:1], v[8:9]
	v_mov_b64_e32 v[2:3], v[10:11]
	;; [unrolled: 1-line block ×4, first 2 shown]
.LBB5_13:
	s_mov_b32 s3, exec_lo
	v_cmpx_gt_i32_e64 s22, v67
	s_cbranch_execz .LBB5_46
; %bb.14:
	s_load_b32 s0, s[0:1], 0xd4
	v_mov_b32_e32 v8, 1.0
	s_wait_kmcnt 0x0
	s_cmp_lg_u32 s0, 1
	s_cselect_b32 s1, -1, 0
	s_cmp_eq_u32 s0, 1
	s_cselect_b32 s3, -1, 0
	s_and_b32 vcc_lo, exec_lo, s1
	s_cbranch_vccnz .LBB5_16
; %bb.15:
	v_div_scale_f32 v8, null, v30, v30, 1.0
	s_delay_alu instid0(VALU_DEP_1) | instskip(SKIP_1) | instid1(TRANS32_DEP_1)
	v_rcp_f32_e32 v9, v8
	v_nop
	v_fma_f32 v10, -v8, v9, 1.0
	s_delay_alu instid0(VALU_DEP_1) | instskip(SKIP_1) | instid1(VALU_DEP_1)
	v_fmac_f32_e32 v9, v10, v9
	v_div_scale_f32 v10, vcc_lo, 1.0, v30, 1.0
	v_mul_f32_e32 v11, v10, v9
	s_delay_alu instid0(VALU_DEP_1) | instskip(NEXT) | instid1(VALU_DEP_1)
	v_fma_f32 v12, -v8, v11, v10
	v_fmac_f32_e32 v11, v12, v9
	s_delay_alu instid0(VALU_DEP_1) | instskip(NEXT) | instid1(VALU_DEP_1)
	v_fma_f32 v8, -v8, v11, v10
	v_div_fmas_f32 v8, v8, v9, v11
	s_delay_alu instid0(VALU_DEP_1)
	v_div_fixup_f32 v8, v8, v30, 1.0
.LBB5_16:
	v_mad_u32 v9, s2, s22, v67
	v_dual_lshrrev_b32 v13, 16, v103 :: v_dual_mov_b32 v11, 0
	v_cvt_f32_f16_e32 v12, v103
	v_cmp_eq_u32_e32 vcc_lo, 0, v66
	s_delay_alu instid0(VALU_DEP_3) | instskip(SKIP_2) | instid1(VALU_DEP_1)
	v_cvt_f32_f16_e32 v13, v13
	s_and_b32 s1, vcc_lo, s1
	v_mad_u32 v9, v9, s23, s28
	v_mad_u32 v9, s0, v9, s31
	s_delay_alu instid0(VALU_DEP_1) | instskip(SKIP_1) | instid1(VALU_DEP_2)
	v_lshl_add_u32 v10, v9, 6, v32
	v_pk_mul_f32 v[12:13], v[8:9], v[12:13] op_sel_hi:[0,1]
	v_lshl_add_u64 v[10:11], v[10:11], 2, s[16:17]
	global_store_b64 v[10:11], v[12:13], off
	s_wait_xcnt 0x0
	s_and_saveexec_b32 s2, s1
	s_cbranch_execz .LBB5_18
; %bb.17:
	v_dual_mov_b32 v10, v0 :: v_dual_mov_b32 v11, v30
	global_store_b64 v9, v[10:11], s[18:19] scale_offset
.LBB5_18:
	s_wait_xcnt 0x0
	s_or_b32 exec_lo, exec_lo, s2
	v_cndmask_b32_e64 v8, 0, 1, s3
	v_mov_b32_e32 v0, 1.0
	s_and_not1_b32 vcc_lo, exec_lo, s3
	s_cbranch_vccnz .LBB5_20
; %bb.19:
	v_div_scale_f32 v0, null, v31, v31, 1.0
	s_delay_alu instid0(VALU_DEP_1) | instskip(SKIP_1) | instid1(TRANS32_DEP_1)
	v_rcp_f32_e32 v10, v0
	v_nop
	v_fma_f32 v11, -v0, v10, 1.0
	s_delay_alu instid0(VALU_DEP_1) | instskip(SKIP_1) | instid1(VALU_DEP_1)
	v_fmac_f32_e32 v10, v11, v10
	v_div_scale_f32 v11, vcc_lo, 1.0, v31, 1.0
	v_mul_f32_e32 v12, v11, v10
	s_delay_alu instid0(VALU_DEP_1) | instskip(NEXT) | instid1(VALU_DEP_1)
	v_fma_f32 v13, -v0, v12, v11
	v_fmac_f32_e32 v12, v13, v10
	s_delay_alu instid0(VALU_DEP_1) | instskip(NEXT) | instid1(VALU_DEP_1)
	v_fma_f32 v0, -v0, v12, v11
	v_div_fmas_f32 v0, v0, v10, v12
	s_delay_alu instid0(VALU_DEP_1)
	v_div_fixup_f32 v0, v0, v31, 1.0
.LBB5_20:
	v_dual_add_nc_u32 v9, s0, v9 :: v_dual_lshrrev_b32 v13, 16, v102
	v_mov_b32_e32 v11, 0
	v_cvt_f32_f16_e32 v12, v102
	s_delay_alu instid0(VALU_DEP_3) | instskip(NEXT) | instid1(VALU_DEP_4)
	v_lshl_add_u32 v10, v9, 6, v32
	v_cvt_f32_f16_e32 v13, v13
	s_delay_alu instid0(VALU_DEP_2) | instskip(NEXT) | instid1(VALU_DEP_2)
	v_lshl_add_u64 v[10:11], v[10:11], 2, s[16:17]
	v_pk_mul_f32 v[12:13], v[0:1], v[12:13] op_sel_hi:[0,1]
	global_store_b64 v[10:11], v[12:13], off
	s_wait_xcnt 0x0
	s_and_saveexec_b32 s2, s1
	s_cbranch_execz .LBB5_22
; %bb.21:
	v_mov_b32_e32 v30, v1
	global_store_b64 v9, v[30:31], s[18:19] scale_offset
.LBB5_22:
	s_wait_xcnt 0x0
	s_or_b32 exec_lo, exec_lo, s2
	v_cmp_ne_u32_e32 vcc_lo, 1, v8
	v_mov_b32_e32 v0, 1.0
	s_cbranch_vccnz .LBB5_24
; %bb.23:
	v_div_scale_f32 v0, null, v28, v28, 1.0
	s_delay_alu instid0(VALU_DEP_1) | instskip(SKIP_1) | instid1(TRANS32_DEP_1)
	v_rcp_f32_e32 v1, v0
	v_nop
	v_fma_f32 v10, -v0, v1, 1.0
	s_delay_alu instid0(VALU_DEP_1) | instskip(SKIP_1) | instid1(VALU_DEP_1)
	v_fmac_f32_e32 v1, v10, v1
	v_div_scale_f32 v10, vcc_lo, 1.0, v28, 1.0
	v_mul_f32_e32 v11, v10, v1
	s_delay_alu instid0(VALU_DEP_1) | instskip(NEXT) | instid1(VALU_DEP_1)
	v_fma_f32 v12, -v0, v11, v10
	v_fmac_f32_e32 v11, v12, v1
	s_delay_alu instid0(VALU_DEP_1) | instskip(NEXT) | instid1(VALU_DEP_1)
	v_fma_f32 v0, -v0, v11, v10
	v_div_fmas_f32 v0, v0, v1, v11
	s_delay_alu instid0(VALU_DEP_1)
	v_div_fixup_f32 v0, v0, v28, 1.0
.LBB5_24:
	v_dual_add_nc_u32 v1, s0, v9 :: v_dual_mov_b32 v11, 0
	v_lshrrev_b32_e32 v9, 16, v101
	v_cvt_f32_f16_e32 v12, v101
	s_delay_alu instid0(VALU_DEP_3) | instskip(NEXT) | instid1(VALU_DEP_3)
	v_lshl_add_u32 v10, v1, 6, v32
	v_cvt_f32_f16_e32 v13, v9
	s_delay_alu instid0(VALU_DEP_2) | instskip(NEXT) | instid1(VALU_DEP_2)
	v_lshl_add_u64 v[10:11], v[10:11], 2, s[16:17]
	v_pk_mul_f32 v[12:13], v[0:1], v[12:13] op_sel_hi:[0,1]
	global_store_b64 v[10:11], v[12:13], off
	s_wait_xcnt 0x0
	s_and_saveexec_b32 s2, s1
	s_cbranch_execz .LBB5_26
; %bb.25:
	v_dual_mov_b32 v10, v2 :: v_dual_mov_b32 v11, v28
	global_store_b64 v1, v[10:11], s[18:19] scale_offset
.LBB5_26:
	s_wait_xcnt 0x0
	s_or_b32 exec_lo, exec_lo, s2
	v_cmp_ne_u32_e32 vcc_lo, 1, v8
	v_mov_b32_e32 v0, 1.0
	s_cbranch_vccnz .LBB5_28
; %bb.27:
	v_div_scale_f32 v0, null, v29, v29, 1.0
	s_delay_alu instid0(VALU_DEP_1) | instskip(SKIP_1) | instid1(TRANS32_DEP_1)
	v_rcp_f32_e32 v2, v0
	v_nop
	v_fma_f32 v9, -v0, v2, 1.0
	s_delay_alu instid0(VALU_DEP_1) | instskip(SKIP_1) | instid1(VALU_DEP_1)
	v_fmac_f32_e32 v2, v9, v2
	v_div_scale_f32 v9, vcc_lo, 1.0, v29, 1.0
	v_mul_f32_e32 v10, v9, v2
	s_delay_alu instid0(VALU_DEP_1) | instskip(NEXT) | instid1(VALU_DEP_1)
	v_fma_f32 v11, -v0, v10, v9
	v_fmac_f32_e32 v10, v11, v2
	s_delay_alu instid0(VALU_DEP_1) | instskip(NEXT) | instid1(VALU_DEP_1)
	v_fma_f32 v0, -v0, v10, v9
	v_div_fmas_f32 v0, v0, v2, v10
	s_delay_alu instid0(VALU_DEP_1)
	v_div_fixup_f32 v0, v0, v29, 1.0
.LBB5_28:
	v_dual_add_nc_u32 v1, s0, v1 :: v_dual_lshrrev_b32 v2, 16, v100
	v_mov_b32_e32 v11, 0
	v_cvt_f32_f16_e32 v12, v100
	s_delay_alu instid0(VALU_DEP_3) | instskip(NEXT) | instid1(VALU_DEP_4)
	v_lshl_add_u32 v10, v1, 6, v32
	v_cvt_f32_f16_e32 v13, v2
	s_delay_alu instid0(VALU_DEP_2) | instskip(NEXT) | instid1(VALU_DEP_2)
	v_lshl_add_u64 v[10:11], v[10:11], 2, s[16:17]
	v_pk_mul_f32 v[12:13], v[0:1], v[12:13] op_sel_hi:[0,1]
	global_store_b64 v[10:11], v[12:13], off
	s_wait_xcnt 0x0
	s_and_saveexec_b32 s2, s1
	s_cbranch_execz .LBB5_30
; %bb.29:
	v_mov_b32_e32 v28, v3
	global_store_b64 v1, v[28:29], s[18:19] scale_offset
.LBB5_30:
	s_wait_xcnt 0x0
	s_or_b32 exec_lo, exec_lo, s2
	v_cmp_ne_u32_e32 vcc_lo, 1, v8
	v_mov_b32_e32 v0, 1.0
	s_cbranch_vccnz .LBB5_32
; %bb.31:
	v_div_scale_f32 v0, null, v26, v26, 1.0
	s_delay_alu instid0(VALU_DEP_1) | instskip(SKIP_1) | instid1(TRANS32_DEP_1)
	v_rcp_f32_e32 v2, v0
	v_nop
	v_fma_f32 v3, -v0, v2, 1.0
	s_delay_alu instid0(VALU_DEP_1) | instskip(SKIP_1) | instid1(VALU_DEP_1)
	v_fmac_f32_e32 v2, v3, v2
	v_div_scale_f32 v3, vcc_lo, 1.0, v26, 1.0
	v_mul_f32_e32 v9, v3, v2
	s_delay_alu instid0(VALU_DEP_1) | instskip(NEXT) | instid1(VALU_DEP_1)
	v_fma_f32 v10, -v0, v9, v3
	v_fmac_f32_e32 v9, v10, v2
	s_delay_alu instid0(VALU_DEP_1) | instskip(NEXT) | instid1(VALU_DEP_1)
	v_fma_f32 v0, -v0, v9, v3
	v_div_fmas_f32 v0, v0, v2, v9
	s_delay_alu instid0(VALU_DEP_1)
	v_div_fixup_f32 v0, v0, v26, 1.0
.LBB5_32:
	v_dual_add_nc_u32 v1, s0, v1 :: v_dual_lshrrev_b32 v9, 16, v99
	v_mov_b32_e32 v3, 0
	v_cvt_f32_f16_e32 v10, v99
	s_delay_alu instid0(VALU_DEP_3) | instskip(NEXT) | instid1(VALU_DEP_4)
	v_lshl_add_u32 v2, v1, 6, v32
	v_cvt_f32_f16_e32 v11, v9
	s_delay_alu instid0(VALU_DEP_2) | instskip(NEXT) | instid1(VALU_DEP_2)
	v_lshl_add_u64 v[2:3], v[2:3], 2, s[16:17]
	v_pk_mul_f32 v[10:11], v[0:1], v[10:11] op_sel_hi:[0,1]
	global_store_b64 v[2:3], v[10:11], off
	s_wait_xcnt 0x0
	s_and_saveexec_b32 s2, s1
	s_cbranch_execz .LBB5_34
; %bb.33:
	v_dual_mov_b32 v2, v4 :: v_dual_mov_b32 v3, v26
	global_store_b64 v1, v[2:3], s[18:19] scale_offset
.LBB5_34:
	s_wait_xcnt 0x0
	s_or_b32 exec_lo, exec_lo, s2
	v_cmp_ne_u32_e32 vcc_lo, 1, v8
	v_mov_b32_e32 v0, 1.0
	s_cbranch_vccnz .LBB5_36
; %bb.35:
	v_div_scale_f32 v0, null, v27, v27, 1.0
	s_delay_alu instid0(VALU_DEP_1) | instskip(SKIP_1) | instid1(TRANS32_DEP_1)
	v_rcp_f32_e32 v2, v0
	v_nop
	v_fma_f32 v3, -v0, v2, 1.0
	s_delay_alu instid0(VALU_DEP_1) | instskip(SKIP_1) | instid1(VALU_DEP_1)
	v_fmac_f32_e32 v2, v3, v2
	v_div_scale_f32 v3, vcc_lo, 1.0, v27, 1.0
	v_mul_f32_e32 v4, v3, v2
	s_delay_alu instid0(VALU_DEP_1) | instskip(NEXT) | instid1(VALU_DEP_1)
	v_fma_f32 v9, -v0, v4, v3
	v_fmac_f32_e32 v4, v9, v2
	s_delay_alu instid0(VALU_DEP_1) | instskip(NEXT) | instid1(VALU_DEP_1)
	v_fma_f32 v0, -v0, v4, v3
	v_div_fmas_f32 v0, v0, v2, v4
	s_delay_alu instid0(VALU_DEP_1)
	v_div_fixup_f32 v0, v0, v27, 1.0
.LBB5_36:
	v_dual_add_nc_u32 v1, s0, v1 :: v_dual_lshrrev_b32 v4, 16, v98
	v_mov_b32_e32 v3, 0
	v_cvt_f32_f16_e32 v10, v98
	s_delay_alu instid0(VALU_DEP_3) | instskip(NEXT) | instid1(VALU_DEP_4)
	v_lshl_add_u32 v2, v1, 6, v32
	v_cvt_f32_f16_e32 v11, v4
	s_delay_alu instid0(VALU_DEP_2) | instskip(NEXT) | instid1(VALU_DEP_2)
	v_lshl_add_u64 v[2:3], v[2:3], 2, s[16:17]
	v_pk_mul_f32 v[10:11], v[0:1], v[10:11] op_sel_hi:[0,1]
	global_store_b64 v[2:3], v[10:11], off
	s_wait_xcnt 0x0
	s_and_saveexec_b32 s2, s1
	s_cbranch_execz .LBB5_38
; %bb.37:
	v_mov_b32_e32 v26, v5
	global_store_b64 v1, v[26:27], s[18:19] scale_offset
.LBB5_38:
	s_wait_xcnt 0x0
	s_or_b32 exec_lo, exec_lo, s2
	v_cmp_ne_u32_e32 vcc_lo, 1, v8
	v_mov_b32_e32 v0, 1.0
	s_cbranch_vccnz .LBB5_40
; %bb.39:
	v_div_scale_f32 v0, null, v24, v24, 1.0
	s_delay_alu instid0(VALU_DEP_1) | instskip(SKIP_1) | instid1(TRANS32_DEP_1)
	v_rcp_f32_e32 v2, v0
	v_nop
	v_fma_f32 v3, -v0, v2, 1.0
	s_delay_alu instid0(VALU_DEP_1) | instskip(SKIP_1) | instid1(VALU_DEP_1)
	v_fmac_f32_e32 v2, v3, v2
	v_div_scale_f32 v3, vcc_lo, 1.0, v24, 1.0
	v_mul_f32_e32 v4, v3, v2
	s_delay_alu instid0(VALU_DEP_1) | instskip(NEXT) | instid1(VALU_DEP_1)
	v_fma_f32 v5, -v0, v4, v3
	v_fmac_f32_e32 v4, v5, v2
	s_delay_alu instid0(VALU_DEP_1) | instskip(NEXT) | instid1(VALU_DEP_1)
	v_fma_f32 v0, -v0, v4, v3
	v_div_fmas_f32 v0, v0, v2, v4
	s_delay_alu instid0(VALU_DEP_1)
	v_div_fixup_f32 v0, v0, v24, 1.0
.LBB5_40:
	v_dual_add_nc_u32 v1, s0, v1 :: v_dual_mov_b32 v3, 0
	v_lshrrev_b32_e32 v5, 16, v97
	v_cvt_f32_f16_e32 v4, v97
	s_delay_alu instid0(VALU_DEP_3) | instskip(NEXT) | instid1(VALU_DEP_3)
	v_lshl_add_u32 v2, v1, 6, v32
	v_cvt_f32_f16_e32 v5, v5
	s_delay_alu instid0(VALU_DEP_2) | instskip(NEXT) | instid1(VALU_DEP_2)
	v_lshl_add_u64 v[2:3], v[2:3], 2, s[16:17]
	v_pk_mul_f32 v[4:5], v[0:1], v[4:5] op_sel_hi:[0,1]
	global_store_b64 v[2:3], v[4:5], off
	s_wait_xcnt 0x0
	s_and_saveexec_b32 s2, s1
	s_cbranch_execz .LBB5_42
; %bb.41:
	v_dual_mov_b32 v2, v6 :: v_dual_mov_b32 v3, v24
	global_store_b64 v1, v[2:3], s[18:19] scale_offset
.LBB5_42:
	s_wait_xcnt 0x0
	s_or_b32 exec_lo, exec_lo, s2
	v_cmp_ne_u32_e32 vcc_lo, 1, v8
	v_mov_b32_e32 v0, 1.0
	s_cbranch_vccnz .LBB5_44
; %bb.43:
	v_div_scale_f32 v0, null, v25, v25, 1.0
	s_delay_alu instid0(VALU_DEP_1) | instskip(SKIP_1) | instid1(TRANS32_DEP_1)
	v_rcp_f32_e32 v2, v0
	v_nop
	v_fma_f32 v3, -v0, v2, 1.0
	s_delay_alu instid0(VALU_DEP_1) | instskip(SKIP_1) | instid1(VALU_DEP_1)
	v_fmac_f32_e32 v2, v3, v2
	v_div_scale_f32 v3, vcc_lo, 1.0, v25, 1.0
	v_mul_f32_e32 v4, v3, v2
	s_delay_alu instid0(VALU_DEP_1) | instskip(NEXT) | instid1(VALU_DEP_1)
	v_fma_f32 v5, -v0, v4, v3
	v_fmac_f32_e32 v4, v5, v2
	s_delay_alu instid0(VALU_DEP_1) | instskip(NEXT) | instid1(VALU_DEP_1)
	v_fma_f32 v0, -v0, v4, v3
	v_div_fmas_f32 v0, v0, v2, v4
	s_delay_alu instid0(VALU_DEP_1)
	v_div_fixup_f32 v0, v0, v25, 1.0
.LBB5_44:
	v_dual_add_nc_u32 v1, s0, v1 :: v_dual_lshrrev_b32 v5, 16, v96
	v_mov_b32_e32 v3, 0
	v_cvt_f32_f16_e32 v4, v96
	s_delay_alu instid0(VALU_DEP_3) | instskip(NEXT) | instid1(VALU_DEP_4)
	v_lshl_add_u32 v2, v1, 6, v32
	v_cvt_f32_f16_e32 v5, v5
	s_delay_alu instid0(VALU_DEP_2) | instskip(NEXT) | instid1(VALU_DEP_2)
	v_lshl_add_u64 v[2:3], v[2:3], 2, s[16:17]
	v_pk_mul_f32 v[4:5], v[0:1], v[4:5] op_sel_hi:[0,1]
	global_store_b64 v[2:3], v[4:5], off
	s_wait_xcnt 0x0
	s_and_b32 exec_lo, exec_lo, s1
	s_cbranch_execz .LBB5_46
; %bb.45:
	v_mov_b32_e32 v24, v7
	global_store_b64 v1, v[24:25], s[18:19] scale_offset
.LBB5_46:
	s_sendmsg sendmsg(MSG_DEALLOC_VGPRS)
	s_endpgm
	.section	.rodata,"a",@progbits
	.p2align	6, 0x0
	.amdhsa_kernel _ZL15flash_attn_tileILi64ELi64ELi4ELi8ELb0EEvPKcS1_S1_S1_S1_PKiPfP15HIP_vector_typeIfLj2EEffffjfiS5_IjLj3EEiiiiiiiiiiiliiliiiiil
		.amdhsa_group_segment_fixed_size 17408
		.amdhsa_private_segment_fixed_size 0
		.amdhsa_kernarg_size 464
		.amdhsa_user_sgpr_count 2
		.amdhsa_user_sgpr_dispatch_ptr 0
		.amdhsa_user_sgpr_queue_ptr 0
		.amdhsa_user_sgpr_kernarg_segment_ptr 1
		.amdhsa_user_sgpr_dispatch_id 0
		.amdhsa_user_sgpr_kernarg_preload_length 0
		.amdhsa_user_sgpr_kernarg_preload_offset 0
		.amdhsa_user_sgpr_private_segment_size 0
		.amdhsa_wavefront_size32 1
		.amdhsa_uses_dynamic_stack 0
		.amdhsa_enable_private_segment 0
		.amdhsa_system_sgpr_workgroup_id_x 1
		.amdhsa_system_sgpr_workgroup_id_y 1
		.amdhsa_system_sgpr_workgroup_id_z 1
		.amdhsa_system_sgpr_workgroup_info 0
		.amdhsa_system_vgpr_workitem_id 1
		.amdhsa_next_free_vgpr 140
		.amdhsa_next_free_sgpr 43
		.amdhsa_named_barrier_count 0
		.amdhsa_reserve_vcc 1
		.amdhsa_float_round_mode_32 0
		.amdhsa_float_round_mode_16_64 0
		.amdhsa_float_denorm_mode_32 3
		.amdhsa_float_denorm_mode_16_64 3
		.amdhsa_fp16_overflow 0
		.amdhsa_memory_ordered 1
		.amdhsa_forward_progress 1
		.amdhsa_inst_pref_size 197
		.amdhsa_round_robin_scheduling 0
		.amdhsa_exception_fp_ieee_invalid_op 0
		.amdhsa_exception_fp_denorm_src 0
		.amdhsa_exception_fp_ieee_div_zero 0
		.amdhsa_exception_fp_ieee_overflow 0
		.amdhsa_exception_fp_ieee_underflow 0
		.amdhsa_exception_fp_ieee_inexact 0
		.amdhsa_exception_int_div_zero 0
	.end_amdhsa_kernel
	.section	.text._ZL15flash_attn_tileILi64ELi64ELi4ELi8ELb0EEvPKcS1_S1_S1_S1_PKiPfP15HIP_vector_typeIfLj2EEffffjfiS5_IjLj3EEiiiiiiiiiiiliiliiiiil,"axG",@progbits,_ZL15flash_attn_tileILi64ELi64ELi4ELi8ELb0EEvPKcS1_S1_S1_S1_PKiPfP15HIP_vector_typeIfLj2EEffffjfiS5_IjLj3EEiiiiiiiiiiiliiliiiiil,comdat
.Lfunc_end5:
	.size	_ZL15flash_attn_tileILi64ELi64ELi4ELi8ELb0EEvPKcS1_S1_S1_S1_PKiPfP15HIP_vector_typeIfLj2EEffffjfiS5_IjLj3EEiiiiiiiiiiiliiliiiiil, .Lfunc_end5-_ZL15flash_attn_tileILi64ELi64ELi4ELi8ELb0EEvPKcS1_S1_S1_S1_PKiPfP15HIP_vector_typeIfLj2EEffffjfiS5_IjLj3EEiiiiiiiiiiiliiliiiiil
                                        ; -- End function
	.set _ZL15flash_attn_tileILi64ELi64ELi4ELi8ELb0EEvPKcS1_S1_S1_S1_PKiPfP15HIP_vector_typeIfLj2EEffffjfiS5_IjLj3EEiiiiiiiiiiiliiliiiiil.num_vgpr, 140
	.set _ZL15flash_attn_tileILi64ELi64ELi4ELi8ELb0EEvPKcS1_S1_S1_S1_PKiPfP15HIP_vector_typeIfLj2EEffffjfiS5_IjLj3EEiiiiiiiiiiiliiliiiiil.num_agpr, 0
	.set _ZL15flash_attn_tileILi64ELi64ELi4ELi8ELb0EEvPKcS1_S1_S1_S1_PKiPfP15HIP_vector_typeIfLj2EEffffjfiS5_IjLj3EEiiiiiiiiiiiliiliiiiil.numbered_sgpr, 43
	.set _ZL15flash_attn_tileILi64ELi64ELi4ELi8ELb0EEvPKcS1_S1_S1_S1_PKiPfP15HIP_vector_typeIfLj2EEffffjfiS5_IjLj3EEiiiiiiiiiiiliiliiiiil.num_named_barrier, 0
	.set _ZL15flash_attn_tileILi64ELi64ELi4ELi8ELb0EEvPKcS1_S1_S1_S1_PKiPfP15HIP_vector_typeIfLj2EEffffjfiS5_IjLj3EEiiiiiiiiiiiliiliiiiil.private_seg_size, 0
	.set _ZL15flash_attn_tileILi64ELi64ELi4ELi8ELb0EEvPKcS1_S1_S1_S1_PKiPfP15HIP_vector_typeIfLj2EEffffjfiS5_IjLj3EEiiiiiiiiiiiliiliiiiil.uses_vcc, 1
	.set _ZL15flash_attn_tileILi64ELi64ELi4ELi8ELb0EEvPKcS1_S1_S1_S1_PKiPfP15HIP_vector_typeIfLj2EEffffjfiS5_IjLj3EEiiiiiiiiiiiliiliiiiil.uses_flat_scratch, 0
	.set _ZL15flash_attn_tileILi64ELi64ELi4ELi8ELb0EEvPKcS1_S1_S1_S1_PKiPfP15HIP_vector_typeIfLj2EEffffjfiS5_IjLj3EEiiiiiiiiiiiliiliiiiil.has_dyn_sized_stack, 0
	.set _ZL15flash_attn_tileILi64ELi64ELi4ELi8ELb0EEvPKcS1_S1_S1_S1_PKiPfP15HIP_vector_typeIfLj2EEffffjfiS5_IjLj3EEiiiiiiiiiiiliiliiiiil.has_recursion, 0
	.set _ZL15flash_attn_tileILi64ELi64ELi4ELi8ELb0EEvPKcS1_S1_S1_S1_PKiPfP15HIP_vector_typeIfLj2EEffffjfiS5_IjLj3EEiiiiiiiiiiiliiliiiiil.has_indirect_call, 0
	.section	.AMDGPU.csdata,"",@progbits
; Kernel info:
; codeLenInByte = 25212
; TotalNumSgprs: 45
; NumVgprs: 140
; ScratchSize: 0
; MemoryBound: 0
; FloatMode: 240
; IeeeMode: 1
; LDSByteSize: 17408 bytes/workgroup (compile time only)
; SGPRBlocks: 0
; VGPRBlocks: 8
; NumSGPRsForWavesPerEU: 45
; NumVGPRsForWavesPerEU: 140
; NamedBarCnt: 0
; Occupancy: 7
; WaveLimiterHint : 1
; COMPUTE_PGM_RSRC2:SCRATCH_EN: 0
; COMPUTE_PGM_RSRC2:USER_SGPR: 2
; COMPUTE_PGM_RSRC2:TRAP_HANDLER: 0
; COMPUTE_PGM_RSRC2:TGID_X_EN: 1
; COMPUTE_PGM_RSRC2:TGID_Y_EN: 1
; COMPUTE_PGM_RSRC2:TGID_Z_EN: 1
; COMPUTE_PGM_RSRC2:TIDIG_COMP_CNT: 1
	.section	.text._ZL25flash_attn_mask_to_KV_maxILi4EEvPK7__half2Piiii,"axG",@progbits,_ZL25flash_attn_mask_to_KV_maxILi4EEvPK7__half2Piiii,comdat
	.globl	_ZL25flash_attn_mask_to_KV_maxILi4EEvPK7__half2Piiii ; -- Begin function _ZL25flash_attn_mask_to_KV_maxILi4EEvPK7__half2Piiii
	.p2align	8
	.type	_ZL25flash_attn_mask_to_KV_maxILi4EEvPK7__half2Piiii,@function
_ZL25flash_attn_mask_to_KV_maxILi4EEvPK7__half2Piiii: ; @_ZL25flash_attn_mask_to_KV_maxILi4EEvPK7__half2Piiii
; %bb.0:
	s_load_b128 s[4:7], s[0:1], 0x0
	s_mov_b32 s2, exec_lo
	v_cmpx_gt_u32_e32 32, v0
; %bb.1:
	v_dual_mov_b32 v2, 1 :: v_dual_lshlrev_b32 v1, 2, v0
	ds_store_b32 v1, v2
; %bb.2:
	s_or_b32 exec_lo, exec_lo, s2
	s_clause 0x1
	s_load_b96 s[8:10], s[0:1], 0x10
	s_load_b32 s11, s[0:1], 0x20
	s_wait_xcnt 0x0
	s_bfe_u32 s1, ttmp6, 0x4000c
	s_bfe_u32 s2, ttmp6, 0x40010
	s_add_co_i32 s1, s1, 1
	s_add_co_i32 s2, s2, 1
	s_and_b32 s0, ttmp6, 15
	s_bfe_u32 s3, ttmp6, 0x40004
	s_mul_i32 s1, ttmp9, s1
	s_mul_i32 s2, ttmp7, s2
	s_getreg_b32 s12, hwreg(HW_REG_IB_STS2, 6, 4)
	s_add_co_i32 s0, s0, s1
	s_add_co_i32 s3, s3, s2
	s_cmp_eq_u32 s12, 0
	v_dual_lshrrev_b32 v1, 3, v0 :: v_dual_bitop2_b32 v2, 31, v0 bitop3:0x40
	s_cselect_b32 s1, ttmp9, s0
	s_cselect_b32 s12, ttmp7, s3
	s_wait_dscnt 0x0
	s_barrier_signal -1
	s_wait_kmcnt 0x0
	s_mul_i32 s0, s1, s9
	s_mul_i32 s2, s10, s12
	s_lshl_b32 s0, s0, 2
	s_barrier_wait -1
	s_add_co_i32 s2, s2, s0
	v_cmp_eq_u32_e64 s0, 0, v2
	s_ashr_i32 s3, s2, 31
	v_lshlrev_b32_e32 v2, 2, v2
	s_lshl_b64 s[2:3], s[2:3], 2
	s_delay_alu instid0(SALU_CYCLE_1)
	s_add_nc_u64 s[2:3], s[4:5], s[2:3]
	s_lshl_b32 s5, s8, 8
	s_branch .LBB6_4
.LBB6_3:                                ;   in Loop: Header=BB6_4 Depth=1
	s_or_b32 exec_lo, exec_lo, s8
	s_wait_dscnt 0x0
	s_barrier_signal -1
	s_barrier_wait -1
	ds_load_b32 v3, v2
	s_wait_dscnt 0x0
	s_barrier_signal -1
	s_barrier_wait -1
	v_cmp_ne_u32_e32 vcc_lo, 0, v3
	s_cmp_lg_u32 vcc_lo, exec_lo
	s_cselect_b32 s8, -1, 0
	s_delay_alu instid0(SALU_CYCLE_1)
	s_and_b32 vcc_lo, exec_lo, s8
	s_cbranch_vccnz .LBB6_20
.LBB6_4:                                ; =>This Inner Loop Header: Depth=1
	s_mov_b32 s4, s5
	s_addk_co_i32 s5, 0xff00
	s_delay_alu instid0(SALU_CYCLE_1)
	s_cmp_lt_i32 s5, 0
	s_cbranch_scc1 .LBB6_19
; %bb.5:                                ;   in Loop: Header=BB6_4 Depth=1
	s_lshr_b32 s8, s5, 1
	s_delay_alu instid0(SALU_CYCLE_1) | instskip(SKIP_4) | instid1(VALU_DEP_2)
	v_add_nc_u32_e32 v3, s8, v0
	global_load_b32 v4, v3, s[2:3] scale_offset
	s_wait_loadcnt 0x0
	v_lshrrev_b32_e32 v5, 16, v4
	v_cmp_class_f16_e64 s8, v4, 0x204
	v_cmp_class_f16_e64 s10, v5, 0x204
	s_and_b32 s13, s8, s10
	s_mov_b32 s10, 0
	s_and_saveexec_b32 s8, s13
	s_cbranch_execz .LBB6_17
; %bb.6:                                ;   in Loop: Header=BB6_4 Depth=1
	v_add_nc_u32_e32 v3, s9, v3
	s_mov_b32 s13, 0
	global_load_b32 v4, v3, s[2:3] scale_offset
	s_wait_loadcnt 0x0
	v_cmp_class_f16_e64 s14, v4, 0x204
	s_and_saveexec_b32 s10, s14
	s_cbranch_execz .LBB6_16
; %bb.7:                                ;   in Loop: Header=BB6_4 Depth=1
	v_lshrrev_b32_e32 v4, 16, v4
	s_mov_b32 s14, 0
	s_delay_alu instid0(VALU_DEP_1)
	v_cmp_class_f16_e64 s15, v4, 0x204
	s_and_saveexec_b32 s13, s15
	s_cbranch_execz .LBB6_15
; %bb.8:                                ;   in Loop: Header=BB6_4 Depth=1
	v_add_nc_u32_e32 v3, s9, v3
	s_mov_b32 s15, 0
	global_load_b32 v4, v3, s[2:3] scale_offset
	s_wait_loadcnt 0x0
	v_cmp_class_f16_e64 s16, v4, 0x204
	s_and_saveexec_b32 s14, s16
	s_cbranch_execz .LBB6_14
; %bb.9:                                ;   in Loop: Header=BB6_4 Depth=1
	v_lshrrev_b32_e32 v4, 16, v4
	s_mov_b32 s16, 0
	s_delay_alu instid0(VALU_DEP_1)
	v_cmp_class_f16_e64 s17, v4, 0x204
	s_and_saveexec_b32 s15, s17
	s_cbranch_execz .LBB6_13
; %bb.10:                               ;   in Loop: Header=BB6_4 Depth=1
	v_add_nc_u32_e32 v3, s9, v3
	global_load_b32 v3, v3, s[2:3] scale_offset
	s_wait_loadcnt 0x0
	v_cmp_class_f16_e64 s18, v3, 0x204
	s_and_saveexec_b32 s17, s18
; %bb.11:                               ;   in Loop: Header=BB6_4 Depth=1
	v_lshrrev_b32_e32 v3, 16, v3
	s_delay_alu instid0(VALU_DEP_1)
	v_cmp_class_f16_e64 s16, v3, 0x204
	s_and_b32 s16, s16, exec_lo
; %bb.12:                               ;   in Loop: Header=BB6_4 Depth=1
	s_or_b32 exec_lo, exec_lo, s17
	s_delay_alu instid0(SALU_CYCLE_1)
	s_and_b32 s16, s16, exec_lo
.LBB6_13:                               ;   in Loop: Header=BB6_4 Depth=1
	s_or_b32 exec_lo, exec_lo, s15
	s_delay_alu instid0(SALU_CYCLE_1)
	s_and_b32 s15, s16, exec_lo
.LBB6_14:                               ;   in Loop: Header=BB6_4 Depth=1
	s_or_b32 exec_lo, exec_lo, s14
	s_delay_alu instid0(SALU_CYCLE_1)
	s_and_b32 s14, s15, exec_lo
.LBB6_15:                               ;   in Loop: Header=BB6_4 Depth=1
	s_or_b32 exec_lo, exec_lo, s13
	s_delay_alu instid0(SALU_CYCLE_1)
	s_and_b32 s13, s14, exec_lo
.LBB6_16:                               ;   in Loop: Header=BB6_4 Depth=1
	s_or_b32 exec_lo, exec_lo, s10
	s_delay_alu instid0(SALU_CYCLE_1)
	s_and_b32 s10, s13, exec_lo
.LBB6_17:                               ;   in Loop: Header=BB6_4 Depth=1
	s_or_b32 exec_lo, exec_lo, s8
	v_cndmask_b32_e64 v3, 0, 1, s10
	s_mov_b32 s13, exec_lo
	s_delay_alu instid0(VALU_DEP_1)
	v_cmp_ne_u32_e32 vcc_lo, 0, v3
	s_and_saveexec_b32 s8, s0
	s_cbranch_execz .LBB6_3
; %bb.18:                               ;   in Loop: Header=BB6_4 Depth=1
	s_cmp_eq_u32 vcc_lo, s13
	s_cselect_b32 s10, -1, 0
	s_delay_alu instid0(SALU_CYCLE_1)
	v_cndmask_b32_e64 v3, 0, 1, s10
	ds_store_b32 v1, v3
	s_branch .LBB6_3
.LBB6_19:                               ;   in Loop: Header=BB6_4 Depth=1
	s_cbranch_execz .LBB6_4
.LBB6_20:
	s_mov_b32 s0, exec_lo
	v_cmpx_eq_u32_e32 0, v0
	s_cbranch_execz .LBB6_22
; %bb.21:
	s_mul_i32 s0, s11, s12
	v_mov_b32_e32 v1, s4
	s_add_co_i32 s0, s0, s1
	s_delay_alu instid0(SALU_CYCLE_1)
	v_mov_b32_e32 v0, s0
	global_store_b32 v0, v1, s[6:7] scale_offset
.LBB6_22:
	s_endpgm
	.section	.rodata,"a",@progbits
	.p2align	6, 0x0
	.amdhsa_kernel _ZL25flash_attn_mask_to_KV_maxILi4EEvPK7__half2Piiii
		.amdhsa_group_segment_fixed_size 128
		.amdhsa_private_segment_fixed_size 0
		.amdhsa_kernarg_size 288
		.amdhsa_user_sgpr_count 2
		.amdhsa_user_sgpr_dispatch_ptr 0
		.amdhsa_user_sgpr_queue_ptr 0
		.amdhsa_user_sgpr_kernarg_segment_ptr 1
		.amdhsa_user_sgpr_dispatch_id 0
		.amdhsa_user_sgpr_kernarg_preload_length 0
		.amdhsa_user_sgpr_kernarg_preload_offset 0
		.amdhsa_user_sgpr_private_segment_size 0
		.amdhsa_wavefront_size32 1
		.amdhsa_uses_dynamic_stack 0
		.amdhsa_enable_private_segment 0
		.amdhsa_system_sgpr_workgroup_id_x 1
		.amdhsa_system_sgpr_workgroup_id_y 1
		.amdhsa_system_sgpr_workgroup_id_z 0
		.amdhsa_system_sgpr_workgroup_info 0
		.amdhsa_system_vgpr_workitem_id 0
		.amdhsa_next_free_vgpr 6
		.amdhsa_next_free_sgpr 19
		.amdhsa_named_barrier_count 0
		.amdhsa_reserve_vcc 1
		.amdhsa_float_round_mode_32 0
		.amdhsa_float_round_mode_16_64 0
		.amdhsa_float_denorm_mode_32 3
		.amdhsa_float_denorm_mode_16_64 3
		.amdhsa_fp16_overflow 0
		.amdhsa_memory_ordered 1
		.amdhsa_forward_progress 1
		.amdhsa_inst_pref_size 6
		.amdhsa_round_robin_scheduling 0
		.amdhsa_exception_fp_ieee_invalid_op 0
		.amdhsa_exception_fp_denorm_src 0
		.amdhsa_exception_fp_ieee_div_zero 0
		.amdhsa_exception_fp_ieee_overflow 0
		.amdhsa_exception_fp_ieee_underflow 0
		.amdhsa_exception_fp_ieee_inexact 0
		.amdhsa_exception_int_div_zero 0
	.end_amdhsa_kernel
	.section	.text._ZL25flash_attn_mask_to_KV_maxILi4EEvPK7__half2Piiii,"axG",@progbits,_ZL25flash_attn_mask_to_KV_maxILi4EEvPK7__half2Piiii,comdat
.Lfunc_end6:
	.size	_ZL25flash_attn_mask_to_KV_maxILi4EEvPK7__half2Piiii, .Lfunc_end6-_ZL25flash_attn_mask_to_KV_maxILi4EEvPK7__half2Piiii
                                        ; -- End function
	.set _ZL25flash_attn_mask_to_KV_maxILi4EEvPK7__half2Piiii.num_vgpr, 6
	.set _ZL25flash_attn_mask_to_KV_maxILi4EEvPK7__half2Piiii.num_agpr, 0
	.set _ZL25flash_attn_mask_to_KV_maxILi4EEvPK7__half2Piiii.numbered_sgpr, 19
	.set _ZL25flash_attn_mask_to_KV_maxILi4EEvPK7__half2Piiii.num_named_barrier, 0
	.set _ZL25flash_attn_mask_to_KV_maxILi4EEvPK7__half2Piiii.private_seg_size, 0
	.set _ZL25flash_attn_mask_to_KV_maxILi4EEvPK7__half2Piiii.uses_vcc, 1
	.set _ZL25flash_attn_mask_to_KV_maxILi4EEvPK7__half2Piiii.uses_flat_scratch, 0
	.set _ZL25flash_attn_mask_to_KV_maxILi4EEvPK7__half2Piiii.has_dyn_sized_stack, 0
	.set _ZL25flash_attn_mask_to_KV_maxILi4EEvPK7__half2Piiii.has_recursion, 0
	.set _ZL25flash_attn_mask_to_KV_maxILi4EEvPK7__half2Piiii.has_indirect_call, 0
	.section	.AMDGPU.csdata,"",@progbits
; Kernel info:
; codeLenInByte = 748
; TotalNumSgprs: 21
; NumVgprs: 6
; ScratchSize: 0
; MemoryBound: 0
; FloatMode: 240
; IeeeMode: 1
; LDSByteSize: 128 bytes/workgroup (compile time only)
; SGPRBlocks: 0
; VGPRBlocks: 0
; NumSGPRsForWavesPerEU: 21
; NumVGPRsForWavesPerEU: 6
; NamedBarCnt: 0
; Occupancy: 16
; WaveLimiterHint : 0
; COMPUTE_PGM_RSRC2:SCRATCH_EN: 0
; COMPUTE_PGM_RSRC2:USER_SGPR: 2
; COMPUTE_PGM_RSRC2:TRAP_HANDLER: 0
; COMPUTE_PGM_RSRC2:TGID_X_EN: 1
; COMPUTE_PGM_RSRC2:TGID_Y_EN: 1
; COMPUTE_PGM_RSRC2:TGID_Z_EN: 0
; COMPUTE_PGM_RSRC2:TIDIG_COMP_CNT: 0
	.section	.text._ZL33flash_attn_stream_k_fixup_uniformILi64ELi4ELi8EEvPfPK15HIP_vector_typeIfLj2EEiiiiiiS1_IjLj3EES5_S5_,"axG",@progbits,_ZL33flash_attn_stream_k_fixup_uniformILi64ELi4ELi8EEvPfPK15HIP_vector_typeIfLj2EEiiiiiiS1_IjLj3EES5_S5_,comdat
	.globl	_ZL33flash_attn_stream_k_fixup_uniformILi64ELi4ELi8EEvPfPK15HIP_vector_typeIfLj2EEiiiiiiS1_IjLj3EES5_S5_ ; -- Begin function _ZL33flash_attn_stream_k_fixup_uniformILi64ELi4ELi8EEvPfPK15HIP_vector_typeIfLj2EEiiiiiiS1_IjLj3EES5_S5_
	.p2align	8
	.type	_ZL33flash_attn_stream_k_fixup_uniformILi64ELi4ELi8EEvPfPK15HIP_vector_typeIfLj2EEiiiiiiS1_IjLj3EES5_S5_,@function
_ZL33flash_attn_stream_k_fixup_uniformILi64ELi4ELi8EEvPfPK15HIP_vector_typeIfLj2EEiiiiiiS1_IjLj3EES5_S5_: ; @_ZL33flash_attn_stream_k_fixup_uniformILi64ELi4ELi8EEvPfPK15HIP_vector_typeIfLj2EEiiiiiiS1_IjLj3EES5_S5_
; %bb.0:
	s_load_b256 s[4:11], s[0:1], 0x1c
	s_bfe_u32 s2, ttmp6, 0x40014
	s_lshr_b32 s3, ttmp7, 16
	s_add_co_i32 s2, s2, 1
	s_bfe_u32 s13, ttmp6, 0x40010
	s_mul_i32 s2, s3, s2
	s_bfe_u32 s12, ttmp6, 0x40008
	s_and_b32 s15, ttmp7, 0xffff
	s_add_co_i32 s13, s13, 1
	s_bfe_u32 s14, ttmp6, 0x4000c
	s_add_co_i32 s12, s12, s2
	s_mul_i32 s2, s15, s13
	s_bfe_u32 s13, ttmp6, 0x40004
	s_add_co_i32 s14, s14, 1
	s_add_co_i32 s13, s13, s2
	s_and_b32 s2, ttmp6, 15
	s_mul_i32 s14, ttmp9, s14
	s_getreg_b32 s20, hwreg(HW_REG_IB_STS2, 6, 4)
	s_add_co_i32 s2, s2, s14
	s_load_b128 s[16:19], s[0:1], 0x3c
	s_cmp_eq_u32 s20, 0
	s_cselect_b32 s14, ttmp9, s2
	s_cselect_b32 s13, s15, s13
	s_wait_kmcnt 0x0
	s_mul_hi_u32 s2, s7, s14
	s_cselect_b32 s12, s3, s12
	s_add_co_i32 s2, s14, s2
	s_delay_alu instid0(SALU_CYCLE_1) | instskip(NEXT) | instid1(SALU_CYCLE_1)
	s_lshr_b32 s7, s2, s8
	s_mul_i32 s2, s7, s9
	s_delay_alu instid0(SALU_CYCLE_1) | instskip(NEXT) | instid1(SALU_CYCLE_1)
	s_sub_co_i32 s8, s14, s2
	s_mul_hi_u32 s2, s8, s10
	s_delay_alu instid0(SALU_CYCLE_1) | instskip(SKIP_2) | instid1(SALU_CYCLE_1)
	s_add_co_i32 s9, s8, s2
	s_load_b64 s[2:3], s[0:1], 0x10
	s_lshr_b32 s15, s9, s11
	s_mul_i32 s9, s15, s16
	s_delay_alu instid0(SALU_CYCLE_1) | instskip(NEXT) | instid1(SALU_CYCLE_1)
	s_sub_co_i32 s8, s8, s9
	s_mul_hi_u32 s9, s8, s17
	s_delay_alu instid0(SALU_CYCLE_1) | instskip(NEXT) | instid1(SALU_CYCLE_1)
	s_add_co_i32 s9, s8, s9
	s_lshr_b32 s9, s9, s18
	s_delay_alu instid0(SALU_CYCLE_1) | instskip(SKIP_2) | instid1(SALU_CYCLE_1)
	s_mul_i32 s10, s9, s19
	s_lshl_b32 s17, s9, 3
	s_sub_co_i32 s16, s8, s10
	s_lshl_b32 s8, s16, 2
	s_delay_alu instid0(SALU_CYCLE_1) | instskip(SKIP_4) | instid1(SALU_CYCLE_1)
	s_add_co_i32 s8, s8, s13
	s_wait_kmcnt 0x0
	s_cmp_lt_i32 s8, s2
	s_cselect_b32 s8, -1, 0
	s_add_co_i32 s9, s17, s12
	s_cmp_lt_i32 s9, s5
	s_cselect_b32 s9, -1, 0
	s_delay_alu instid0(SALU_CYCLE_1) | instskip(NEXT) | instid1(SALU_CYCLE_1)
	s_and_b32 s8, s8, s9
	s_and_not1_b32 vcc_lo, exec_lo, s8
	s_cbranch_vccnz .LBB7_6
; %bb.1:
	s_mul_i32 s2, s7, s2
	s_load_b128 s[8:11], s[0:1], 0x0
	s_wait_xcnt 0x0
	s_add_co_i32 s0, s2, s13
	s_mul_i32 s15, s15, s5
	s_mul_i32 s0, s0, s3
	;; [unrolled: 1-line block ×3, first 2 shown]
	s_add_co_i32 s0, s0, s12
	s_lshl_b32 s1, s1, 8
	s_add_co_i32 s0, s0, s15
	s_mul_i32 s7, s6, s14
	s_add_co_i32 s0, s0, s17
	s_lshl_b32 s5, s13, 3
	s_lshl_b32 s0, s0, 6
	s_add_co_i32 s15, s7, s6
	s_add_co_i32 s1, s1, s0
	;; [unrolled: 1-line block ×3, first 2 shown]
	v_or_b32_e32 v4, s1, v0
	s_lshl_b32 s1, s15, 5
	s_add_co_i32 s2, s15, -2
	s_add_co_i32 s0, s0, s1
	s_delay_alu instid0(SALU_CYCLE_1)
	s_sub_co_i32 s0, s0, 32
	s_wait_kmcnt 0x0
	global_load_b32 v3, v4, s[8:9] scale_offset
	s_ashr_i32 s1, s0, 31
	v_ashrrev_i32_e32 v5, 31, v4
	s_lshl_b64 s[0:1], s[0:1], 3
	s_cmp_lt_i32 s2, s7
	s_add_nc_u64 s[0:1], s[10:11], s[0:1]
	s_load_b32 s16, s[0:1], 0x4
	s_cbranch_scc1 .LBB7_4
; %bb.2:
	s_wait_xcnt 0x0
	s_load_b32 s0, s[0:1], 0x0
	s_add_co_i32 s14, s14, 1
	s_lshl_b32 s3, s13, 9
	s_wait_xcnt 0x0
	s_mul_i32 s1, s6, s14
	s_lshl_b32 s6, s12, 6
	s_lshl_b32 s13, s1, 11
	s_add_co_i32 s6, s6, s3
	s_lshl_b32 s1, s1, 5
	s_add_co_i32 s6, s6, s13
	s_lshl_b32 s2, s4, 7
	s_wait_kmcnt 0x0
	v_dual_mov_b32 v2, s16 :: v_dual_bitop2_b32 v0, s6, v0 bitop3:0x54
	s_add_co_i32 s1, s12, s1
	s_lshl_b32 s4, s4, 5
	s_ashr_i32 s3, s2, 31
	s_add_co_i32 s1, s1, s4
	v_add_nc_u32_e32 v0, 0xfffff000, v0
	s_lshl_b64 s[2:3], s[2:3], 2
	s_add_co_i32 s4, s1, s5
	s_add_nc_u64 s[2:3], s[10:11], s[2:3]
	s_add_co_i32 s1, s15, -1
	s_sub_co_i32 s4, s4, 64
.LBB7_3:                                ; =>This Inner Loop Header: Depth=1
	global_load_b32 v7, v0, s[2:3] scale_offset
	s_ashr_i32 s5, s4, 31
	v_max_num_f32_e64 v1, s0, s0
	s_lshl_b64 s[12:13], s[4:5], 3
	s_delay_alu instid0(SALU_CYCLE_1) | instskip(SKIP_1) | instid1(VALU_DEP_1)
	s_add_nc_u64 s[12:13], s[10:11], s[12:13]
	s_load_b64 s[12:13], s[12:13], 0x0
	v_readfirstlane_b32 s5, v1
	v_add_nc_u32_e32 v0, 0xfffff800, v0
	s_wait_kmcnt 0x0
	v_max_num_f32_e64 v1, s12, s12
	s_delay_alu instid0(VALU_DEP_1) | instskip(SKIP_1) | instid1(SALU_CYCLE_3)
	v_readfirstlane_b32 s6, v1
	s_max_num_f32 s5, s5, s6
	s_sub_f32 s0, s0, s5
	s_sub_f32 s6, s12, s5
	s_delay_alu instid0(SALU_CYCLE_2) | instskip(NEXT) | instid1(SALU_CYCLE_2)
	s_mul_f32 s12, s0, 0x3fb8aa3b
	s_mul_f32 s14, s6, 0x3fb8aa3b
	s_delay_alu instid0(SALU_CYCLE_2)
	s_xor_b32 s15, s12, 0x80000000
	s_rndne_f32 s16, s12
	s_fmamk_f32 s15, s0, 0x3fb8aa3b, s15
	s_cmp_nlt_f32 s0, 0xc2ce8ed0
	s_rndne_f32 s17, s14
	s_sub_f32 s12, s12, s16
	s_fmamk_f32 s15, s0, 0x32a5705f, s15
	s_cselect_b32 vcc_lo, -1, 0
	s_cmp_ngt_f32 s0, 0x42b17218
	s_delay_alu instid0(SALU_CYCLE_1) | instskip(SKIP_2) | instid1(SALU_CYCLE_1)
	s_add_f32 s12, s12, s15
	s_cvt_i32_f32 s15, s16
	s_sub_f32 s16, s14, s17
	v_s_exp_f32 s12, s12
	v_nop
	s_delay_alu instid0(TRANS32_DEP_1) | instskip(SKIP_1) | instid1(VALU_DEP_1)
	v_ldexp_f32 v1, s12, s15
	s_cvt_i32_f32 s12, s17
	v_cndmask_b32_e32 v1, 0, v1, vcc_lo
	s_cselect_b32 vcc_lo, -1, 0
	s_cmp_ge_f32 s0, 0xc1a00000
	s_delay_alu instid0(VALU_DEP_1)
	v_cndmask_b32_e32 v1, 0x7f800000, v1, vcc_lo
	s_cselect_b32 vcc_lo, -1, 0
	s_xor_b32 s0, s14, 0x80000000
	s_cmp_nlt_f32 s6, 0xc2ce8ed0
	s_fmamk_f32 s0, s6, 0x3fb8aa3b, s0
	v_cndmask_b32_e32 v10, 0, v1, vcc_lo
	s_delay_alu instid0(SALU_CYCLE_2) | instskip(NEXT) | instid1(SALU_CYCLE_3)
	s_fmamk_f32 s0, s6, 0x32a5705f, s0
	s_add_f32 s0, s16, s0
	s_delay_alu instid0(SALU_CYCLE_3) | instskip(SKIP_1) | instid1(TRANS32_DEP_1)
	v_s_exp_f32 s0, s0
	v_nop
	v_ldexp_f32 v6, s0, s12
	s_cselect_b32 s0, -1, 0
	s_cmp_ngt_f32 s6, 0x42b17218
	s_delay_alu instid0(VALU_DEP_1) | instskip(SKIP_2) | instid1(VALU_DEP_1)
	v_cndmask_b32_e64 v6, 0, v6, s0
	s_cselect_b32 s0, -1, 0
	s_cmp_ge_f32 s6, 0xc1a00000
	v_cndmask_b32_e64 v8, 0x7f800000, v6, s0
	s_cselect_b32 s0, -1, 0
	v_mov_b32_e32 v6, s13
	s_add_co_i32 s1, s1, -1
	s_sub_co_i32 s4, s4, 32
	v_cndmask_b32_e64 v8, 0, v8, s0
	s_cmp_le_i32 s1, s7
	s_mov_b32 s0, s5
	s_wait_loadcnt 0x0
	s_delay_alu instid0(VALU_DEP_1) | instskip(NEXT) | instid1(VALU_DEP_1)
	v_pk_mul_f32 v[6:7], v[6:7], v[8:9] op_sel_hi:[1,0]
	v_pk_fma_f32 v[2:3], v[2:3], v[10:11], v[6:7] op_sel_hi:[1,0,1]
	s_cbranch_scc0 .LBB7_3
	s_branch .LBB7_5
.LBB7_4:
	s_wait_kmcnt 0x0
	v_mov_b32_e32 v2, s16
.LBB7_5:
	v_lshl_add_u64 v[0:1], v[4:5], 2, s[8:9]
	s_wait_loadcnt 0x0
	s_delay_alu instid0(VALU_DEP_2) | instskip(NEXT) | instid1(VALU_DEP_1)
	v_div_scale_f32 v4, null, v2, v2, v3
	v_rcp_f32_e32 v5, v4
	v_nop
	s_delay_alu instid0(TRANS32_DEP_1) | instskip(NEXT) | instid1(VALU_DEP_1)
	v_fma_f32 v6, -v4, v5, 1.0
	v_fmac_f32_e32 v5, v6, v5
	v_div_scale_f32 v6, vcc_lo, v3, v2, v3
	s_delay_alu instid0(VALU_DEP_1) | instskip(NEXT) | instid1(VALU_DEP_1)
	v_mul_f32_e32 v7, v6, v5
	v_fma_f32 v8, -v4, v7, v6
	s_delay_alu instid0(VALU_DEP_1) | instskip(NEXT) | instid1(VALU_DEP_1)
	v_fmac_f32_e32 v7, v8, v5
	v_fma_f32 v4, -v4, v7, v6
	s_delay_alu instid0(VALU_DEP_1) | instskip(NEXT) | instid1(VALU_DEP_1)
	v_div_fmas_f32 v4, v4, v5, v7
	v_div_fixup_f32 v2, v4, v2, v3
	global_store_b32 v[0:1], v2, off
.LBB7_6:
	s_endpgm
	.section	.rodata,"a",@progbits
	.p2align	6, 0x0
	.amdhsa_kernel _ZL33flash_attn_stream_k_fixup_uniformILi64ELi4ELi8EEvPfPK15HIP_vector_typeIfLj2EEiiiiiiS1_IjLj3EES5_S5_
		.amdhsa_group_segment_fixed_size 0
		.amdhsa_private_segment_fixed_size 0
		.amdhsa_kernarg_size 76
		.amdhsa_user_sgpr_count 2
		.amdhsa_user_sgpr_dispatch_ptr 0
		.amdhsa_user_sgpr_queue_ptr 0
		.amdhsa_user_sgpr_kernarg_segment_ptr 1
		.amdhsa_user_sgpr_dispatch_id 0
		.amdhsa_user_sgpr_kernarg_preload_length 0
		.amdhsa_user_sgpr_kernarg_preload_offset 0
		.amdhsa_user_sgpr_private_segment_size 0
		.amdhsa_wavefront_size32 1
		.amdhsa_uses_dynamic_stack 0
		.amdhsa_enable_private_segment 0
		.amdhsa_system_sgpr_workgroup_id_x 1
		.amdhsa_system_sgpr_workgroup_id_y 1
		.amdhsa_system_sgpr_workgroup_id_z 1
		.amdhsa_system_sgpr_workgroup_info 0
		.amdhsa_system_vgpr_workitem_id 0
		.amdhsa_next_free_vgpr 12
		.amdhsa_next_free_sgpr 21
		.amdhsa_named_barrier_count 0
		.amdhsa_reserve_vcc 1
		.amdhsa_float_round_mode_32 0
		.amdhsa_float_round_mode_16_64 0
		.amdhsa_float_denorm_mode_32 3
		.amdhsa_float_denorm_mode_16_64 3
		.amdhsa_fp16_overflow 0
		.amdhsa_memory_ordered 1
		.amdhsa_forward_progress 1
		.amdhsa_inst_pref_size 9
		.amdhsa_round_robin_scheduling 0
		.amdhsa_exception_fp_ieee_invalid_op 0
		.amdhsa_exception_fp_denorm_src 0
		.amdhsa_exception_fp_ieee_div_zero 0
		.amdhsa_exception_fp_ieee_overflow 0
		.amdhsa_exception_fp_ieee_underflow 0
		.amdhsa_exception_fp_ieee_inexact 0
		.amdhsa_exception_int_div_zero 0
	.end_amdhsa_kernel
	.section	.text._ZL33flash_attn_stream_k_fixup_uniformILi64ELi4ELi8EEvPfPK15HIP_vector_typeIfLj2EEiiiiiiS1_IjLj3EES5_S5_,"axG",@progbits,_ZL33flash_attn_stream_k_fixup_uniformILi64ELi4ELi8EEvPfPK15HIP_vector_typeIfLj2EEiiiiiiS1_IjLj3EES5_S5_,comdat
.Lfunc_end7:
	.size	_ZL33flash_attn_stream_k_fixup_uniformILi64ELi4ELi8EEvPfPK15HIP_vector_typeIfLj2EEiiiiiiS1_IjLj3EES5_S5_, .Lfunc_end7-_ZL33flash_attn_stream_k_fixup_uniformILi64ELi4ELi8EEvPfPK15HIP_vector_typeIfLj2EEiiiiiiS1_IjLj3EES5_S5_
                                        ; -- End function
	.set _ZL33flash_attn_stream_k_fixup_uniformILi64ELi4ELi8EEvPfPK15HIP_vector_typeIfLj2EEiiiiiiS1_IjLj3EES5_S5_.num_vgpr, 12
	.set _ZL33flash_attn_stream_k_fixup_uniformILi64ELi4ELi8EEvPfPK15HIP_vector_typeIfLj2EEiiiiiiS1_IjLj3EES5_S5_.num_agpr, 0
	.set _ZL33flash_attn_stream_k_fixup_uniformILi64ELi4ELi8EEvPfPK15HIP_vector_typeIfLj2EEiiiiiiS1_IjLj3EES5_S5_.numbered_sgpr, 21
	.set _ZL33flash_attn_stream_k_fixup_uniformILi64ELi4ELi8EEvPfPK15HIP_vector_typeIfLj2EEiiiiiiS1_IjLj3EES5_S5_.num_named_barrier, 0
	.set _ZL33flash_attn_stream_k_fixup_uniformILi64ELi4ELi8EEvPfPK15HIP_vector_typeIfLj2EEiiiiiiS1_IjLj3EES5_S5_.private_seg_size, 0
	.set _ZL33flash_attn_stream_k_fixup_uniformILi64ELi4ELi8EEvPfPK15HIP_vector_typeIfLj2EEiiiiiiS1_IjLj3EES5_S5_.uses_vcc, 1
	.set _ZL33flash_attn_stream_k_fixup_uniformILi64ELi4ELi8EEvPfPK15HIP_vector_typeIfLj2EEiiiiiiS1_IjLj3EES5_S5_.uses_flat_scratch, 0
	.set _ZL33flash_attn_stream_k_fixup_uniformILi64ELi4ELi8EEvPfPK15HIP_vector_typeIfLj2EEiiiiiiS1_IjLj3EES5_S5_.has_dyn_sized_stack, 0
	.set _ZL33flash_attn_stream_k_fixup_uniformILi64ELi4ELi8EEvPfPK15HIP_vector_typeIfLj2EEiiiiiiS1_IjLj3EES5_S5_.has_recursion, 0
	.set _ZL33flash_attn_stream_k_fixup_uniformILi64ELi4ELi8EEvPfPK15HIP_vector_typeIfLj2EEiiiiiiS1_IjLj3EES5_S5_.has_indirect_call, 0
	.section	.AMDGPU.csdata,"",@progbits
; Kernel info:
; codeLenInByte = 1092
; TotalNumSgprs: 23
; NumVgprs: 12
; ScratchSize: 0
; MemoryBound: 0
; FloatMode: 240
; IeeeMode: 1
; LDSByteSize: 0 bytes/workgroup (compile time only)
; SGPRBlocks: 0
; VGPRBlocks: 0
; NumSGPRsForWavesPerEU: 23
; NumVGPRsForWavesPerEU: 12
; NamedBarCnt: 0
; Occupancy: 16
; WaveLimiterHint : 0
; COMPUTE_PGM_RSRC2:SCRATCH_EN: 0
; COMPUTE_PGM_RSRC2:USER_SGPR: 2
; COMPUTE_PGM_RSRC2:TRAP_HANDLER: 0
; COMPUTE_PGM_RSRC2:TGID_X_EN: 1
; COMPUTE_PGM_RSRC2:TGID_Y_EN: 1
; COMPUTE_PGM_RSRC2:TGID_Z_EN: 1
; COMPUTE_PGM_RSRC2:TIDIG_COMP_CNT: 0
	.section	.text._ZL33flash_attn_stream_k_fixup_generalILi64ELi4ELi8EEvPfPK15HIP_vector_typeIfLj2EEiiiiS1_IjLj3EES5_S5_S5_,"axG",@progbits,_ZL33flash_attn_stream_k_fixup_generalILi64ELi4ELi8EEvPfPK15HIP_vector_typeIfLj2EEiiiiS1_IjLj3EES5_S5_S5_,comdat
	.globl	_ZL33flash_attn_stream_k_fixup_generalILi64ELi4ELi8EEvPfPK15HIP_vector_typeIfLj2EEiiiiS1_IjLj3EES5_S5_S5_ ; -- Begin function _ZL33flash_attn_stream_k_fixup_generalILi64ELi4ELi8EEvPfPK15HIP_vector_typeIfLj2EEiiiiS1_IjLj3EES5_S5_S5_
	.p2align	8
	.type	_ZL33flash_attn_stream_k_fixup_generalILi64ELi4ELi8EEvPfPK15HIP_vector_typeIfLj2EEiiiiS1_IjLj3EES5_S5_S5_,@function
_ZL33flash_attn_stream_k_fixup_generalILi64ELi4ELi8EEvPfPK15HIP_vector_typeIfLj2EEiiiiS1_IjLj3EES5_S5_S5_: ; @_ZL33flash_attn_stream_k_fixup_generalILi64ELi4ELi8EEvPfPK15HIP_vector_typeIfLj2EEiiiiS1_IjLj3EES5_S5_S5_
; %bb.0:
	s_clause 0x1
	s_load_b128 s[4:7], s[0:1], 0x10
	s_load_b32 s16, s[0:1], 0x50
	s_bfe_u32 s2, ttmp6, 0x4000c
	s_and_b32 s3, ttmp6, 15
	s_add_co_i32 s2, s2, 1
	s_getreg_b32 s15, hwreg(HW_REG_IB_STS2, 6, 4)
	s_mul_i32 s2, ttmp9, s2
	s_mov_b32 s17, 0
	s_add_co_i32 s3, s3, s2
	s_cmp_eq_u32 s15, 0
	s_cselect_b32 s2, ttmp9, s3
	s_delay_alu instid0(SALU_CYCLE_1) | instskip(SKIP_3) | instid1(SALU_CYCLE_1)
	s_ashr_i32 s3, s2, 31
	s_wait_kmcnt 0x0
	s_ashr_i32 s19, s7, 31
	s_mov_b32 s18, s7
	s_mul_u64 s[8:9], s[18:19], s[2:3]
	s_delay_alu instid0(SALU_CYCLE_1) | instskip(NEXT) | instid1(SALU_CYCLE_1)
	s_and_b64 s[10:11], s[8:9], 0xffffffff00000000
	s_cmp_lg_u64 s[10:11], 0
	s_cbranch_scc0 .LBB8_21
; %bb.1:
	s_add_nc_u64 s[10:11], s[16:17], 0
	s_mov_b32 s23, s17
	s_xor_b64 s[10:11], s[10:11], 0
	s_mov_b32 s27, s17
	s_cvt_f32_u32 s3, s10
	s_cvt_f32_u32 s7, s11
	s_sub_nc_u64 s[20:21], 0, s[10:11]
	s_delay_alu instid0(SALU_CYCLE_2) | instskip(NEXT) | instid1(SALU_CYCLE_3)
	s_fmamk_f32 s3, s7, 0x4f800000, s3
	v_s_rcp_f32 s3, s3
	s_delay_alu instid0(TRANS32_DEP_1) | instskip(NEXT) | instid1(SALU_CYCLE_3)
	s_mul_f32 s3, s3, 0x5f7ffffc
	s_mul_f32 s7, s3, 0x2f800000
	s_delay_alu instid0(SALU_CYCLE_3) | instskip(NEXT) | instid1(SALU_CYCLE_3)
	s_trunc_f32 s7, s7
	s_fmamk_f32 s3, s7, 0xcf800000, s3
	s_cvt_u32_f32 s13, s7
	s_delay_alu instid0(SALU_CYCLE_2) | instskip(NEXT) | instid1(SALU_CYCLE_3)
	s_cvt_u32_f32 s12, s3
	s_mul_u64 s[24:25], s[20:21], s[12:13]
	s_delay_alu instid0(SALU_CYCLE_1)
	s_mul_hi_u32 s29, s12, s25
	s_mul_i32 s28, s12, s25
	s_mul_hi_u32 s22, s12, s24
	s_mul_i32 s7, s13, s24
	s_add_nc_u64 s[22:23], s[22:23], s[28:29]
	s_mul_hi_u32 s3, s13, s24
	s_mul_hi_u32 s14, s13, s25
	s_add_co_u32 s7, s22, s7
	s_add_co_ci_u32 s26, s23, s3
	s_mul_i32 s24, s13, s25
	s_add_co_ci_u32 s25, s14, 0
	s_delay_alu instid0(SALU_CYCLE_1) | instskip(SKIP_3) | instid1(SALU_CYCLE_1)
	s_add_nc_u64 s[22:23], s[26:27], s[24:25]
	s_mov_b32 s25, s17
	s_add_co_u32 s12, s12, s22
	s_cselect_b32 s3, -1, 0
	s_cmp_lg_u32 s3, 0
	s_add_co_ci_u32 s13, s13, s23
	s_mov_b32 s23, s17
	s_mul_u64 s[20:21], s[20:21], s[12:13]
	s_delay_alu instid0(SALU_CYCLE_1)
	s_mul_hi_u32 s27, s12, s21
	s_mul_i32 s26, s12, s21
	s_mul_hi_u32 s22, s12, s20
	s_mul_i32 s7, s13, s20
	s_add_nc_u64 s[22:23], s[22:23], s[26:27]
	s_mul_hi_u32 s3, s13, s20
	s_mul_hi_u32 s14, s13, s21
	s_add_co_u32 s7, s22, s7
	s_add_co_ci_u32 s24, s23, s3
	s_mul_i32 s20, s13, s21
	s_add_co_ci_u32 s21, s14, 0
	s_mov_b32 s23, s17
	s_add_nc_u64 s[20:21], s[24:25], s[20:21]
	s_delay_alu instid0(SALU_CYCLE_1) | instskip(SKIP_1) | instid1(SALU_CYCLE_1)
	s_add_co_u32 s3, s12, s20
	s_cselect_b32 s7, -1, 0
	s_cmp_lg_u32 s7, 0
	s_add_co_ci_u32 s7, s13, s21
	s_ashr_i32 s12, s9, 31
	s_delay_alu instid0(SALU_CYCLE_1) | instskip(NEXT) | instid1(SALU_CYCLE_1)
	s_mov_b32 s13, s12
	s_add_nc_u64 s[20:21], s[8:9], s[12:13]
	s_delay_alu instid0(SALU_CYCLE_1) | instskip(NEXT) | instid1(SALU_CYCLE_1)
	s_xor_b64 s[20:21], s[20:21], s[12:13]
	s_mul_hi_u32 s27, s20, s7
	s_mul_i32 s26, s20, s7
	s_mul_hi_u32 s22, s20, s3
	s_mul_hi_u32 s14, s21, s3
	s_mul_i32 s3, s21, s3
	s_add_nc_u64 s[22:23], s[22:23], s[26:27]
	s_mul_hi_u32 s9, s21, s7
	s_add_co_u32 s3, s22, s3
	s_add_co_ci_u32 s24, s23, s14
	s_mul_i32 s26, s21, s7
	s_add_co_ci_u32 s27, s9, 0
	s_delay_alu instid0(SALU_CYCLE_1) | instskip(NEXT) | instid1(SALU_CYCLE_1)
	s_add_nc_u64 s[22:23], s[24:25], s[26:27]
	s_and_b64 s[24:25], s[22:23], 0xffffffff00000000
	s_delay_alu instid0(SALU_CYCLE_1) | instskip(NEXT) | instid1(SALU_CYCLE_1)
	s_or_b32 s24, s24, s22
	s_mul_u64 s[22:23], s[10:11], s[24:25]
	s_add_nc_u64 s[26:27], s[24:25], 1
	s_sub_co_u32 s3, s20, s22
	s_cselect_b32 s7, -1, 0
	s_sub_co_i32 s9, s21, s23
	s_cmp_lg_u32 s7, 0
	s_add_nc_u64 s[28:29], s[24:25], 2
	s_sub_co_ci_u32 s9, s9, s11
	s_sub_co_u32 s14, s3, s10
	s_cselect_b32 s20, -1, 0
	s_delay_alu instid0(SALU_CYCLE_1) | instskip(SKIP_1) | instid1(SALU_CYCLE_1)
	s_cmp_lg_u32 s20, 0
	s_sub_co_ci_u32 s9, s9, 0
	s_cmp_ge_u32 s9, s11
	s_cselect_b32 s20, -1, 0
	s_cmp_ge_u32 s14, s10
	s_cselect_b32 s14, -1, 0
	s_cmp_eq_u32 s9, s11
	s_cselect_b32 s9, s14, s20
	s_delay_alu instid0(SALU_CYCLE_1) | instskip(SKIP_4) | instid1(SALU_CYCLE_1)
	s_cmp_lg_u32 s9, 0
	s_cselect_b32 s9, s28, s26
	s_cselect_b32 s14, s29, s27
	s_cmp_lg_u32 s7, 0
	s_sub_co_ci_u32 s7, s21, s23
	s_cmp_ge_u32 s7, s11
	s_cselect_b32 s20, -1, 0
	s_cmp_ge_u32 s3, s10
	s_cselect_b32 s3, -1, 0
	s_cmp_eq_u32 s7, s11
	s_cselect_b32 s3, s3, s20
	s_delay_alu instid0(SALU_CYCLE_1) | instskip(SKIP_4) | instid1(SALU_CYCLE_1)
	s_cmp_lg_u32 s3, 0
	s_mov_b32 s3, s17
	s_cselect_b32 s11, s14, s25
	s_cselect_b32 s10, s9, s24
	s_xor_b64 s[12:13], s[12:13], 0
	s_xor_b64 s[10:11], s[10:11], s[12:13]
	s_delay_alu instid0(SALU_CYCLE_1)
	s_sub_nc_u64 s[20:21], s[10:11], s[12:13]
	s_and_not1_b32 vcc_lo, exec_lo, s3
	s_cbranch_vccnz .LBB8_3
.LBB8_2:
	v_cvt_f32_u32_e32 v1, s16
	s_sub_co_i32 s7, 0, s16
	s_mov_b32 s21, 0
	s_delay_alu instid0(VALU_DEP_1) | instskip(SKIP_1) | instid1(TRANS32_DEP_1)
	v_rcp_iflag_f32_e32 v1, v1
	v_nop
	v_mul_f32_e32 v1, 0x4f7ffffe, v1
	s_delay_alu instid0(VALU_DEP_1) | instskip(NEXT) | instid1(VALU_DEP_1)
	v_cvt_u32_f32_e32 v1, v1
	v_readfirstlane_b32 s3, v1
	s_mul_i32 s7, s7, s3
	s_delay_alu instid0(SALU_CYCLE_1) | instskip(NEXT) | instid1(SALU_CYCLE_1)
	s_mul_hi_u32 s7, s3, s7
	s_add_co_i32 s3, s3, s7
	s_delay_alu instid0(SALU_CYCLE_1) | instskip(NEXT) | instid1(SALU_CYCLE_1)
	s_mul_hi_u32 s3, s8, s3
	s_mul_i32 s7, s3, s16
	s_delay_alu instid0(SALU_CYCLE_1)
	s_sub_co_i32 s7, s8, s7
	s_add_co_i32 s8, s3, 1
	s_sub_co_i32 s9, s7, s16
	s_cmp_ge_u32 s7, s16
	s_cselect_b32 s3, s8, s3
	s_cselect_b32 s7, s9, s7
	s_add_co_i32 s8, s3, 1
	s_cmp_ge_u32 s7, s16
	s_cselect_b32 s20, s8, s3
.LBB8_3:
	s_add_co_i32 s8, s2, 1
	s_delay_alu instid0(SALU_CYCLE_1) | instskip(NEXT) | instid1(SALU_CYCLE_1)
	s_ashr_i32 s9, s8, 31
	s_mul_u64 s[8:9], s[18:19], s[8:9]
	s_delay_alu instid0(SALU_CYCLE_1) | instskip(NEXT) | instid1(SALU_CYCLE_1)
	s_and_b64 s[10:11], s[8:9], 0xffffffff00000000
	s_cmp_lg_u64 s[10:11], 0
	s_cbranch_scc0 .LBB8_22
; %bb.4:
	s_add_nc_u64 s[10:11], s[16:17], 0
	s_delay_alu instid0(SALU_CYCLE_1) | instskip(SKIP_4) | instid1(SALU_CYCLE_2)
	s_xor_b64 s[12:13], s[10:11], 0
	s_mov_b32 s11, 0
	s_cvt_f32_u32 s3, s12
	s_cvt_f32_u32 s7, s13
	s_sub_nc_u64 s[24:25], 0, s[12:13]
	s_fmamk_f32 s3, s7, 0x4f800000, s3
	s_delay_alu instid0(SALU_CYCLE_3) | instskip(NEXT) | instid1(TRANS32_DEP_1)
	v_s_rcp_f32 s3, s3
	s_mul_f32 s3, s3, 0x5f7ffffc
	s_delay_alu instid0(SALU_CYCLE_3) | instskip(NEXT) | instid1(SALU_CYCLE_3)
	s_mul_f32 s7, s3, 0x2f800000
	s_trunc_f32 s7, s7
	s_delay_alu instid0(SALU_CYCLE_3) | instskip(SKIP_1) | instid1(SALU_CYCLE_2)
	s_fmamk_f32 s3, s7, 0xcf800000, s3
	s_cvt_u32_f32 s23, s7
	s_cvt_u32_f32 s22, s3
	s_delay_alu instid0(SALU_CYCLE_3) | instskip(NEXT) | instid1(SALU_CYCLE_1)
	s_mul_u64 s[26:27], s[24:25], s[22:23]
	s_mul_hi_u32 s29, s22, s27
	s_mul_i32 s28, s22, s27
	s_mul_hi_u32 s10, s22, s26
	s_mul_i32 s7, s23, s26
	s_add_nc_u64 s[28:29], s[10:11], s[28:29]
	s_mul_hi_u32 s3, s23, s26
	s_mul_hi_u32 s14, s23, s27
	s_add_co_u32 s7, s28, s7
	s_add_co_ci_u32 s10, s29, s3
	s_mul_i32 s26, s23, s27
	s_add_co_ci_u32 s27, s14, 0
	s_delay_alu instid0(SALU_CYCLE_1) | instskip(NEXT) | instid1(SALU_CYCLE_1)
	s_add_nc_u64 s[26:27], s[10:11], s[26:27]
	s_add_co_u32 s22, s22, s26
	s_cselect_b32 s3, -1, 0
	s_delay_alu instid0(SALU_CYCLE_1) | instskip(SKIP_1) | instid1(SALU_CYCLE_1)
	s_cmp_lg_u32 s3, 0
	s_add_co_ci_u32 s23, s23, s27
	s_mul_u64 s[24:25], s[24:25], s[22:23]
	s_delay_alu instid0(SALU_CYCLE_1)
	s_mul_hi_u32 s27, s22, s25
	s_mul_i32 s26, s22, s25
	s_mul_hi_u32 s10, s22, s24
	s_mul_i32 s7, s23, s24
	s_add_nc_u64 s[26:27], s[10:11], s[26:27]
	s_mul_hi_u32 s3, s23, s24
	s_mul_hi_u32 s14, s23, s25
	s_add_co_u32 s7, s26, s7
	s_add_co_ci_u32 s10, s27, s3
	s_mul_i32 s24, s23, s25
	s_add_co_ci_u32 s25, s14, 0
	s_delay_alu instid0(SALU_CYCLE_1) | instskip(NEXT) | instid1(SALU_CYCLE_1)
	s_add_nc_u64 s[24:25], s[10:11], s[24:25]
	s_add_co_u32 s3, s22, s24
	s_cselect_b32 s7, -1, 0
	s_delay_alu instid0(SALU_CYCLE_1) | instskip(SKIP_2) | instid1(SALU_CYCLE_1)
	s_cmp_lg_u32 s7, 0
	s_add_co_ci_u32 s7, s23, s25
	s_ashr_i32 s22, s9, 31
	s_mov_b32 s23, s22
	s_delay_alu instid0(SALU_CYCLE_1) | instskip(NEXT) | instid1(SALU_CYCLE_1)
	s_add_nc_u64 s[24:25], s[8:9], s[22:23]
	s_xor_b64 s[24:25], s[24:25], s[22:23]
	s_delay_alu instid0(SALU_CYCLE_1)
	s_mul_hi_u32 s27, s24, s7
	s_mul_i32 s26, s24, s7
	s_mul_hi_u32 s10, s24, s3
	s_mul_hi_u32 s14, s25, s3
	s_mul_i32 s3, s25, s3
	s_add_nc_u64 s[26:27], s[10:11], s[26:27]
	s_mul_hi_u32 s9, s25, s7
	s_add_co_u32 s3, s26, s3
	s_add_co_ci_u32 s10, s27, s14
	s_mul_i32 s28, s25, s7
	s_add_co_ci_u32 s29, s9, 0
	s_delay_alu instid0(SALU_CYCLE_1) | instskip(NEXT) | instid1(SALU_CYCLE_1)
	s_add_nc_u64 s[26:27], s[10:11], s[28:29]
	s_and_b64 s[28:29], s[26:27], 0xffffffff00000000
	s_delay_alu instid0(SALU_CYCLE_1) | instskip(NEXT) | instid1(SALU_CYCLE_1)
	s_or_b32 s28, s28, s26
	s_mul_u64 s[26:27], s[12:13], s[28:29]
	s_add_nc_u64 s[30:31], s[28:29], 1
	s_sub_co_u32 s3, s24, s26
	s_cselect_b32 s7, -1, 0
	s_sub_co_i32 s9, s25, s27
	s_cmp_lg_u32 s7, 0
	s_add_nc_u64 s[34:35], s[28:29], 2
	s_sub_co_ci_u32 s9, s9, s13
	s_sub_co_u32 s10, s3, s12
	s_cselect_b32 s14, -1, 0
	s_delay_alu instid0(SALU_CYCLE_1) | instskip(SKIP_1) | instid1(SALU_CYCLE_1)
	s_cmp_lg_u32 s14, 0
	s_sub_co_ci_u32 s9, s9, 0
	s_cmp_ge_u32 s9, s13
	s_cselect_b32 s14, -1, 0
	s_cmp_ge_u32 s10, s12
	s_cselect_b32 s10, -1, 0
	s_cmp_eq_u32 s9, s13
	s_cselect_b32 s9, s10, s14
	s_delay_alu instid0(SALU_CYCLE_1) | instskip(SKIP_4) | instid1(SALU_CYCLE_1)
	s_cmp_lg_u32 s9, 0
	s_cselect_b32 s9, s34, s30
	s_cselect_b32 s10, s35, s31
	s_cmp_lg_u32 s7, 0
	s_sub_co_ci_u32 s7, s25, s27
	s_cmp_ge_u32 s7, s13
	s_cselect_b32 s14, -1, 0
	s_cmp_ge_u32 s3, s12
	s_cselect_b32 s3, -1, 0
	s_cmp_eq_u32 s7, s13
	s_cselect_b32 s3, s3, s14
	s_delay_alu instid0(SALU_CYCLE_1) | instskip(SKIP_3) | instid1(SALU_CYCLE_1)
	s_cmp_lg_u32 s3, 0
	s_cselect_b32 s13, s10, s29
	s_cselect_b32 s12, s9, s28
	s_xor_b64 s[22:23], s[22:23], 0
	s_xor_b64 s[12:13], s[12:13], s[22:23]
	s_delay_alu instid0(SALU_CYCLE_1)
	s_sub_nc_u64 s[24:25], s[12:13], s[22:23]
	s_load_b96 s[12:14], s[0:1], 0x44
	s_cbranch_execnz .LBB8_6
.LBB8_5:
	v_cvt_f32_u32_e32 v1, s16
	s_sub_co_i32 s7, 0, s16
	s_delay_alu instid0(VALU_DEP_1) | instskip(SKIP_1) | instid1(TRANS32_DEP_1)
	v_rcp_iflag_f32_e32 v1, v1
	v_nop
	v_mul_f32_e32 v1, 0x4f7ffffe, v1
	s_delay_alu instid0(VALU_DEP_1) | instskip(NEXT) | instid1(VALU_DEP_1)
	v_cvt_u32_f32_e32 v1, v1
	v_readfirstlane_b32 s3, v1
	s_mul_i32 s7, s7, s3
	s_delay_alu instid0(SALU_CYCLE_1) | instskip(NEXT) | instid1(SALU_CYCLE_1)
	s_mul_hi_u32 s7, s3, s7
	s_add_co_i32 s3, s3, s7
	s_delay_alu instid0(SALU_CYCLE_1) | instskip(NEXT) | instid1(SALU_CYCLE_1)
	s_mul_hi_u32 s3, s8, s3
	s_mul_i32 s7, s3, s16
	s_delay_alu instid0(SALU_CYCLE_1)
	s_sub_co_i32 s7, s8, s7
	s_add_co_i32 s8, s3, 1
	s_sub_co_i32 s9, s7, s16
	s_cmp_ge_u32 s7, s16
	s_cselect_b32 s3, s8, s3
	s_cselect_b32 s7, s9, s7
	s_add_co_i32 s8, s3, 1
	s_cmp_ge_u32 s7, s16
	s_cselect_b32 s24, s8, s3
.LBB8_6:
	s_delay_alu instid0(SALU_CYCLE_1)
	s_cmp_eq_u32 s20, s24
	s_mov_b64 s[8:9], 0xffffffff
	s_cselect_b32 s3, -1, 0
	s_and_b64 s[8:9], s[20:21], s[8:9]
	s_mov_b32 s23, 0
	s_wait_kmcnt 0x0
	s_mov_b32 s22, s12
	s_mov_b32 s25, s23
	s_mul_u64 s[10:11], s[8:9], s[22:23]
	s_delay_alu instid0(SALU_CYCLE_1) | instskip(SKIP_2) | instid1(SALU_CYCLE_1)
	s_add_co_i32 s7, s11, s20
	s_mul_u64 s[10:11], s[24:25], s[22:23]
	s_lshr_b32 s12, s7, s13
	s_mul_i32 s7, s12, s14
	s_delay_alu instid0(SALU_CYCLE_1) | instskip(SKIP_2) | instid1(SALU_CYCLE_1)
	s_cmp_eq_u32 s7, s20
	s_cselect_b32 s7, -1, 0
	s_add_co_i32 s10, s11, s24
	s_lshr_b32 s10, s10, s13
	s_delay_alu instid0(SALU_CYCLE_1)
	s_cmp_eq_u32 s12, s10
	s_mul_i32 s10, s10, s14
	s_cselect_b32 s11, -1, 0
	s_cmp_lg_u32 s10, s24
	s_cselect_b32 s10, -1, 0
	s_or_b32 s3, s3, s7
	s_and_b32 s10, s11, s10
	s_delay_alu instid0(SALU_CYCLE_1) | instskip(NEXT) | instid1(SALU_CYCLE_1)
	s_or_b32 s3, s3, s10
	s_and_b32 vcc_lo, exec_lo, s3
	s_cbranch_vccnz .LBB8_24
; %bb.7:
	s_load_b256 s[24:31], s[0:1], 0x20
	s_bfe_u32 s7, ttmp6, 0x40014
	s_bfe_u32 s33, ttmp6, 0x40010
	s_lshr_b32 s3, ttmp7, 16
	s_add_co_i32 s7, s7, 1
	s_and_b32 s21, ttmp7, 0xffff
	s_add_co_i32 s33, s33, 1
	s_bfe_u32 s10, ttmp6, 0x40008
	s_mul_i32 s7, s3, s7
	s_bfe_u32 s34, ttmp6, 0x40004
	s_mul_i32 s33, s21, s33
	s_mov_b32 s11, s23
	s_add_co_i32 s35, s10, s7
	s_add_co_i32 s34, s34, s33
	s_cmp_eq_u32 s15, 0
	s_cselect_b32 s7, s21, s34
	s_cselect_b32 s3, s3, s35
	s_wait_kmcnt 0x0
	s_mov_b32 s10, s24
	s_delay_alu instid0(SALU_CYCLE_1) | instskip(NEXT) | instid1(SALU_CYCLE_1)
	s_mul_u64 s[8:9], s[8:9], s[10:11]
	s_add_co_i32 s8, s9, s20
	s_load_b32 s9, s[0:1], 0x40
	s_lshr_b32 s8, s8, s25
	s_delay_alu instid0(SALU_CYCLE_1) | instskip(NEXT) | instid1(SALU_CYCLE_1)
	s_mul_i32 s10, s8, s26
	s_sub_co_i32 s10, s20, s10
	s_delay_alu instid0(SALU_CYCLE_1) | instskip(NEXT) | instid1(SALU_CYCLE_1)
	s_mul_hi_u32 s11, s10, s27
	s_add_co_i32 s11, s10, s11
	s_delay_alu instid0(SALU_CYCLE_1) | instskip(NEXT) | instid1(SALU_CYCLE_1)
	s_lshr_b32 s15, s11, s28
	s_mul_i32 s11, s15, s29
	s_delay_alu instid0(SALU_CYCLE_1) | instskip(NEXT) | instid1(SALU_CYCLE_1)
	s_sub_co_i32 s10, s10, s11
	s_mul_hi_u32 s11, s10, s30
	s_delay_alu instid0(SALU_CYCLE_1) | instskip(NEXT) | instid1(SALU_CYCLE_1)
	s_add_co_i32 s11, s10, s11
	s_lshr_b32 s26, s11, s31
	s_mov_b32 s11, s23
	s_wait_kmcnt 0x0
	s_mul_i32 s9, s26, s9
	s_delay_alu instid0(SALU_CYCLE_1) | instskip(NEXT) | instid1(SALU_CYCLE_1)
	s_sub_co_i32 s10, s10, s9
	s_mul_u64 s[24:25], s[10:11], s[22:23]
	s_lshl_b32 s24, s26, 3
	s_add_co_i32 s9, s10, s25
	s_delay_alu instid0(SALU_CYCLE_1) | instskip(NEXT) | instid1(SALU_CYCLE_1)
	s_lshr_b32 s21, s9, s13
	s_lshl_b32 s9, s21, 2
	s_delay_alu instid0(SALU_CYCLE_1) | instskip(NEXT) | instid1(SALU_CYCLE_1)
	s_add_co_i32 s9, s9, s7
	s_cmp_lt_i32 s9, s4
	s_cselect_b32 s9, -1, 0
	s_add_co_i32 s10, s24, s3
	s_delay_alu instid0(SALU_CYCLE_1) | instskip(SKIP_1) | instid1(SALU_CYCLE_1)
	s_cmp_lt_i32 s10, s6
	s_cselect_b32 s10, -1, 0
	s_and_b32 s9, s9, s10
	s_delay_alu instid0(SALU_CYCLE_1)
	s_and_not1_b32 vcc_lo, exec_lo, s9
	s_cbranch_vccnz .LBB8_24
; %bb.8:
	s_mul_i32 s4, s8, s4
	s_load_b128 s[8:11], s[0:1], 0x0
	s_wait_xcnt 0x0
	s_add_co_i32 s0, s4, s7
	s_mul_i32 s15, s15, s6
	s_mul_i32 s0, s0, s5
	;; [unrolled: 1-line block ×3, first 2 shown]
	s_add_co_i32 s0, s0, s3
	s_lshl_b32 s1, s1, 8
	s_add_co_i32 s0, s0, s15
	s_lshl_b32 s15, s7, 3
	s_add_co_i32 s0, s0, s24
	s_add_co_i32 s15, s15, s3
	s_lshl_b32 s0, s0, 6
	v_lshl_or_b32 v6, s15, 6, v0
	s_add_co_i32 s1, s1, s0
	v_cvt_f32_u32_e32 v4, s16
	v_or_b32_e32 v2, s1, v0
	s_add_nc_u64 s[0:1], s[16:17], 0
	s_lshl_b32 s24, s16, 7
	s_xor_b64 s[6:7], s[0:1], 0
	s_lshl_b32 s0, s2, 5
	s_cvt_f32_u32 s3, s6
	s_add_co_i32 s0, s15, s0
	s_cvt_f32_u32 s4, s7
	s_ashr_i32 s1, s0, 31
	v_rcp_iflag_f32_e32 v4, v4
	s_lshl_b64 s[0:1], s[0:1], 3
	s_fmamk_f32 s3, s4, 0x4f800000, s3
	s_wait_kmcnt 0x0
	s_add_nc_u64 s[0:1], s[10:11], s[0:1]
	s_mov_b32 s25, 0
	s_load_b64 s[28:29], s[0:1], 0x0
	v_s_rcp_f32 s3, s3
	s_wait_xcnt 0x0
	s_lshl_b64 s[0:1], s[24:25], 2
	s_add_co_i32 s36, s2, -1
	s_add_nc_u64 s[26:27], s[10:11], s[0:1]
	s_sub_nc_u64 s[34:35], 0, s[6:7]
	v_mul_f32_e32 v4, 0x4f7ffffe, v4
	s_delay_alu instid0(TRANS32_DEP_1) | instskip(NEXT) | instid1(VALU_DEP_1)
	s_mul_f32 s3, s3, 0x5f7ffffc
	v_cvt_u32_f32_e32 v7, v4
	s_delay_alu instid0(SALU_CYCLE_2) | instskip(NEXT) | instid1(SALU_CYCLE_3)
	s_mul_f32 s4, s3, 0x2f800000
	s_trunc_f32 s4, s4
	s_wait_kmcnt 0x0
	v_mov_b32_e32 v0, s29
	global_load_b32 v1, v2, s[8:9] scale_offset
	v_ashrrev_i32_e32 v3, 31, v2
	s_fmamk_f32 s0, s4, 0xcf800000, s3
	s_cvt_u32_f32 s31, s4
	s_wait_xcnt 0x0
	s_delay_alu instid0(VALU_DEP_1)
	v_lshl_add_u64 v[2:3], v[2:3], 2, s[8:9]
	s_cvt_u32_f32 s30, s0
	s_mov_b64 s[8:9], 0xffffffff
.LBB8_9:                                ; =>This Inner Loop Header: Depth=1
	s_ashr_i32 s37, s36, 31
                                        ; implicit-def: $sgpr40_sgpr41
	s_delay_alu instid0(SALU_CYCLE_1) | instskip(NEXT) | instid1(SALU_CYCLE_1)
	s_mul_u64 s[0:1], s[36:37], s[18:19]
	s_and_b64 s[2:3], s[0:1], 0xffffffff00000000
	s_delay_alu instid0(SALU_CYCLE_1)
	s_cmp_lg_u64 s[2:3], 0
	s_mov_b32 s2, -1
	s_cbranch_scc0 .LBB8_11
; %bb.10:                               ;   in Loop: Header=BB8_9 Depth=1
	s_mul_u64 s[2:3], s[34:35], s[30:31]
	s_delay_alu instid0(SALU_CYCLE_1)
	s_mul_hi_u32 s5, s30, s3
	s_mul_i32 s4, s30, s3
	s_mul_hi_u32 s24, s30, s2
	s_mul_hi_u32 s17, s31, s2
	s_add_nc_u64 s[4:5], s[24:25], s[4:5]
	s_mul_i32 s2, s31, s2
	s_mul_hi_u32 s21, s31, s3
	s_add_co_u32 s2, s4, s2
	s_add_co_ci_u32 s24, s5, s17
	s_add_co_ci_u32 s5, s21, 0
	s_mul_i32 s4, s31, s3
	s_delay_alu instid0(SALU_CYCLE_1) | instskip(NEXT) | instid1(SALU_CYCLE_1)
	s_add_nc_u64 s[2:3], s[24:25], s[4:5]
	s_add_co_u32 s2, s30, s2
	s_cselect_b32 s4, -1, 0
	s_delay_alu instid0(SALU_CYCLE_1) | instskip(SKIP_1) | instid1(SALU_CYCLE_1)
	s_cmp_lg_u32 s4, 0
	s_add_co_ci_u32 s3, s31, s3
	s_mul_u64 s[4:5], s[34:35], s[2:3]
	s_delay_alu instid0(SALU_CYCLE_1)
	s_mul_hi_u32 s39, s2, s5
	s_mul_i32 s38, s2, s5
	s_mul_hi_u32 s24, s2, s4
	s_mul_hi_u32 s17, s3, s4
	s_mul_i32 s4, s3, s4
	s_add_nc_u64 s[38:39], s[24:25], s[38:39]
	s_mul_hi_u32 s21, s3, s5
	s_add_co_u32 s4, s38, s4
	s_add_co_ci_u32 s24, s39, s17
	s_mul_i32 s4, s3, s5
	s_add_co_ci_u32 s5, s21, 0
	s_delay_alu instid0(SALU_CYCLE_1) | instskip(NEXT) | instid1(SALU_CYCLE_1)
	s_add_nc_u64 s[4:5], s[24:25], s[4:5]
	s_add_co_u32 s17, s2, s4
	s_cselect_b32 s2, -1, 0
	s_delay_alu instid0(SALU_CYCLE_1) | instskip(SKIP_2) | instid1(SALU_CYCLE_1)
	s_cmp_lg_u32 s2, 0
	s_add_co_ci_u32 s21, s3, s5
	s_ashr_i32 s2, s1, 31
	s_mov_b32 s3, s2
	s_delay_alu instid0(SALU_CYCLE_1) | instskip(NEXT) | instid1(SALU_CYCLE_1)
	s_add_nc_u64 s[4:5], s[0:1], s[2:3]
	s_xor_b64 s[4:5], s[4:5], s[2:3]
	s_delay_alu instid0(SALU_CYCLE_1)
	s_mul_hi_u32 s39, s4, s21
	s_mul_i32 s38, s4, s21
	s_mul_hi_u32 s24, s4, s17
	s_mul_hi_u32 s29, s5, s17
	s_mul_i32 s17, s5, s17
	s_add_nc_u64 s[38:39], s[24:25], s[38:39]
	s_mul_hi_u32 s1, s5, s21
	s_add_co_u32 s17, s38, s17
	s_add_co_ci_u32 s24, s39, s29
	s_mul_i32 s40, s5, s21
	s_add_co_ci_u32 s41, s1, 0
	s_delay_alu instid0(SALU_CYCLE_1) | instskip(NEXT) | instid1(SALU_CYCLE_1)
	s_add_nc_u64 s[38:39], s[24:25], s[40:41]
	s_and_b64 s[40:41], s[38:39], 0xffffffff00000000
	s_delay_alu instid0(SALU_CYCLE_1) | instskip(NEXT) | instid1(SALU_CYCLE_1)
	s_or_b32 s40, s40, s38
	s_mul_u64 s[38:39], s[6:7], s[40:41]
	s_add_nc_u64 s[42:43], s[40:41], 1
	s_sub_co_u32 s1, s4, s38
	s_cselect_b32 s4, -1, 0
	s_sub_co_i32 s17, s5, s39
	s_cmp_lg_u32 s4, 0
	s_add_nc_u64 s[44:45], s[40:41], 2
	s_sub_co_ci_u32 s17, s17, s7
	s_sub_co_u32 s21, s1, s6
	s_cselect_b32 s24, -1, 0
	s_delay_alu instid0(SALU_CYCLE_1) | instskip(SKIP_1) | instid1(SALU_CYCLE_1)
	s_cmp_lg_u32 s24, 0
	s_sub_co_ci_u32 s17, s17, 0
	s_cmp_ge_u32 s17, s7
	s_cselect_b32 s24, -1, 0
	s_cmp_ge_u32 s21, s6
	s_cselect_b32 s21, -1, 0
	s_cmp_eq_u32 s17, s7
	s_cselect_b32 s17, s21, s24
	s_delay_alu instid0(SALU_CYCLE_1) | instskip(SKIP_4) | instid1(SALU_CYCLE_1)
	s_cmp_lg_u32 s17, 0
	s_cselect_b32 s17, s44, s42
	s_cselect_b32 s21, s45, s43
	s_cmp_lg_u32 s4, 0
	s_sub_co_ci_u32 s4, s5, s39
	s_cmp_ge_u32 s4, s7
	s_cselect_b32 s5, -1, 0
	s_cmp_ge_u32 s1, s6
	s_cselect_b32 s1, -1, 0
	s_cmp_eq_u32 s4, s7
	s_cselect_b32 s1, s1, s5
	s_delay_alu instid0(SALU_CYCLE_1) | instskip(SKIP_3) | instid1(SALU_CYCLE_1)
	s_cmp_lg_u32 s1, 0
	s_cselect_b32 s5, s21, s41
	s_cselect_b32 s4, s17, s40
	s_xor_b64 s[2:3], s[2:3], 0
	s_xor_b64 s[4:5], s[4:5], s[2:3]
	s_delay_alu instid0(SALU_CYCLE_1)
	s_sub_nc_u64 s[40:41], s[4:5], s[2:3]
	s_mov_b32 s2, 0
.LBB8_11:                               ;   in Loop: Header=BB8_9 Depth=1
	s_delay_alu instid0(SALU_CYCLE_1)
	s_and_not1_b32 vcc_lo, exec_lo, s2
	s_cbranch_vccnz .LBB8_13
; %bb.12:                               ;   in Loop: Header=BB8_9 Depth=1
	v_readfirstlane_b32 s1, v7
	s_sub_co_i32 s2, 0, s16
	s_delay_alu instid0(SALU_CYCLE_1) | instskip(NEXT) | instid1(SALU_CYCLE_1)
	s_mul_i32 s2, s2, s1
	s_mul_hi_u32 s2, s1, s2
	s_delay_alu instid0(SALU_CYCLE_1) | instskip(NEXT) | instid1(SALU_CYCLE_1)
	s_add_co_i32 s1, s1, s2
	s_mul_hi_u32 s1, s0, s1
	s_delay_alu instid0(SALU_CYCLE_1) | instskip(NEXT) | instid1(SALU_CYCLE_1)
	s_mul_i32 s2, s1, s16
	s_sub_co_i32 s0, s0, s2
	s_add_co_i32 s2, s1, 1
	s_sub_co_i32 s3, s0, s16
	s_cmp_ge_u32 s0, s16
	s_cselect_b32 s1, s2, s1
	s_cselect_b32 s0, s3, s0
	s_add_co_i32 s2, s1, 1
	s_cmp_ge_u32 s0, s16
	s_cselect_b32 s24, s2, s1
	s_delay_alu instid0(SALU_CYCLE_1)
	s_mov_b64 s[40:41], s[24:25]
.LBB8_13:                               ;   in Loop: Header=BB8_9 Depth=1
	s_delay_alu instid0(SALU_CYCLE_1)
	s_cmp_lg_u32 s20, s40
	s_mov_b32 s0, -1
                                        ; implicit-def: $vgpr4_vgpr5
                                        ; implicit-def: $sgpr24
                                        ; implicit-def: $sgpr17
                                        ; implicit-def: $sgpr21
                                        ; implicit-def: $sgpr29
	s_cbranch_scc0 .LBB8_18
; %bb.14:                               ;   in Loop: Header=BB8_9 Depth=1
	s_add_co_i32 s0, s36, s16
	v_max_num_f32_e64 v4, s28, s28
	s_lshl_b32 s0, s0, 5
	s_mov_b32 s29, s20
	s_add_co_i32 s0, s0, s15
	s_load_b64 s[38:39], s[10:11], s0 offset:0x0 scale_offset
	s_wait_xcnt 0x0
	v_readfirstlane_b32 s0, v4
	s_wait_kmcnt 0x0
	v_max_num_f32_e64 v5, s38, s38
	s_delay_alu instid0(VALU_DEP_1) | instskip(SKIP_1) | instid1(SALU_CYCLE_3)
	v_readfirstlane_b32 s1, v5
	s_max_num_f32 s17, s0, s1
	s_sub_f32 s33, s28, s17
	s_sub_f32 s37, s38, s17
	s_delay_alu instid0(SALU_CYCLE_2)
	s_cmp_nlt_f32 s33, 0xc2ce8ed0
	s_cselect_b32 s1, -1, 0
	s_cmp_ngt_f32 s33, 0x42b17218
	s_cselect_b32 s2, -1, 0
	s_cmp_ge_f32 s33, 0xc1a00000
	s_cselect_b32 s0, -1, 0
	s_cmp_nlt_f32 s37, 0xc2ce8ed0
	s_cselect_b32 s3, -1, 0
	s_cmp_ngt_f32 s37, 0x42b17218
	s_cselect_b32 s4, -1, 0
	s_cmp_ge_f32 s37, 0xc1a00000
	s_cselect_b32 s5, -1, 0
	s_and_b64 s[42:43], s[40:41], s[8:9]
	s_delay_alu instid0(SALU_CYCLE_1) | instskip(NEXT) | instid1(SALU_CYCLE_1)
	s_mul_u64 s[42:43], s[42:43], s[22:23]
	s_add_co_i32 s21, s43, s40
	s_delay_alu instid0(SALU_CYCLE_1) | instskip(NEXT) | instid1(SALU_CYCLE_1)
	s_lshr_b32 s21, s21, s13
	s_mul_i32 s24, s21, s14
	s_delay_alu instid0(SALU_CYCLE_1) | instskip(SKIP_3) | instid1(SALU_CYCLE_1)
	s_cmp_eq_u32 s24, s40
	s_cselect_b32 s24, -1, 0
	s_cmp_lt_u32 s21, s12
	s_cselect_b32 s21, -1, 0
	s_or_b32 s21, s21, s24
	s_mov_b32 s24, -1
	s_and_b32 vcc_lo, exec_lo, s21
	s_mov_b32 s21, s36
	s_cbranch_vccnz .LBB8_16
; %bb.15:                               ;   in Loop: Header=BB8_9 Depth=1
	s_add_co_i32 s21, s36, -1
	s_mov_b32 s24, 0
	s_mov_b32 s29, s40
.LBB8_16:                               ;   in Loop: Header=BB8_9 Depth=1
	v_lshl_add_u32 v4, s36, 11, v6
	s_mul_f32 s40, s33, 0x3fb8aa3b
	s_mul_f32 s38, s37, 0x3fb8aa3b
	s_delay_alu instid0(SALU_CYCLE_2)
	s_xor_b32 s42, s40, 0x80000000
	global_load_b32 v5, v4, s[26:27] scale_offset
	s_fmamk_f32 s42, s33, 0x3fb8aa3b, s42
	s_rndne_f32 s44, s40
	s_xor_b32 s41, s38, 0x80000000
	s_rndne_f32 s43, s38
	s_fmamk_f32 s33, s33, 0x32a5705f, s42
	s_sub_f32 s40, s40, s44
	s_fmamk_f32 s41, s37, 0x3fb8aa3b, s41
	s_sub_f32 s38, s38, s43
	s_delay_alu instid0(SALU_CYCLE_1) | instskip(NEXT) | instid1(SALU_CYCLE_1)
	s_add_f32 s33, s40, s33
	s_fmamk_f32 s37, s37, 0x32a5705f, s41
	s_cvt_i32_f32 s40, s44
	s_delay_alu instid0(SALU_CYCLE_1) | instskip(NEXT) | instid1(SALU_CYCLE_1)
	v_s_exp_f32 s33, s33
	s_add_f32 s37, s38, s37
	s_cvt_i32_f32 s38, s43
	s_delay_alu instid0(SALU_CYCLE_2) | instskip(NEXT) | instid1(TRANS32_DEP_2)
	v_s_exp_f32 s37, s37
	v_ldexp_f32 v8, s33, s40
	s_wait_xcnt 0x0
	s_delay_alu instid0(TRANS32_DEP_1) | instskip(NEXT) | instid1(VALU_DEP_2)
	v_ldexp_f32 v4, s37, s38
	v_cndmask_b32_e64 v8, 0, v8, s1
	s_delay_alu instid0(VALU_DEP_1) | instskip(NEXT) | instid1(VALU_DEP_1)
	v_cndmask_b32_e64 v9, 0x7f800000, v8, s2
	v_dual_cndmask_b32 v4, 0, v4, s3 :: v_dual_cndmask_b32 v10, 0, v9, s0
	s_delay_alu instid0(VALU_DEP_1) | instskip(NEXT) | instid1(VALU_DEP_1)
	v_cndmask_b32_e64 v4, 0x7f800000, v4, s4
	v_dual_cndmask_b32 v8, 0, v4, s5 :: v_dual_mov_b32 v4, s39
	s_wait_loadcnt 0x0
	s_delay_alu instid0(VALU_DEP_1) | instskip(NEXT) | instid1(VALU_DEP_1)
	v_pk_mul_f32 v[4:5], v[4:5], v[8:9] op_sel_hi:[1,0]
	v_pk_fma_f32 v[4:5], v[0:1], v[10:11], v[4:5] op_sel_hi:[1,0,1]
	s_cbranch_execz .LBB8_19
.LBB8_17:                               ;   in Loop: Header=BB8_9 Depth=1
	s_and_not1_b32 vcc_lo, exec_lo, s24
	s_cbranch_vccnz .LBB8_20
	s_branch .LBB8_23
.LBB8_18:                               ;   in Loop: Header=BB8_9 Depth=1
	s_and_not1_b32 vcc_lo, exec_lo, s0
	s_cbranch_vccnz .LBB8_17
.LBB8_19:                               ;   in Loop: Header=BB8_9 Depth=1
	s_wait_loadcnt 0x0
	v_mov_b64_e32 v[4:5], v[0:1]
	s_add_co_i32 s21, s36, -1
	s_mov_b32 s29, s20
	s_mov_b32 s17, s28
	s_cbranch_execz .LBB8_23
.LBB8_20:                               ;   in Loop: Header=BB8_9 Depth=1
	s_wait_loadcnt 0x0
	s_delay_alu instid0(VALU_DEP_1)
	v_mov_b64_e32 v[0:1], v[4:5]
	s_mov_b32 s20, s29
	s_mov_b32 s36, s21
	;; [unrolled: 1-line block ×3, first 2 shown]
	s_branch .LBB8_9
.LBB8_21:
                                        ; implicit-def: $sgpr20_sgpr21
	s_branch .LBB8_2
.LBB8_22:
                                        ; implicit-def: $sgpr24_sgpr25
	s_load_b96 s[12:14], s[0:1], 0x44
	s_branch .LBB8_5
.LBB8_23:
	s_delay_alu instid0(VALU_DEP_1) | instskip(SKIP_1) | instid1(VALU_DEP_1)
	v_div_scale_f32 v0, null, v4, v4, v5
	s_wait_loadcnt 0x0
	v_rcp_f32_e32 v1, v0
	v_nop
	s_delay_alu instid0(TRANS32_DEP_1) | instskip(NEXT) | instid1(VALU_DEP_1)
	v_fma_f32 v6, -v0, v1, 1.0
	v_fmac_f32_e32 v1, v6, v1
	v_div_scale_f32 v6, vcc_lo, v5, v4, v5
	s_delay_alu instid0(VALU_DEP_1) | instskip(NEXT) | instid1(VALU_DEP_1)
	v_mul_f32_e32 v7, v6, v1
	v_fma_f32 v8, -v0, v7, v6
	s_delay_alu instid0(VALU_DEP_1) | instskip(NEXT) | instid1(VALU_DEP_1)
	v_fmac_f32_e32 v7, v8, v1
	v_fma_f32 v0, -v0, v7, v6
	s_delay_alu instid0(VALU_DEP_1) | instskip(NEXT) | instid1(VALU_DEP_1)
	v_div_fmas_f32 v0, v0, v1, v7
	v_div_fixup_f32 v0, v0, v4, v5
	global_store_b32 v[2:3], v0, off
.LBB8_24:
	s_endpgm
	.section	.rodata,"a",@progbits
	.p2align	6, 0x0
	.amdhsa_kernel _ZL33flash_attn_stream_k_fixup_generalILi64ELi4ELi8EEvPfPK15HIP_vector_typeIfLj2EEiiiiS1_IjLj3EES5_S5_S5_
		.amdhsa_group_segment_fixed_size 0
		.amdhsa_private_segment_fixed_size 0
		.amdhsa_kernarg_size 336
		.amdhsa_user_sgpr_count 2
		.amdhsa_user_sgpr_dispatch_ptr 0
		.amdhsa_user_sgpr_queue_ptr 0
		.amdhsa_user_sgpr_kernarg_segment_ptr 1
		.amdhsa_user_sgpr_dispatch_id 0
		.amdhsa_user_sgpr_kernarg_preload_length 0
		.amdhsa_user_sgpr_kernarg_preload_offset 0
		.amdhsa_user_sgpr_private_segment_size 0
		.amdhsa_wavefront_size32 1
		.amdhsa_uses_dynamic_stack 0
		.amdhsa_enable_private_segment 0
		.amdhsa_system_sgpr_workgroup_id_x 1
		.amdhsa_system_sgpr_workgroup_id_y 1
		.amdhsa_system_sgpr_workgroup_id_z 1
		.amdhsa_system_sgpr_workgroup_info 0
		.amdhsa_system_vgpr_workitem_id 0
		.amdhsa_next_free_vgpr 12
		.amdhsa_next_free_sgpr 46
		.amdhsa_named_barrier_count 0
		.amdhsa_reserve_vcc 1
		.amdhsa_float_round_mode_32 0
		.amdhsa_float_round_mode_16_64 0
		.amdhsa_float_denorm_mode_32 3
		.amdhsa_float_denorm_mode_16_64 3
		.amdhsa_fp16_overflow 0
		.amdhsa_memory_ordered 1
		.amdhsa_forward_progress 1
		.amdhsa_inst_pref_size 27
		.amdhsa_round_robin_scheduling 0
		.amdhsa_exception_fp_ieee_invalid_op 0
		.amdhsa_exception_fp_denorm_src 0
		.amdhsa_exception_fp_ieee_div_zero 0
		.amdhsa_exception_fp_ieee_overflow 0
		.amdhsa_exception_fp_ieee_underflow 0
		.amdhsa_exception_fp_ieee_inexact 0
		.amdhsa_exception_int_div_zero 0
	.end_amdhsa_kernel
	.section	.text._ZL33flash_attn_stream_k_fixup_generalILi64ELi4ELi8EEvPfPK15HIP_vector_typeIfLj2EEiiiiS1_IjLj3EES5_S5_S5_,"axG",@progbits,_ZL33flash_attn_stream_k_fixup_generalILi64ELi4ELi8EEvPfPK15HIP_vector_typeIfLj2EEiiiiS1_IjLj3EES5_S5_S5_,comdat
.Lfunc_end8:
	.size	_ZL33flash_attn_stream_k_fixup_generalILi64ELi4ELi8EEvPfPK15HIP_vector_typeIfLj2EEiiiiS1_IjLj3EES5_S5_S5_, .Lfunc_end8-_ZL33flash_attn_stream_k_fixup_generalILi64ELi4ELi8EEvPfPK15HIP_vector_typeIfLj2EEiiiiS1_IjLj3EES5_S5_S5_
                                        ; -- End function
	.set _ZL33flash_attn_stream_k_fixup_generalILi64ELi4ELi8EEvPfPK15HIP_vector_typeIfLj2EEiiiiS1_IjLj3EES5_S5_S5_.num_vgpr, 12
	.set _ZL33flash_attn_stream_k_fixup_generalILi64ELi4ELi8EEvPfPK15HIP_vector_typeIfLj2EEiiiiS1_IjLj3EES5_S5_S5_.num_agpr, 0
	.set _ZL33flash_attn_stream_k_fixup_generalILi64ELi4ELi8EEvPfPK15HIP_vector_typeIfLj2EEiiiiS1_IjLj3EES5_S5_S5_.numbered_sgpr, 46
	.set _ZL33flash_attn_stream_k_fixup_generalILi64ELi4ELi8EEvPfPK15HIP_vector_typeIfLj2EEiiiiS1_IjLj3EES5_S5_S5_.num_named_barrier, 0
	.set _ZL33flash_attn_stream_k_fixup_generalILi64ELi4ELi8EEvPfPK15HIP_vector_typeIfLj2EEiiiiS1_IjLj3EES5_S5_S5_.private_seg_size, 0
	.set _ZL33flash_attn_stream_k_fixup_generalILi64ELi4ELi8EEvPfPK15HIP_vector_typeIfLj2EEiiiiS1_IjLj3EES5_S5_S5_.uses_vcc, 1
	.set _ZL33flash_attn_stream_k_fixup_generalILi64ELi4ELi8EEvPfPK15HIP_vector_typeIfLj2EEiiiiS1_IjLj3EES5_S5_S5_.uses_flat_scratch, 0
	.set _ZL33flash_attn_stream_k_fixup_generalILi64ELi4ELi8EEvPfPK15HIP_vector_typeIfLj2EEiiiiS1_IjLj3EES5_S5_S5_.has_dyn_sized_stack, 0
	.set _ZL33flash_attn_stream_k_fixup_generalILi64ELi4ELi8EEvPfPK15HIP_vector_typeIfLj2EEiiiiS1_IjLj3EES5_S5_S5_.has_recursion, 0
	.set _ZL33flash_attn_stream_k_fixup_generalILi64ELi4ELi8EEvPfPK15HIP_vector_typeIfLj2EEiiiiS1_IjLj3EES5_S5_S5_.has_indirect_call, 0
	.section	.AMDGPU.csdata,"",@progbits
; Kernel info:
; codeLenInByte = 3360
; TotalNumSgprs: 48
; NumVgprs: 12
; ScratchSize: 0
; MemoryBound: 0
; FloatMode: 240
; IeeeMode: 1
; LDSByteSize: 0 bytes/workgroup (compile time only)
; SGPRBlocks: 0
; VGPRBlocks: 0
; NumSGPRsForWavesPerEU: 48
; NumVGPRsForWavesPerEU: 12
; NamedBarCnt: 0
; Occupancy: 16
; WaveLimiterHint : 0
; COMPUTE_PGM_RSRC2:SCRATCH_EN: 0
; COMPUTE_PGM_RSRC2:USER_SGPR: 2
; COMPUTE_PGM_RSRC2:TRAP_HANDLER: 0
; COMPUTE_PGM_RSRC2:TGID_X_EN: 1
; COMPUTE_PGM_RSRC2:TGID_Y_EN: 1
; COMPUTE_PGM_RSRC2:TGID_Z_EN: 1
; COMPUTE_PGM_RSRC2:TIDIG_COMP_CNT: 0
	.section	.text._ZL15flash_attn_tileILi64ELi64ELi2ELi8ELb0EEvPKcS1_S1_S1_S1_PKiPfP15HIP_vector_typeIfLj2EEffffjfiS5_IjLj3EEiiiiiiiiiiiliiliiiiil,"axG",@progbits,_ZL15flash_attn_tileILi64ELi64ELi2ELi8ELb0EEvPKcS1_S1_S1_S1_PKiPfP15HIP_vector_typeIfLj2EEffffjfiS5_IjLj3EEiiiiiiiiiiiliiliiiiil,comdat
	.globl	_ZL15flash_attn_tileILi64ELi64ELi2ELi8ELb0EEvPKcS1_S1_S1_S1_PKiPfP15HIP_vector_typeIfLj2EEffffjfiS5_IjLj3EEiiiiiiiiiiiliiliiiiil ; -- Begin function _ZL15flash_attn_tileILi64ELi64ELi2ELi8ELb0EEvPKcS1_S1_S1_S1_PKiPfP15HIP_vector_typeIfLj2EEffffjfiS5_IjLj3EEiiiiiiiiiiiliiliiiiil
	.p2align	8
	.type	_ZL15flash_attn_tileILi64ELi64ELi2ELi8ELb0EEvPKcS1_S1_S1_S1_PKiPfP15HIP_vector_typeIfLj2EEffffjfiS5_IjLj3EEiiiiiiiiiiiliiliiiiil,@function
_ZL15flash_attn_tileILi64ELi64ELi2ELi8ELb0EEvPKcS1_S1_S1_S1_PKiPfP15HIP_vector_typeIfLj2EEffffjfiS5_IjLj3EEiiiiiiiiiiiliiliiiiil: ; @_ZL15flash_attn_tileILi64ELi64ELi2ELi8ELb0EEvPKcS1_S1_S1_S1_PKiPfP15HIP_vector_typeIfLj2EEffffjfiS5_IjLj3EEiiiiiiiiiiiliiliiiiil
; %bb.0:
	s_clause 0x1
	s_load_b128 s[20:23], s[0:1], 0x5c
	s_load_b64 s[28:29], s[0:1], 0x80
	s_bfe_u32 s5, ttmp6, 0x40014
	s_lshr_b32 s4, ttmp7, 16
	s_add_co_i32 s5, s5, 1
	s_bfe_u32 s6, ttmp6, 0x40008
	s_mul_i32 s5, s4, s5
	s_getreg_b32 s34, hwreg(HW_REG_IB_STS2, 6, 4)
	s_add_co_i32 s6, s6, s5
	s_load_b64 s[36:37], s[0:1], 0xb8
	s_mov_b32 s35, 0
	s_mov_b64 s[30:31], 0
	s_wait_kmcnt 0x0
	s_ashr_i32 s2, s23, 31
	s_delay_alu instid0(SALU_CYCLE_1) | instskip(NEXT) | instid1(SALU_CYCLE_1)
	s_lshr_b32 s2, s2, 29
	s_add_co_i32 s2, s23, s2
	s_delay_alu instid0(SALU_CYCLE_1) | instskip(NEXT) | instid1(SALU_CYCLE_1)
	s_ashr_i32 s2, s2, 3
	s_cvt_f32_u32 s3, s2
	s_sub_co_i32 s7, 0, s2
	s_delay_alu instid0(SALU_CYCLE_2) | instskip(SKIP_1) | instid1(TRANS32_DEP_1)
	v_rcp_iflag_f32_e32 v1, s3
	v_nop
	v_readfirstlane_b32 s3, v1
	s_mul_f32 s3, s3, 0x4f7ffffe
	s_delay_alu instid0(SALU_CYCLE_3) | instskip(NEXT) | instid1(SALU_CYCLE_3)
	s_cvt_u32_f32 s3, s3
	s_mul_i32 s7, s7, s3
	s_delay_alu instid0(SALU_CYCLE_1) | instskip(NEXT) | instid1(SALU_CYCLE_1)
	s_mul_hi_u32 s7, s3, s7
	s_add_co_i32 s3, s3, s7
	s_cmp_eq_u32 s34, 0
	s_cselect_b32 s4, s4, s6
	s_delay_alu instid0(SALU_CYCLE_1) | instskip(NEXT) | instid1(SALU_CYCLE_1)
	s_mul_hi_u32 s3, s4, s3
	s_mul_i32 s5, s3, s2
	s_add_co_i32 s6, s3, 1
	s_sub_co_i32 s5, s4, s5
	s_delay_alu instid0(SALU_CYCLE_1)
	s_sub_co_i32 s7, s5, s2
	s_cmp_ge_u32 s5, s2
	s_cselect_b32 s3, s6, s3
	s_cselect_b32 s5, s7, s5
	s_add_co_i32 s6, s3, 1
	s_cmp_ge_u32 s5, s2
	s_cselect_b32 s2, s6, s3
	s_abs_i32 s3, s29
	s_lshl_b32 s4, s4, 3
	s_cvt_f32_u32 s5, s3
	s_sub_co_i32 s6, 0, s3
	s_mul_i32 s7, s2, s23
	s_abs_i32 s8, s23
	v_rcp_iflag_f32_e32 v1, s5
	s_sub_co_i32 s33, s4, s7
	v_nop
	s_delay_alu instid0(TRANS32_DEP_1) | instskip(SKIP_1) | instid1(SALU_CYCLE_3)
	v_readfirstlane_b32 s5, v1
	s_mul_f32 s5, s5, 0x4f7ffffe
	s_cvt_u32_f32 s5, s5
	s_delay_alu instid0(SALU_CYCLE_3) | instskip(NEXT) | instid1(SALU_CYCLE_1)
	s_mul_i32 s6, s6, s5
	s_mul_hi_u32 s6, s5, s6
	s_delay_alu instid0(SALU_CYCLE_1) | instskip(NEXT) | instid1(SALU_CYCLE_1)
	s_add_co_i32 s5, s5, s6
	s_mul_hi_u32 s4, s8, s5
	s_xor_b32 s5, s23, s29
	s_mul_i32 s6, s4, s3
	s_ashr_i32 s24, s5, 31
	s_sub_co_i32 s5, s8, s6
	s_add_co_i32 s6, s4, 1
	s_sub_co_i32 s7, s5, s3
	s_cmp_ge_u32 s5, s3
	s_cselect_b32 s4, s6, s4
	s_cselect_b32 s5, s7, s5
	s_add_co_i32 s6, s4, 1
	s_cmp_ge_u32 s5, s3
	s_cselect_b32 s3, s6, s4
	s_load_b512 s[4:19], s[0:1], 0x0
	s_xor_b32 s3, s3, s24
	s_delay_alu instid0(SALU_CYCLE_1) | instskip(NEXT) | instid1(SALU_CYCLE_1)
	s_sub_co_i32 s3, s3, s24
	s_abs_i32 s38, s3
	s_delay_alu instid0(SALU_CYCLE_1) | instskip(NEXT) | instid1(SALU_CYCLE_3)
	s_cvt_f32_u32 s24, s38
	v_rcp_iflag_f32_e32 v1, s24
	v_nop
	s_delay_alu instid0(TRANS32_DEP_1)
	v_readfirstlane_b32 s27, v1
	s_wait_kmcnt 0x0
	s_cmp_eq_u64 s[10:11], 0
	s_cbranch_scc1 .LBB9_2
; %bb.1:
	s_abs_i32 s26, s36
	s_abs_i32 s29, s2
	s_cvt_f32_u32 s24, s26
	s_sub_co_i32 s25, 0, s26
	s_delay_alu instid0(SALU_CYCLE_2) | instskip(SKIP_1) | instid1(TRANS32_DEP_1)
	v_rcp_iflag_f32_e32 v1, s24
	v_nop
	v_readfirstlane_b32 s24, v1
	s_mul_f32 s24, s24, 0x4f7ffffe
	s_delay_alu instid0(SALU_CYCLE_3) | instskip(NEXT) | instid1(SALU_CYCLE_3)
	s_cvt_u32_f32 s24, s24
	s_mul_i32 s25, s25, s24
	s_delay_alu instid0(SALU_CYCLE_1) | instskip(NEXT) | instid1(SALU_CYCLE_1)
	s_mul_hi_u32 s25, s24, s25
	s_add_co_i32 s24, s24, s25
	s_delay_alu instid0(SALU_CYCLE_1) | instskip(SKIP_2) | instid1(SALU_CYCLE_1)
	s_mul_hi_u32 s30, s29, s24
	s_load_b64 s[24:25], s[0:1], 0xc8
	s_mul_i32 s30, s30, s26
	s_sub_co_i32 s29, s29, s30
	s_ashr_i32 s30, s2, 31
	s_sub_co_i32 s31, s29, s26
	s_cmp_ge_u32 s29, s26
	s_cselect_b32 s29, s31, s29
	s_delay_alu instid0(SALU_CYCLE_1) | instskip(SKIP_2) | instid1(SALU_CYCLE_1)
	s_sub_co_i32 s31, s29, s26
	s_cmp_ge_u32 s29, s26
	s_cselect_b32 s26, s31, s29
	s_xor_b32 s26, s26, s30
	s_delay_alu instid0(SALU_CYCLE_1) | instskip(NEXT) | instid1(SALU_CYCLE_1)
	s_sub_co_i32 s30, s26, s30
	s_ashr_i32 s31, s30, 31
	s_wait_kmcnt 0x0
	s_mul_u64 s[24:25], s[24:25], s[30:31]
	s_delay_alu instid0(SALU_CYCLE_1)
	s_add_nc_u64 s[30:31], s[10:11], s[24:25]
.LBB9_2:
	s_bfe_u32 s10, ttmp6, 0x4000c
	v_dual_lshrrev_b32 v1, 10, v0 :: v_dual_mov_b32 v3, 0
	s_add_co_i32 s10, s10, 1
	s_and_b32 s11, ttmp6, 15
	s_mul_i32 s10, ttmp9, s10
	s_delay_alu instid0(VALU_DEP_1)
	v_bfe_u32 v1, v1, 1, 9
	s_add_co_i32 s11, s11, s10
	s_cmp_eq_u32 s34, 0
	s_load_b96 s[24:26], s[0:1], 0x70
	s_cselect_b32 s10, ttmp9, s11
	v_mov_b32_e32 v33, v3
	v_lshl_add_u32 v72, s10, 1, v1
	v_mov_b32_e32 v5, v3
	s_delay_alu instid0(VALU_DEP_2) | instskip(NEXT) | instid1(VALU_DEP_1)
	v_mul_hi_u32 v1, s20, v72
	v_add_nc_u32_e32 v1, v72, v1
	s_wait_kmcnt 0x0
	s_mul_i32 s20, s33, s25
	s_ashr_i32 s41, s25, 31
	s_mov_b32 s40, s25
	s_ashr_i32 s25, s24, 31
	v_lshrrev_b32_e32 v1, s21, v1
	s_lshr_b64 s[24:25], s[24:25], 2
	s_ashr_i32 s21, s20, 31
	s_delay_alu instid0(VALU_DEP_1) | instskip(NEXT) | instid1(VALU_DEP_1)
	v_mul_lo_u32 v1, v1, s22
	v_sub_nc_u32_e32 v2, v72, v1
	v_bfe_u32 v1, v0, 10, 10
	s_delay_alu instid0(VALU_DEP_1) | instskip(NEXT) | instid1(VALU_DEP_3)
	v_lshlrev_b32_e32 v6, 2, v1
	v_mul_u64_e32 v[8:9], s[24:25], v[2:3]
	v_mov_b32_e32 v11, v3
	s_lshr_b64 s[24:25], s[40:41], 2
	s_delay_alu instid0(VALU_DEP_3) | instskip(SKIP_3) | instid1(VALU_DEP_4)
	v_and_b32_e32 v32, 4, v6
	v_bitop3_b32 v4, v6, 5, 1 bitop3:0xc8
	v_bitop3_b32 v10, v6, 6, 2 bitop3:0xc8
	;; [unrolled: 1-line block ×3, first 2 shown]
	v_mul_u64_e32 v[14:15], s[24:25], v[32:33]
	v_and_b32_e32 v33, 0x3ff, v0
	v_mov_b32_e32 v13, v3
	v_mul_u64_e32 v[16:17], s[24:25], v[4:5]
	v_mul_u64_e32 v[10:11], s[24:25], v[10:11]
	v_lshlrev_b32_e32 v0, 9, v1
	v_lshlrev_b32_e32 v4, 3, v33
	v_mul_u64_e32 v[12:13], s[24:25], v[12:13]
	s_mul_i32 s24, s2, s26
	v_lshl_add_u32 v3, v33, 2, 0x5800
	s_ashr_i32 s25, s24, 31
	s_cmp_eq_u64 s[14:15], 0
	s_add_nc_u64 s[4:5], s[4:5], s[24:25]
	s_delay_alu instid0(SALU_CYCLE_1) | instskip(NEXT) | instid1(SALU_CYCLE_1)
	s_add_nc_u64 s[4:5], s[4:5], s[20:21]
	v_lshl_add_u64 v[8:9], v[8:9], 2, s[4:5]
	s_load_b32 s4, s[0:1], 0x40
	s_delay_alu instid0(VALU_DEP_1) | instskip(SKIP_2) | instid1(VALU_DEP_2)
	v_add_nc_u64_e32 v[8:9], v[8:9], v[4:5]
	v_or_b32_e32 v5, 1, v6
	v_or_b32_e32 v7, 2, v6
	v_lshl_add_u32 v5, v5, 7, v3
	s_delay_alu instid0(VALU_DEP_4)
	v_lshl_add_u64 v[14:15], v[14:15], 2, v[8:9]
	v_lshl_add_u64 v[16:17], v[16:17], 2, v[8:9]
	v_lshl_add_u64 v[10:11], v[10:11], 2, v[8:9]
	v_lshl_add_u64 v[8:9], v[12:13], 2, v[8:9]
	s_clause 0x3
	global_load_b64 v[14:15], v[14:15], off
	global_load_b64 v[12:13], v[16:17], off
	;; [unrolled: 1-line block ×4, first 2 shown]
	s_wait_xcnt 0x0
	v_add_nc_u32_e32 v8, v3, v0
	v_lshl_add_u32 v7, v7, 7, v3
	s_wait_loadcnt 0x2
	s_wait_kmcnt 0x0
	v_fma_mixlo_f16 v12, s4, v12, 0
	v_fma_mixlo_f16 v10, s4, v14, 0
	;; [unrolled: 1-line block ×4, first 2 shown]
	s_wait_loadcnt 0x1
	v_fma_mixlo_f16 v14, s4, v18, 0
	v_fma_mixlo_f16 v15, s4, v19, 0
	s_wait_loadcnt 0x0
	v_fma_mixlo_f16 v16, s4, v20, 0
	v_fma_mixlo_f16 v17, s4, v21, 0
	v_dual_lshlrev_b32 v11, 16, v11 :: v_dual_bitop2_b32 v9, 3, v6 bitop3:0x54
	v_and_b32_e32 v10, 0xffff, v10
	v_dual_lshlrev_b32 v13, 16, v13 :: v_dual_lshlrev_b32 v15, 16, v15
	v_and_b32_e32 v12, 0xffff, v12
	v_and_b32_e32 v14, 0xffff, v14
	v_lshlrev_b32_e32 v17, 16, v17
	v_and_b32_e32 v16, 0xffff, v16
	v_lshl_add_u32 v3, v9, 7, v3
	v_or_b32_e32 v9, v11, v10
	v_or_b32_e32 v10, v13, v12
	;; [unrolled: 1-line block ×4, first 2 shown]
	ds_store_b32 v8, v9
	ds_store_b32 v5, v10
	;; [unrolled: 1-line block ×4, first 2 shown]
	s_wait_dscnt 0x0
	s_barrier_signal -1
	s_barrier_wait -1
	s_cbranch_scc1 .LBB9_4
; %bb.3:
	s_load_b32 s4, s[0:1], 0xd0
	s_wait_kmcnt 0x0
	s_mul_i32 s4, s4, s2
	s_delay_alu instid0(SALU_CYCLE_1)
	s_add_co_i32 s4, s4, s10
	s_load_b32 s28, s[14:15], s4 offset:0x0 scale_offset
.LBB9_4:
	s_wait_xcnt 0x0
	s_bfe_u32 s4, ttmp6, 0x40010
	s_and_b32 s5, ttmp7, 0xffff
	s_add_co_i32 s4, s4, 1
	s_bfe_u32 s10, ttmp6, 0x40004
	s_mul_i32 s4, s5, s4
	v_mbcnt_lo_u32_b32 v73, -1, 0
	s_add_co_i32 s10, s10, s4
	s_cmp_eq_u32 s34, 0
	s_cselect_b32 s29, s5, s10
	s_mov_b32 s5, 0
	s_lshl_b32 s4, s29, 7
	s_wait_kmcnt 0x0
	s_cmp_lt_i32 s4, s28
	s_cbranch_scc1 .LBB9_7
; %bb.5:
	v_mbcnt_lo_u32_b32 v5, -1, 0
	s_delay_alu instid0(VALU_DEP_1)
	v_dual_mov_b32 v75, 32 :: v_dual_bitop2_b32 v81, 16, v5 bitop3:0x14
	v_xor_b32_e32 v79, 8, v5
	v_xor_b32_e32 v78, 4, v5
	v_xor_b32_e32 v77, 2, v5
	v_xor_b32_e32 v76, 1, v5
	s_and_not1_b32 vcc_lo, exec_lo, s5
	s_cbranch_vccz .LBB9_8
; %bb.6:
	v_dual_mov_b32 v106, 0 :: v_dual_mov_b32 v47, 0
	v_dual_mov_b32 v3, 0xfeffffff :: v_dual_mov_b32 v2, 0xfeffffff
	;; [unrolled: 1-line block ×3, first 2 shown]
	s_delay_alu instid0(VALU_DEP_3)
	v_dual_mov_b32 v46, v47 :: v_dual_mov_b32 v53, v47
	v_dual_mov_b32 v52, v47 :: v_dual_mov_b32 v105, 0
	;; [unrolled: 1-line block ×3, first 2 shown]
	s_branch .LBB9_11
.LBB9_7:
                                        ; implicit-def: $vgpr5
                                        ; implicit-def: $vgpr75
                                        ; implicit-def: $vgpr81
                                        ; implicit-def: $vgpr79
                                        ; implicit-def: $vgpr78
                                        ; implicit-def: $vgpr77
                                        ; implicit-def: $vgpr76
.LBB9_8:
	s_mul_f32 s5, s27, 0x4f7ffffe
	s_clause 0x1
	s_load_b128 s[24:27], s[0:1], 0x98
	s_load_b64 s[14:15], s[0:1], 0x8c
	s_sub_co_i32 s10, 0, s38
	s_ashr_i32 s36, s3, 31
	s_cvt_u32_f32 s20, s5
	s_abs_i32 s34, s33
	s_mov_b32 s11, s35
	s_ashr_i32 s21, s33, 31
	s_mul_i32 s10, s10, s20
	s_ashr_i32 s5, s37, 1
	s_mul_hi_u32 s3, s20, s10
	v_mad_u32 v85, v2, s5, v33
	s_add_co_i32 s10, s20, s3
	s_ashr_i32 s3, s2, 31
	s_mul_u64 s[10:11], s[34:35], s[10:11]
	s_xor_b32 s35, s21, s36
	s_mul_i32 s10, s11, s38
	s_add_co_i32 s36, s11, 1
	s_sub_co_i32 s34, s34, s10
	s_load_b64 s[20:21], s[0:1], 0xa8
	s_wait_kmcnt 0x0
	s_ashr_i32 s10, s26, 2
	s_ashr_i32 s14, s14, 2
	s_sub_co_i32 s26, s34, s38
	s_cmp_ge_u32 s34, s38
	s_mul_u64 s[24:25], s[24:25], s[2:3]
	s_cselect_b32 s11, s36, s11
	s_cselect_b32 s26, s26, s34
	s_add_co_i32 s34, s11, 1
	s_cmp_ge_u32 s26, s38
	v_lshl_add_u32 v86, v1, 10, 0x4800
	s_cselect_b32 s11, s34, s11
	s_lshl_b32 s26, s14, 4
	v_dual_lshrrev_b32 v3, 3, v33 :: v_dual_lshlrev_b32 v74, 2, v33
	s_xor_b32 s11, s11, s35
	s_add_nc_u64 s[6:7], s[6:7], s[24:25]
	s_sub_co_i32 s11, s11, s35
	s_delay_alu instid0(VALU_DEP_1)
	v_add_nc_u32_e32 v3, v3, v6
	s_mul_i32 s34, s11, s15
	s_mul_u64 s[20:21], s[20:21], s[2:3]
	s_lshl_b32 s3, s10, 4
	s_mul_i32 s24, s11, s27
	v_mul_lo_u32 v34, s14, v3
	v_mul_lo_u32 v40, s10, v3
	v_mov_b32_e32 v57, 0
	v_mul_u32_u24_e32 v83, 0x90, v33
	v_dual_mov_b32 v2, 0xfeffffff :: v_dual_mov_b32 v75, 32
	v_dual_add_nc_u32 v87, v86, v4 :: v_dual_bitop2_b32 v81, 16, v73 bitop3:0x14
	v_add_nc_u32_e32 v89, 0x400, v74
	v_add_nc_u32_e32 v90, 0x800, v74
	;; [unrolled: 1-line block ×4, first 2 shown]
	v_and_b32_e32 v6, 28, v74
	v_ashrrev_i32_e32 v35, 31, v34
	v_dual_mov_b32 v53, v57 :: v_dual_add_nc_u32 v82, 0x5800, v0
	s_delay_alu instid0(VALU_DEP_4) | instskip(SKIP_3) | instid1(VALU_DEP_3)
	v_add_nc_u32_e32 v38, s26, v36
	v_add_nc_u32_e32 v48, s3, v40
	v_mov_b32_e32 v0, 0xfeffffff
	v_dual_mov_b32 v1, 0xfeffffff :: v_dual_lshlrev_b32 v56, 2, v6
	v_dual_add_nc_u32 v42, s26, v38 :: v_dual_add_nc_u32 v54, s3, v48
	v_dual_mov_b32 v52, v57 :: v_dual_mov_b32 v46, v57
	v_dual_mov_b32 v107, v57 :: v_dual_bitop2_b32 v79, 8, v73 bitop3:0x14
	s_delay_alu instid0(VALU_DEP_3) | instskip(NEXT) | instid1(VALU_DEP_4)
	v_add_nc_u32_e32 v44, s26, v42
	v_add_nc_u32_e32 v60, s3, v54
	v_dual_lshlrev_b32 v5, 2, v6 :: v_dual_bitop2_b32 v78, 4, v73 bitop3:0x14
	s_delay_alu instid0(VALU_DEP_3) | instskip(NEXT) | instid1(VALU_DEP_3)
	v_dual_mov_b32 v104, v57 :: v_dual_ashrrev_i32 v45, 31, v44
	v_dual_ashrrev_i32 v39, 31, v38 :: v_dual_add_nc_u32 v64, s3, v60
	v_dual_add_nc_u32 v50, s26, v44 :: v_dual_ashrrev_i32 v43, 31, v42
	v_ashrrev_i32_e32 v37, 31, v36
	v_lshl_or_b32 v84, v3, 7, v5
	s_delay_alu instid0(VALU_DEP_3) | instskip(SKIP_2) | instid1(VALU_DEP_3)
	v_dual_add_nc_u32 v66, s3, v64 :: v_dual_add_nc_u32 v58, s26, v50
	v_mad_u32_u24 v80, 0x90, v3, v5
	v_dual_ashrrev_i32 v61, 31, v60 :: v_dual_ashrrev_i32 v51, 31, v50
	v_dual_ashrrev_i32 v41, 31, v40 :: v_dual_add_nc_u32 v68, s3, v66
	s_delay_alu instid0(VALU_DEP_4) | instskip(SKIP_1) | instid1(VALU_DEP_2)
	v_dual_add_nc_u32 v62, s26, v58 :: v_dual_ashrrev_i32 v59, 31, v58
	v_dual_ashrrev_i32 v55, 31, v54 :: v_dual_ashrrev_i32 v49, 31, v48
	v_dual_add_nc_u32 v70, s3, v68 :: v_dual_ashrrev_i32 v63, 31, v62
	v_dual_ashrrev_i32 v65, 31, v64 :: v_dual_ashrrev_i32 v67, 31, v66
	s_delay_alu instid0(VALU_DEP_2)
	v_dual_ashrrev_i32 v69, 31, v68 :: v_dual_ashrrev_i32 v71, 31, v70
	v_mov_b32_e32 v3, 0xfeffffff
	v_dual_mov_b32 v47, v57 :: v_dual_add_nc_u32 v88, 0x3800, v84
	v_dual_mov_b32 v105, v57 :: v_dual_bitop2_b32 v77, 2, v73 bitop3:0x14
	v_dual_mov_b32 v106, v57 :: v_dual_bitop2_b32 v76, 1, v73 bitop3:0x14
	v_add_nc_u32_e32 v92, 0x1000, v74
	v_add_nc_u32_e32 v93, 0x1400, v74
	;; [unrolled: 1-line block ×12, first 2 shown]
	s_ashr_i32 s35, s34, 31
	s_add_nc_u64 s[8:9], s[8:9], s[20:21]
	s_ashr_i32 s25, s24, 31
	s_add_nc_u64 s[6:7], s[6:7], s[34:35]
	s_add_nc_u64 s[8:9], s[8:9], s[24:25]
	s_ashr_i32 s15, s14, 31
	s_ashr_i32 s11, s10, 31
	s_add_nc_u64 s[20:21], s[0:1], 0xd0
.LBB9_9:                                ; =>This Inner Loop Header: Depth=1
	s_ashr_i32 s5, s4, 31
	v_dual_mov_b32 v110, v1 :: v_dual_mov_b32 v111, v0
	s_mul_u64 s[24:25], s[4:5], s[14:15]
	v_dual_mov_b32 v108, v3 :: v_dual_mov_b32 v109, v2
	s_lshl_b64 s[24:25], s[24:25], 2
	v_dual_mov_b32 v115, 0 :: v_dual_add_nc_u32 v4, 0x900, v80
	s_add_nc_u64 s[24:25], s[6:7], s[24:25]
	v_dual_mov_b32 v114, 0 :: v_dual_mov_b32 v112, 0
	v_lshl_add_u64 v[0:1], v[34:35], 2, s[24:25]
	v_cmp_gt_i32_e32 vcc_lo, 32, v81
	v_mov_b32_e32 v113, 0
	s_delay_alu instid0(VALU_DEP_3) | instskip(SKIP_4) | instid1(VALU_DEP_1)
	v_add_nc_u64_e32 v[0:1], v[0:1], v[56:57]
	global_load_b128 v[0:3], v[0:1], off
	s_wait_loadcnt 0x0
	ds_store_b128 v80, v[0:3]
	v_lshl_add_u64 v[0:1], v[36:37], 2, s[24:25]
	v_add_nc_u64_e32 v[0:1], v[0:1], v[56:57]
	global_load_b128 v[0:3], v[0:1], off
	s_wait_loadcnt 0x0
	ds_store_b128 v4, v[0:3]
	v_lshl_add_u64 v[0:1], v[38:39], 2, s[24:25]
	v_add_nc_u32_e32 v4, 0x1200, v80
	s_delay_alu instid0(VALU_DEP_2)
	v_add_nc_u64_e32 v[0:1], v[0:1], v[56:57]
	global_load_b128 v[0:3], v[0:1], off
	s_wait_loadcnt 0x0
	ds_store_b128 v4, v[0:3]
	v_lshl_add_u64 v[0:1], v[42:43], 2, s[24:25]
	v_add_nc_u32_e32 v4, 0x1b00, v80
	s_delay_alu instid0(VALU_DEP_2)
	;; [unrolled: 7-line block ×5, first 2 shown]
	v_add_nc_u64_e32 v[0:1], v[0:1], v[56:57]
	global_load_b128 v[0:3], v[0:1], off
	s_wait_loadcnt 0x0
	ds_store_b128 v4, v[0:3]
	v_lshl_add_u64 v[0:1], v[62:63], 2, s[24:25]
	v_add_nc_u32_e32 v4, 0x3f00, v80
	s_mul_u64 s[24:25], s[4:5], s[10:11]
	s_delay_alu instid0(SALU_CYCLE_1) | instskip(NEXT) | instid1(VALU_DEP_2)
	s_lshl_b64 s[24:25], s[24:25], 2
	v_add_nc_u64_e32 v[0:1], v[0:1], v[56:57]
	s_add_nc_u64 s[24:25], s[8:9], s[24:25]
	global_load_b128 v[0:3], v[0:1], off
	s_wait_loadcnt 0x0
	ds_store_b128 v4, v[0:3]
	s_wait_dscnt 0x0
	s_barrier_signal -1
	s_barrier_wait -1
	ds_load_b128 v[28:31], v83
	ds_load_b128 v[24:27], v83 offset:4608
	ds_load_b128 v[20:23], v83 offset:9216
	;; [unrolled: 1-line block ×3, first 2 shown]
	ds_load_b128 v[16:19], v82
	ds_load_b128 v[12:15], v82 offset:128
	ds_load_b128 v[8:11], v82 offset:256
	;; [unrolled: 1-line block ×3, first 2 shown]
	s_wait_dscnt 0x3
	;;#ASMSTART
	v_dot2_f32_f16 v115, v28, v16, v115
	;;#ASMEND
	;;#ASMSTART
	v_dot2_f32_f16 v115, v29, v17, v115
	;;#ASMEND
	;;#ASMSTART
	v_dot2_f32_f16 v115, v30, v18, v115
	;;#ASMEND
	;;#ASMSTART
	v_dot2_f32_f16 v115, v31, v19, v115
	;;#ASMEND
	s_wait_dscnt 0x2
	;;#ASMSTART
	v_dot2_f32_f16 v114, v28, v12, v114
	;;#ASMEND
	;;#ASMSTART
	v_dot2_f32_f16 v114, v29, v13, v114
	;;#ASMEND
	;;#ASMSTART
	v_dot2_f32_f16 v114, v30, v14, v114
	;;#ASMEND
	;;#ASMSTART
	v_dot2_f32_f16 v114, v31, v15, v114
	;;#ASMEND
	;; [unrolled: 13-line block ×4, first 2 shown]
	v_mov_b32_e32 v31, 0
	;;#ASMSTART
	v_dot2_f32_f16 v31, v24, v16, v31
	;;#ASMEND
	;;#ASMSTART
	v_dot2_f32_f16 v31, v25, v17, v31
	;;#ASMEND
	;; [unrolled: 3-line block ×3, first 2 shown]
	v_dual_mov_b32 v30, 0 :: v_dual_mov_b32 v28, 0
	;;#ASMSTART
	v_dot2_f32_f16 v31, v27, v19, v31
	;;#ASMEND
	;;#ASMSTART
	v_dot2_f32_f16 v30, v24, v12, v30
	;;#ASMEND
	;; [unrolled: 3-line block ×4, first 2 shown]
	v_mov_b32_e32 v29, 0
	;;#ASMSTART
	v_dot2_f32_f16 v30, v27, v15, v30
	;;#ASMEND
	;;#ASMSTART
	v_dot2_f32_f16 v29, v24, v8, v29
	;;#ASMEND
	;; [unrolled: 3-line block ×9, first 2 shown]
	v_mov_b32_e32 v27, 0
	;;#ASMSTART
	v_dot2_f32_f16 v27, v20, v16, v27
	;;#ASMEND
	;;#ASMSTART
	v_dot2_f32_f16 v27, v21, v17, v27
	;;#ASMEND
	;; [unrolled: 3-line block ×3, first 2 shown]
	v_dual_mov_b32 v26, 0 :: v_dual_mov_b32 v24, 0
	;;#ASMSTART
	v_dot2_f32_f16 v27, v23, v19, v27
	;;#ASMEND
	;;#ASMSTART
	v_dot2_f32_f16 v26, v20, v12, v26
	;;#ASMEND
	;; [unrolled: 3-line block ×4, first 2 shown]
	v_mov_b32_e32 v25, 0
	;;#ASMSTART
	v_dot2_f32_f16 v26, v23, v15, v26
	;;#ASMEND
	;;#ASMSTART
	v_dot2_f32_f16 v25, v20, v8, v25
	;;#ASMEND
	;; [unrolled: 3-line block ×8, first 2 shown]
	v_mov_b32_e32 v20, 0
	;;#ASMSTART
	v_dot2_f32_f16 v24, v23, v7, v24
	;;#ASMEND
	;;#ASMSTART
	v_dot2_f32_f16 v20, v0, v16, v20
	;;#ASMEND
	;; [unrolled: 3-line block ×4, first 2 shown]
	v_mov_b32_e32 v16, 0
	;;#ASMSTART
	v_dot2_f32_f16 v20, v3, v19, v20
	;;#ASMEND
	;;#ASMSTART
	v_dot2_f32_f16 v16, v0, v12, v16
	;;#ASMEND
	;; [unrolled: 3-line block ×5, first 2 shown]
	v_mov_b32_e32 v15, 0
	;;#ASMSTART
	v_dot2_f32_f16 v15, v0, v8, v15
	;;#ASMEND
	;;#ASMSTART
	v_dot2_f32_f16 v15, v1, v9, v15
	;;#ASMEND
	;; [unrolled: 3-line block ×3, first 2 shown]
	v_mov_b32_e32 v21, 0
	;;#ASMSTART
	v_dot2_f32_f16 v15, v3, v11, v15
	;;#ASMEND
	;;#ASMSTART
	v_dot2_f32_f16 v21, v0, v4, v21
	;;#ASMEND
	;; [unrolled: 3-line block ×5, first 2 shown]
	ds_load_b128 v[0:3], v83 offset:16
	ds_load_b128 v[4:7], v83 offset:4624
	;; [unrolled: 1-line block ×8, first 2 shown]
	s_wait_dscnt 0x3
	;;#ASMSTART
	v_dot2_f32_f16 v115, v0, v120, v115
	;;#ASMEND
	;;#ASMSTART
	v_dot2_f32_f16 v115, v1, v121, v115
	;;#ASMEND
	;;#ASMSTART
	v_dot2_f32_f16 v115, v2, v122, v115
	;;#ASMEND
	;;#ASMSTART
	v_dot2_f32_f16 v115, v3, v123, v115
	;;#ASMEND
	s_wait_dscnt 0x2
	;;#ASMSTART
	v_dot2_f32_f16 v114, v0, v124, v114
	;;#ASMEND
	;;#ASMSTART
	v_dot2_f32_f16 v114, v1, v125, v114
	;;#ASMEND
	;;#ASMSTART
	v_dot2_f32_f16 v114, v2, v126, v114
	;;#ASMEND
	;;#ASMSTART
	v_dot2_f32_f16 v114, v3, v127, v114
	;;#ASMEND
	s_wait_dscnt 0x1
	;;#ASMSTART
	v_dot2_f32_f16 v113, v0, v128, v113
	;;#ASMEND
	;;#ASMSTART
	v_dot2_f32_f16 v113, v1, v129, v113
	;;#ASMEND
	;;#ASMSTART
	v_dot2_f32_f16 v113, v2, v130, v113
	;;#ASMEND
	;;#ASMSTART
	v_dot2_f32_f16 v113, v3, v131, v113
	;;#ASMEND
	s_wait_dscnt 0x0
	;;#ASMSTART
	v_dot2_f32_f16 v112, v0, v132, v112
	;;#ASMEND
	;;#ASMSTART
	v_dot2_f32_f16 v112, v1, v133, v112
	;;#ASMEND
	;;#ASMSTART
	v_dot2_f32_f16 v112, v2, v134, v112
	;;#ASMEND
	;;#ASMSTART
	v_dot2_f32_f16 v112, v3, v135, v112
	;;#ASMEND
	;;#ASMSTART
	v_dot2_f32_f16 v31, v4, v120, v31
	;;#ASMEND
	;;#ASMSTART
	v_dot2_f32_f16 v31, v5, v121, v31
	;;#ASMEND
	;; [unrolled: 3-line block ×48, first 2 shown]
	ds_load_b128 v[0:3], v83 offset:32
	ds_load_b128 v[4:7], v83 offset:4640
	;; [unrolled: 1-line block ×8, first 2 shown]
	s_wait_dscnt 0x3
	;;#ASMSTART
	v_dot2_f32_f16 v115, v0, v120, v115
	;;#ASMEND
	;;#ASMSTART
	v_dot2_f32_f16 v115, v1, v121, v115
	;;#ASMEND
	;;#ASMSTART
	v_dot2_f32_f16 v115, v2, v122, v115
	;;#ASMEND
	;;#ASMSTART
	v_dot2_f32_f16 v115, v3, v123, v115
	;;#ASMEND
	s_wait_dscnt 0x2
	;;#ASMSTART
	v_dot2_f32_f16 v114, v0, v124, v114
	;;#ASMEND
	;;#ASMSTART
	v_dot2_f32_f16 v114, v1, v125, v114
	;;#ASMEND
	;;#ASMSTART
	v_dot2_f32_f16 v114, v2, v126, v114
	;;#ASMEND
	;;#ASMSTART
	v_dot2_f32_f16 v114, v3, v127, v114
	;;#ASMEND
	;; [unrolled: 13-line block ×4, first 2 shown]
	;;#ASMSTART
	v_dot2_f32_f16 v31, v4, v120, v31
	;;#ASMEND
	;;#ASMSTART
	v_dot2_f32_f16 v31, v5, v121, v31
	;;#ASMEND
	;; [unrolled: 3-line block ×48, first 2 shown]
	ds_load_b128 v[0:3], v83 offset:48
	ds_load_b128 v[4:7], v83 offset:4656
	;; [unrolled: 1-line block ×8, first 2 shown]
	s_wait_dscnt 0x3
	;;#ASMSTART
	v_dot2_f32_f16 v115, v0, v120, v115
	;;#ASMEND
	;;#ASMSTART
	v_dot2_f32_f16 v115, v1, v121, v115
	;;#ASMEND
	;;#ASMSTART
	v_dot2_f32_f16 v115, v2, v122, v115
	;;#ASMEND
	;;#ASMSTART
	v_dot2_f32_f16 v115, v3, v123, v115
	;;#ASMEND
	s_wait_dscnt 0x2
	;;#ASMSTART
	v_dot2_f32_f16 v114, v0, v124, v114
	;;#ASMEND
	;;#ASMSTART
	v_dot2_f32_f16 v114, v1, v125, v114
	;;#ASMEND
	;;#ASMSTART
	v_dot2_f32_f16 v114, v2, v126, v114
	;;#ASMEND
	;;#ASMSTART
	v_dot2_f32_f16 v114, v3, v127, v114
	;;#ASMEND
	;; [unrolled: 13-line block ×4, first 2 shown]
	;;#ASMSTART
	v_dot2_f32_f16 v31, v4, v120, v31
	;;#ASMEND
	;;#ASMSTART
	v_dot2_f32_f16 v31, v5, v121, v31
	;;#ASMEND
	;; [unrolled: 3-line block ×48, first 2 shown]
	ds_load_b128 v[0:3], v83 offset:64
	ds_load_b128 v[4:7], v83 offset:4672
	;; [unrolled: 1-line block ×8, first 2 shown]
	s_wait_dscnt 0x3
	;;#ASMSTART
	v_dot2_f32_f16 v115, v0, v120, v115
	;;#ASMEND
	;;#ASMSTART
	v_dot2_f32_f16 v115, v1, v121, v115
	;;#ASMEND
	;;#ASMSTART
	v_dot2_f32_f16 v115, v2, v122, v115
	;;#ASMEND
	;;#ASMSTART
	v_dot2_f32_f16 v115, v3, v123, v115
	;;#ASMEND
	s_wait_dscnt 0x2
	;;#ASMSTART
	v_dot2_f32_f16 v114, v0, v124, v114
	;;#ASMEND
	;;#ASMSTART
	v_dot2_f32_f16 v114, v1, v125, v114
	;;#ASMEND
	;;#ASMSTART
	v_dot2_f32_f16 v114, v2, v126, v114
	;;#ASMEND
	;;#ASMSTART
	v_dot2_f32_f16 v114, v3, v127, v114
	;;#ASMEND
	;; [unrolled: 13-line block ×4, first 2 shown]
	;;#ASMSTART
	v_dot2_f32_f16 v31, v4, v120, v31
	;;#ASMEND
	;;#ASMSTART
	v_dot2_f32_f16 v31, v5, v121, v31
	;;#ASMEND
	;; [unrolled: 3-line block ×48, first 2 shown]
	ds_load_b128 v[0:3], v83 offset:80
	ds_load_b128 v[4:7], v83 offset:4688
	;; [unrolled: 1-line block ×8, first 2 shown]
	s_wait_dscnt 0x3
	;;#ASMSTART
	v_dot2_f32_f16 v115, v0, v120, v115
	;;#ASMEND
	;;#ASMSTART
	v_dot2_f32_f16 v115, v1, v121, v115
	;;#ASMEND
	;;#ASMSTART
	v_dot2_f32_f16 v115, v2, v122, v115
	;;#ASMEND
	;;#ASMSTART
	v_dot2_f32_f16 v115, v3, v123, v115
	;;#ASMEND
	s_wait_dscnt 0x2
	;;#ASMSTART
	v_dot2_f32_f16 v114, v0, v124, v114
	;;#ASMEND
	;;#ASMSTART
	v_dot2_f32_f16 v114, v1, v125, v114
	;;#ASMEND
	;;#ASMSTART
	v_dot2_f32_f16 v114, v2, v126, v114
	;;#ASMEND
	;;#ASMSTART
	v_dot2_f32_f16 v114, v3, v127, v114
	;;#ASMEND
	;; [unrolled: 13-line block ×4, first 2 shown]
	;;#ASMSTART
	v_dot2_f32_f16 v31, v4, v120, v31
	;;#ASMEND
	;;#ASMSTART
	v_dot2_f32_f16 v31, v5, v121, v31
	;;#ASMEND
	;; [unrolled: 3-line block ×48, first 2 shown]
	ds_load_b128 v[0:3], v83 offset:96
	ds_load_b128 v[4:7], v83 offset:4704
	;; [unrolled: 1-line block ×8, first 2 shown]
	s_wait_dscnt 0x3
	;;#ASMSTART
	v_dot2_f32_f16 v115, v0, v120, v115
	;;#ASMEND
	;;#ASMSTART
	v_dot2_f32_f16 v115, v1, v121, v115
	;;#ASMEND
	;;#ASMSTART
	v_dot2_f32_f16 v115, v2, v122, v115
	;;#ASMEND
	;;#ASMSTART
	v_dot2_f32_f16 v115, v3, v123, v115
	;;#ASMEND
	s_wait_dscnt 0x2
	;;#ASMSTART
	v_dot2_f32_f16 v114, v0, v124, v114
	;;#ASMEND
	;;#ASMSTART
	v_dot2_f32_f16 v114, v1, v125, v114
	;;#ASMEND
	;;#ASMSTART
	v_dot2_f32_f16 v114, v2, v126, v114
	;;#ASMEND
	;;#ASMSTART
	v_dot2_f32_f16 v114, v3, v127, v114
	;;#ASMEND
	;; [unrolled: 13-line block ×4, first 2 shown]
	;;#ASMSTART
	v_dot2_f32_f16 v31, v4, v120, v31
	;;#ASMEND
	;;#ASMSTART
	v_dot2_f32_f16 v31, v5, v121, v31
	;;#ASMEND
	;; [unrolled: 3-line block ×48, first 2 shown]
	ds_load_b128 v[0:3], v83 offset:112
	ds_load_b128 v[4:7], v83 offset:4720
	;; [unrolled: 1-line block ×8, first 2 shown]
	s_wait_dscnt 0x3
	;;#ASMSTART
	v_dot2_f32_f16 v115, v0, v120, v115
	;;#ASMEND
	;;#ASMSTART
	v_dot2_f32_f16 v115, v1, v121, v115
	;;#ASMEND
	;;#ASMSTART
	v_dot2_f32_f16 v115, v2, v122, v115
	;;#ASMEND
	;;#ASMSTART
	v_dot2_f32_f16 v115, v3, v123, v115
	;;#ASMEND
	s_wait_dscnt 0x2
	;;#ASMSTART
	v_dot2_f32_f16 v114, v0, v124, v114
	;;#ASMEND
	;;#ASMSTART
	v_dot2_f32_f16 v114, v1, v125, v114
	;;#ASMEND
	;;#ASMSTART
	v_dot2_f32_f16 v114, v2, v126, v114
	;;#ASMEND
	;;#ASMSTART
	v_dot2_f32_f16 v114, v3, v127, v114
	;;#ASMEND
	;; [unrolled: 13-line block ×4, first 2 shown]
	;;#ASMSTART
	v_dot2_f32_f16 v31, v4, v120, v31
	;;#ASMEND
	;;#ASMSTART
	v_dot2_f32_f16 v31, v5, v121, v31
	;;#ASMEND
	;; [unrolled: 3-line block ×15, first 2 shown]
	v_cndmask_b32_e32 v1, v73, v81, vcc_lo
	v_cmp_gt_i32_e32 vcc_lo, 32, v79
	;;#ASMSTART
	v_dot2_f32_f16 v28, v7, v135, v28
	;;#ASMEND
	;;#ASMSTART
	v_dot2_f32_f16 v27, v8, v120, v27
	;;#ASMEND
	;; [unrolled: 3-line block ×7, first 2 shown]
	v_dual_cndmask_b32 v1, v73, v79 :: v_dual_lshlrev_b32 v4, 2, v1
	v_cmp_gt_i32_e32 vcc_lo, 32, v78
	;;#ASMSTART
	v_dot2_f32_f16 v26, v10, v126, v26
	;;#ASMEND
	;;#ASMSTART
	v_dot2_f32_f16 v26, v11, v127, v26
	;;#ASMEND
	;; [unrolled: 3-line block ×7, first 2 shown]
	v_dual_lshlrev_b32 v3, 2, v1 :: v_dual_cndmask_b32 v1, v73, v78, vcc_lo
	v_cmp_gt_i32_e32 vcc_lo, 32, v77
	;;#ASMSTART
	v_dot2_f32_f16 v24, v9, v133, v24
	;;#ASMEND
	;;#ASMSTART
	v_dot2_f32_f16 v24, v10, v134, v24
	;;#ASMEND
	;; [unrolled: 3-line block ×6, first 2 shown]
	v_lshlrev_b32_e32 v22, 2, v1
	v_cndmask_b32_e32 v1, v73, v77, vcc_lo
	v_cmp_gt_i32_e32 vcc_lo, 32, v76
	;;#ASMSTART
	v_dot2_f32_f16 v20, v119, v123, v20
	;;#ASMEND
	;;#ASMSTART
	v_dot2_f32_f16 v16, v116, v124, v16
	;;#ASMEND
	;; [unrolled: 3-line block ×7, first 2 shown]
	v_add_nc_u32_e32 v0, s4, v85
	v_dual_cndmask_b32 v1, v73, v76 :: v_dual_lshlrev_b32 v12, 2, v1
	;;#ASMSTART
	v_dot2_f32_f16 v15, v118, v130, v15
	;;#ASMEND
	;;#ASMSTART
	v_dot2_f32_f16 v15, v119, v131, v15
	;;#ASMEND
	;; [unrolled: 3-line block ×6, first 2 shown]
	v_lshlrev_b32_e32 v6, 2, v1
	s_clause 0x1
	global_load_u16 v1, v0, s[30:31] scale_offset
	global_load_u16 v2, v0, s[30:31] offset:64 scale_offset
	s_wait_loadcnt 0x1
	v_cvt_f32_f16_e32 v17, v1
	s_wait_loadcnt 0x0
	v_cvt_f32_f16_e32 v19, v2
	s_delay_alu instid0(VALU_DEP_2) | instskip(NEXT) | instid1(VALU_DEP_2)
	v_add_f32_e32 v23, v115, v17
	v_dual_add_f32 v13, v31, v19 :: v_dual_add_f32 v7, v30, v19
	v_add_f32_e32 v5, v114, v17
	s_delay_alu instid0(VALU_DEP_2) | instskip(NEXT) | instid1(VALU_DEP_1)
	v_dual_add_f32 v1, 0x40051340, v23 :: v_dual_add_f32 v2, 0x40051340, v13
	v_max3_num_f32 v1, v111, v1, v2
	s_clause 0x1
	global_load_u16 v2, v0, s[30:31] offset:128 scale_offset
	global_load_u16 v0, v0, s[30:31] offset:192 scale_offset
	s_wait_loadcnt 0x0
	s_barrier_signal -1
	s_barrier_wait -1
	v_cvt_f32_f16_e32 v31, v2
	s_delay_alu instid0(VALU_DEP_1) | instskip(SKIP_1) | instid1(VALU_DEP_2)
	v_add_f32_e32 v8, v27, v31
	v_cvt_f32_f16_e32 v27, v0
	v_dual_add_f32 v9, v26, v31 :: v_dual_add_f32 v2, 0x40051340, v8
	s_delay_alu instid0(VALU_DEP_2)
	v_add_f32_e32 v10, v20, v27
	v_add_f32_e32 v11, v16, v27
	;; [unrolled: 1-line block ×3, first 2 shown]
	v_dual_add_f32 v20, v15, v27 :: v_dual_add_f32 v21, v21, v27
	s_wait_xcnt 0x0
	v_add_f32_e32 v0, 0x40051340, v10
	v_add_f32_e32 v14, 0x40051340, v11
	;; [unrolled: 1-line block ×3, first 2 shown]
	v_dual_add_f32 v15, 0x40051340, v20 :: v_dual_add_f32 v26, 0x40051340, v21
	s_delay_alu instid0(VALU_DEP_4) | instskip(SKIP_4) | instid1(VALU_DEP_1)
	v_max3_num_f32 v0, v1, v2, v0
	v_add_f32_e32 v2, 0x40051340, v7
	ds_bpermute_b32 v1, v4, v0
	s_wait_dscnt 0x0
	v_max_num_f32_e32 v1, v1, v1
	v_max_num_f32_e32 v0, v0, v1
	ds_bpermute_b32 v1, v3, v0
	s_wait_dscnt 0x0
	v_max_num_f32_e32 v1, v1, v1
	s_delay_alu instid0(VALU_DEP_1) | instskip(SKIP_3) | instid1(VALU_DEP_1)
	v_max_num_f32_e32 v0, v0, v1
	ds_bpermute_b32 v1, v22, v0
	s_wait_dscnt 0x0
	v_max_num_f32_e32 v1, v1, v1
	v_max_num_f32_e32 v0, v0, v1
	ds_bpermute_b32 v1, v12, v0
	s_wait_dscnt 0x0
	v_max_num_f32_e32 v1, v1, v1
	s_delay_alu instid0(VALU_DEP_1) | instskip(SKIP_3) | instid1(VALU_DEP_1)
	v_max_num_f32_e32 v0, v0, v1
	ds_bpermute_b32 v1, v6, v0
	s_wait_dscnt 0x0
	v_max_num_f32_e32 v1, v1, v1
	v_max_num_f32_e32 v0, v0, v1
	v_add_f32_e32 v1, 0x40051340, v5
	s_delay_alu instid0(VALU_DEP_1) | instskip(SKIP_1) | instid1(VALU_DEP_1)
	v_max3_num_f32 v1, v110, v1, v2
	v_add_f32_e32 v2, 0x40051340, v9
	v_max3_num_f32 v1, v1, v2, v14
	v_add_f32_e32 v14, v113, v17
	ds_bpermute_b32 v2, v4, v1
	s_wait_dscnt 0x0
	v_max_num_f32_e32 v2, v2, v2
	s_delay_alu instid0(VALU_DEP_1) | instskip(SKIP_4) | instid1(VALU_DEP_1)
	v_dual_max_num_f32 v1, v1, v2 :: v_dual_sub_f32 v10, v10, v0
	v_sub_f32_e32 v8, v8, v0
	ds_bpermute_b32 v2, v3, v1
	s_wait_dscnt 0x0
	v_max_num_f32_e32 v2, v2, v2
	v_max_num_f32_e32 v1, v1, v2
	ds_bpermute_b32 v2, v22, v1
	s_wait_dscnt 0x0
	v_max_num_f32_e32 v2, v2, v2
	s_delay_alu instid0(VALU_DEP_1) | instskip(SKIP_3) | instid1(VALU_DEP_1)
	v_max_num_f32_e32 v1, v1, v2
	ds_bpermute_b32 v2, v12, v1
	s_wait_dscnt 0x0
	v_max_num_f32_e32 v2, v2, v2
	v_max_num_f32_e32 v1, v1, v2
	ds_bpermute_b32 v2, v6, v1
	s_wait_dscnt 0x0
	v_max_num_f32_e32 v2, v2, v2
	s_delay_alu instid0(VALU_DEP_1) | instskip(NEXT) | instid1(VALU_DEP_1)
	v_max_num_f32_e32 v1, v1, v2
	v_dual_add_f32 v2, 0x40051340, v14 :: v_dual_sub_f32 v5, v5, v1
	s_delay_alu instid0(VALU_DEP_1) | instskip(SKIP_2) | instid1(VALU_DEP_2)
	v_max3_num_f32 v2, v109, v2, v18
	v_dual_add_f32 v18, v25, v31 :: v_dual_sub_f32 v11, v11, v1
	v_dual_sub_f32 v7, v7, v1 :: v_dual_sub_f32 v9, v9, v1
	v_add_f32_e32 v25, 0x40051340, v18
	s_delay_alu instid0(VALU_DEP_1) | instskip(SKIP_3) | instid1(VALU_DEP_1)
	v_max3_num_f32 v2, v2, v25, v15
	ds_bpermute_b32 v15, v4, v2
	s_wait_dscnt 0x0
	v_max_num_f32_e32 v15, v15, v15
	v_max_num_f32_e32 v2, v2, v15
	ds_bpermute_b32 v15, v3, v2
	s_wait_dscnt 0x0
	v_max_num_f32_e32 v15, v15, v15
	s_delay_alu instid0(VALU_DEP_1) | instskip(SKIP_3) | instid1(VALU_DEP_1)
	v_max_num_f32_e32 v2, v2, v15
	ds_bpermute_b32 v15, v22, v2
	s_wait_dscnt 0x0
	v_max_num_f32_e32 v15, v15, v15
	v_max_num_f32_e32 v2, v2, v15
	ds_bpermute_b32 v15, v12, v2
	s_wait_dscnt 0x0
	v_max_num_f32_e32 v15, v15, v15
	s_delay_alu instid0(VALU_DEP_1) | instskip(SKIP_3) | instid1(VALU_DEP_1)
	v_max_num_f32_e32 v2, v2, v15
	ds_bpermute_b32 v15, v6, v2
	s_wait_dscnt 0x0
	v_max_num_f32_e32 v15, v15, v15
	v_dual_max_num_f32 v2, v2, v15 :: v_dual_add_f32 v15, v112, v17
	v_add_f32_e32 v17, v28, v19
	s_delay_alu instid0(VALU_DEP_2) | instskip(NEXT) | instid1(VALU_DEP_2)
	v_add_f32_e32 v25, 0x40051340, v15
	v_dual_add_f32 v19, 0x40051340, v17 :: v_dual_sub_f32 v14, v14, v2
	v_dual_sub_f32 v18, v18, v2 :: v_dual_sub_f32 v20, v20, v2
	v_sub_f32_e32 v16, v16, v2
	s_delay_alu instid0(VALU_DEP_3) | instskip(SKIP_1) | instid1(VALU_DEP_1)
	v_max3_num_f32 v25, v108, v25, v19
	v_add_f32_e32 v19, v24, v31
	v_add_f32_e32 v24, 0x40051340, v19
	s_delay_alu instid0(VALU_DEP_1) | instskip(SKIP_3) | instid1(VALU_DEP_1)
	v_max3_num_f32 v24, v25, v24, v26
	ds_bpermute_b32 v4, v4, v24
	s_wait_dscnt 0x0
	v_max_num_f32_e32 v4, v4, v4
	v_max_num_f32_e32 v4, v24, v4
	ds_bpermute_b32 v3, v3, v4
	s_wait_dscnt 0x0
	v_max_num_f32_e32 v3, v3, v3
	s_delay_alu instid0(VALU_DEP_1) | instskip(SKIP_3) | instid1(VALU_DEP_1)
	v_max_num_f32_e32 v3, v4, v3
	ds_bpermute_b32 v4, v22, v3
	s_wait_dscnt 0x0
	v_max_num_f32_e32 v4, v4, v4
	v_max_num_f32_e32 v3, v3, v4
	ds_bpermute_b32 v4, v12, v3
	s_wait_dscnt 0x0
	v_max_num_f32_e32 v4, v4, v4
	s_delay_alu instid0(VALU_DEP_1) | instskip(SKIP_3) | instid1(VALU_DEP_1)
	v_max_num_f32_e32 v3, v3, v4
	ds_bpermute_b32 v4, v6, v3
	s_wait_dscnt 0x0
	v_max_num_f32_e32 v4, v4, v4
	v_max_num_f32_e32 v3, v3, v4
	v_sub_f32_e32 v4, v23, v0
	s_delay_alu instid0(VALU_DEP_1) | instskip(NEXT) | instid1(VALU_DEP_1)
	v_mul_f32_e32 v6, 0x3fb8aa3b, v4
	v_fma_f32 v22, 0x3fb8aa3b, v4, -v6
	v_rndne_f32_e32 v23, v6
	v_sub_f32_e32 v12, v111, v0
	s_delay_alu instid0(VALU_DEP_3) | instskip(NEXT) | instid1(VALU_DEP_3)
	v_fmac_f32_e32 v22, 0x32a5705f, v4
	v_sub_f32_e32 v6, v6, v23
	v_dual_sub_f32 v15, v15, v3 :: v_dual_sub_f32 v17, v17, v3
	v_dual_sub_f32 v19, v19, v3 :: v_dual_sub_f32 v21, v21, v3
	s_delay_alu instid0(VALU_DEP_3) | instskip(SKIP_2) | instid1(VALU_DEP_3)
	v_add_f32_e32 v6, v6, v22
	v_cvt_i32_f32_e32 v22, v23
	v_cmp_ngt_f32_e32 vcc_lo, 0xc2ce8ed0, v4
	v_exp_f32_e32 v6, v6
	v_nop
	s_delay_alu instid0(TRANS32_DEP_1) | instskip(NEXT) | instid1(VALU_DEP_1)
	v_ldexp_f32 v6, v6, v22
	v_cndmask_b32_e32 v6, 0, v6, vcc_lo
	v_cmp_nlt_f32_e32 vcc_lo, 0x42b17218, v4
	s_delay_alu instid0(VALU_DEP_2) | instskip(SKIP_1) | instid1(VALU_DEP_1)
	v_cndmask_b32_e32 v4, 0x7f800000, v6, vcc_lo
	v_sub_f32_e32 v6, v13, v0
	v_mul_f32_e32 v13, 0x3fb8aa3b, v6
	s_delay_alu instid0(VALU_DEP_1) | instskip(SKIP_1) | instid1(VALU_DEP_1)
	v_fma_f32 v22, 0x3fb8aa3b, v6, -v13
	v_rndne_f32_e32 v23, v13
	v_dual_fmac_f32 v22, 0x32a5705f, v6 :: v_dual_sub_f32 v13, v13, v23
	s_delay_alu instid0(VALU_DEP_1) | instskip(SKIP_2) | instid1(VALU_DEP_3)
	v_add_f32_e32 v13, v13, v22
	v_cvt_i32_f32_e32 v22, v23
	v_cmp_ngt_f32_e32 vcc_lo, 0xc2ce8ed0, v6
	v_exp_f32_e32 v13, v13
	v_nop
	s_delay_alu instid0(TRANS32_DEP_1) | instskip(NEXT) | instid1(VALU_DEP_1)
	v_ldexp_f32 v13, v13, v22
	v_cndmask_b32_e32 v13, 0, v13, vcc_lo
	v_cmp_nlt_f32_e32 vcc_lo, 0x42b17218, v6
	s_delay_alu instid0(VALU_DEP_2) | instskip(SKIP_2) | instid1(VALU_DEP_2)
	v_cndmask_b32_e32 v6, 0x7f800000, v13, vcc_lo
	v_mul_f32_e32 v13, 0x3fb8aa3b, v8
	v_cmp_ngt_f32_e32 vcc_lo, 0xc2ce8ed0, v8
	v_fma_f32 v22, 0x3fb8aa3b, v8, -v13
	v_rndne_f32_e32 v23, v13
	s_delay_alu instid0(VALU_DEP_1) | instskip(NEXT) | instid1(VALU_DEP_1)
	v_dual_fmac_f32 v22, 0x32a5705f, v8 :: v_dual_sub_f32 v13, v13, v23
	v_add_f32_e32 v13, v13, v22
	v_cvt_i32_f32_e32 v22, v23
	s_delay_alu instid0(VALU_DEP_2) | instskip(SKIP_1) | instid1(TRANS32_DEP_1)
	v_exp_f32_e32 v13, v13
	v_nop
	v_ldexp_f32 v13, v13, v22
	s_delay_alu instid0(VALU_DEP_1) | instskip(SKIP_1) | instid1(VALU_DEP_2)
	v_cndmask_b32_e32 v13, 0, v13, vcc_lo
	v_cmp_nlt_f32_e32 vcc_lo, 0x42b17218, v8
	v_cndmask_b32_e32 v8, 0x7f800000, v13, vcc_lo
	v_mul_f32_e32 v13, 0x3fb8aa3b, v10
	s_delay_alu instid0(VALU_DEP_1) | instskip(SKIP_1) | instid1(VALU_DEP_1)
	v_fma_f32 v22, 0x3fb8aa3b, v10, -v13
	v_rndne_f32_e32 v23, v13
	v_dual_fmac_f32 v22, 0x32a5705f, v10 :: v_dual_sub_f32 v13, v13, v23
	s_delay_alu instid0(VALU_DEP_1) | instskip(SKIP_2) | instid1(VALU_DEP_3)
	v_add_f32_e32 v13, v13, v22
	v_cvt_i32_f32_e32 v22, v23
	v_cmp_ngt_f32_e32 vcc_lo, 0xc2ce8ed0, v10
	v_exp_f32_e32 v13, v13
	v_nop
	s_delay_alu instid0(TRANS32_DEP_1) | instskip(NEXT) | instid1(VALU_DEP_1)
	v_ldexp_f32 v13, v13, v22
	v_cndmask_b32_e32 v13, 0, v13, vcc_lo
	v_cmp_nlt_f32_e32 vcc_lo, 0x42b17218, v10
	s_delay_alu instid0(VALU_DEP_2) | instskip(SKIP_2) | instid1(VALU_DEP_2)
	v_cndmask_b32_e32 v10, 0x7f800000, v13, vcc_lo
	v_mul_f32_e32 v13, 0x3fb8aa3b, v12
	v_cmp_ngt_f32_e32 vcc_lo, 0xc2ce8ed0, v12
	v_fma_f32 v22, 0x3fb8aa3b, v12, -v13
	v_rndne_f32_e32 v23, v13
	s_delay_alu instid0(VALU_DEP_1) | instskip(NEXT) | instid1(VALU_DEP_1)
	v_dual_fmac_f32 v22, 0x32a5705f, v12 :: v_dual_sub_f32 v13, v13, v23
	v_add_f32_e32 v13, v13, v22
	v_cvt_i32_f32_e32 v22, v23
	s_delay_alu instid0(VALU_DEP_2) | instskip(SKIP_1) | instid1(TRANS32_DEP_1)
	v_exp_f32_e32 v13, v13
	v_nop
	v_ldexp_f32 v13, v13, v22
	v_mul_f32_e32 v22, 0x3fb8aa3b, v5
	s_delay_alu instid0(VALU_DEP_2) | instskip(NEXT) | instid1(VALU_DEP_2)
	v_cndmask_b32_e32 v13, 0, v13, vcc_lo
	v_fma_f32 v23, 0x3fb8aa3b, v5, -v22
	v_rndne_f32_e32 v25, v22
	v_cmp_nlt_f32_e32 vcc_lo, 0x42b17218, v12
	s_delay_alu instid0(VALU_DEP_3) | instskip(NEXT) | instid1(VALU_DEP_3)
	v_fmac_f32_e32 v23, 0x32a5705f, v5
	v_sub_f32_e32 v22, v22, v25
	v_cndmask_b32_e32 v12, 0x7f800000, v13, vcc_lo
	v_cmp_ngt_f32_e32 vcc_lo, 0xc2ce8ed0, v5
	s_delay_alu instid0(VALU_DEP_3) | instskip(NEXT) | instid1(VALU_DEP_3)
	v_add_f32_e32 v22, v22, v23
	v_cvt_f16_f32_e32 v13, v12
	v_cvt_i32_f32_e32 v23, v25
	s_delay_alu instid0(VALU_DEP_3) | instskip(NEXT) | instid1(VALU_DEP_2)
	v_exp_f32_e32 v22, v22
	v_and_b32_e32 v13, 0xffff, v13
	s_delay_alu instid0(VALU_DEP_1) | instskip(NEXT) | instid1(TRANS32_DEP_1)
	v_mul_u32_u24_e32 v24, 0x10001, v13
	v_ldexp_f32 v22, v22, v23
	s_delay_alu instid0(VALU_DEP_1) | instskip(SKIP_1) | instid1(VALU_DEP_2)
	v_dual_sub_f32 v13, v110, v1 :: v_dual_cndmask_b32 v22, 0, v22
	v_cmp_nlt_f32_e32 vcc_lo, 0x42b17218, v5
	v_cndmask_b32_e32 v5, 0x7f800000, v22, vcc_lo
	v_mul_f32_e32 v22, 0x3fb8aa3b, v7
	v_cmp_ngt_f32_e32 vcc_lo, 0xc2ce8ed0, v7
	s_delay_alu instid0(VALU_DEP_2) | instskip(SKIP_1) | instid1(VALU_DEP_1)
	v_fma_f32 v23, 0x3fb8aa3b, v7, -v22
	v_rndne_f32_e32 v25, v22
	v_dual_fmac_f32 v23, 0x32a5705f, v7 :: v_dual_sub_f32 v22, v22, v25
	s_delay_alu instid0(VALU_DEP_1) | instskip(SKIP_1) | instid1(VALU_DEP_2)
	v_add_f32_e32 v22, v22, v23
	v_cvt_i32_f32_e32 v23, v25
	v_exp_f32_e32 v22, v22
	v_nop
	s_delay_alu instid0(TRANS32_DEP_1) | instskip(NEXT) | instid1(VALU_DEP_1)
	v_ldexp_f32 v22, v22, v23
	v_cndmask_b32_e32 v22, 0, v22, vcc_lo
	v_cmp_nlt_f32_e32 vcc_lo, 0x42b17218, v7
	s_delay_alu instid0(VALU_DEP_2) | instskip(SKIP_2) | instid1(VALU_DEP_2)
	v_cndmask_b32_e32 v7, 0x7f800000, v22, vcc_lo
	v_mul_f32_e32 v22, 0x3fb8aa3b, v9
	v_cmp_ngt_f32_e32 vcc_lo, 0xc2ce8ed0, v9
	v_fma_f32 v23, 0x3fb8aa3b, v9, -v22
	v_rndne_f32_e32 v25, v22
	s_delay_alu instid0(VALU_DEP_2) | instskip(NEXT) | instid1(VALU_DEP_2)
	v_fmac_f32_e32 v23, 0x32a5705f, v9
	v_sub_f32_e32 v22, v22, v25
	s_delay_alu instid0(VALU_DEP_1) | instskip(SKIP_1) | instid1(VALU_DEP_2)
	v_add_f32_e32 v22, v22, v23
	v_cvt_i32_f32_e32 v23, v25
	v_exp_f32_e32 v22, v22
	v_nop
	s_delay_alu instid0(TRANS32_DEP_1) | instskip(NEXT) | instid1(VALU_DEP_1)
	v_ldexp_f32 v22, v22, v23
	v_cndmask_b32_e32 v22, 0, v22, vcc_lo
	v_cmp_nlt_f32_e32 vcc_lo, 0x42b17218, v9
	s_delay_alu instid0(VALU_DEP_2) | instskip(SKIP_1) | instid1(VALU_DEP_1)
	v_cndmask_b32_e32 v9, 0x7f800000, v22, vcc_lo
	v_mul_f32_e32 v22, 0x3fb8aa3b, v11
	v_fma_f32 v23, 0x3fb8aa3b, v11, -v22
	v_rndne_f32_e32 v25, v22
	s_delay_alu instid0(VALU_DEP_1) | instskip(NEXT) | instid1(VALU_DEP_1)
	v_dual_fmac_f32 v23, 0x32a5705f, v11 :: v_dual_sub_f32 v22, v22, v25
	v_add_f32_e32 v22, v22, v23
	v_cvt_i32_f32_e32 v23, v25
	v_cmp_ngt_f32_e32 vcc_lo, 0xc2ce8ed0, v11
	s_delay_alu instid0(VALU_DEP_3) | instskip(SKIP_1) | instid1(TRANS32_DEP_1)
	v_exp_f32_e32 v22, v22
	v_nop
	v_ldexp_f32 v22, v22, v23
	s_delay_alu instid0(VALU_DEP_1) | instskip(SKIP_1) | instid1(VALU_DEP_2)
	v_cndmask_b32_e32 v22, 0, v22, vcc_lo
	v_cmp_nlt_f32_e32 vcc_lo, 0x42b17218, v11
	v_cndmask_b32_e32 v11, 0x7f800000, v22, vcc_lo
	v_mul_f32_e32 v22, 0x3fb8aa3b, v13
	v_cmp_ngt_f32_e32 vcc_lo, 0xc2ce8ed0, v13
	s_delay_alu instid0(VALU_DEP_2) | instskip(SKIP_1) | instid1(VALU_DEP_2)
	v_fma_f32 v23, 0x3fb8aa3b, v13, -v22
	v_rndne_f32_e32 v25, v22
	v_fmac_f32_e32 v23, 0x32a5705f, v13
	s_delay_alu instid0(VALU_DEP_2) | instskip(NEXT) | instid1(VALU_DEP_1)
	v_sub_f32_e32 v22, v22, v25
	v_add_f32_e32 v22, v22, v23
	v_cvt_i32_f32_e32 v23, v25
	s_delay_alu instid0(VALU_DEP_2) | instskip(SKIP_1) | instid1(TRANS32_DEP_1)
	v_exp_f32_e32 v22, v22
	v_nop
	v_ldexp_f32 v22, v22, v23
	v_mul_f32_e32 v23, 0x3fb8aa3b, v14
	s_delay_alu instid0(VALU_DEP_2) | instskip(NEXT) | instid1(VALU_DEP_2)
	v_cndmask_b32_e32 v22, 0, v22, vcc_lo
	v_fma_f32 v26, 0x3fb8aa3b, v14, -v23
	v_rndne_f32_e32 v27, v23
	v_cmp_nlt_f32_e32 vcc_lo, 0x42b17218, v13
	s_delay_alu instid0(VALU_DEP_2) | instskip(SKIP_2) | instid1(VALU_DEP_3)
	v_dual_fmac_f32 v26, 0x32a5705f, v14 :: v_dual_sub_f32 v23, v23, v27
	v_cndmask_b32_e32 v13, 0x7f800000, v22, vcc_lo
	v_cmp_ngt_f32_e32 vcc_lo, 0xc2ce8ed0, v14
	v_add_f32_e32 v23, v23, v26
	v_cvt_i32_f32_e32 v26, v27
	s_delay_alu instid0(VALU_DEP_4) | instskip(NEXT) | instid1(VALU_DEP_3)
	v_cvt_f16_f32_e32 v22, v13
	v_exp_f32_e32 v23, v23
	s_delay_alu instid0(VALU_DEP_1) | instskip(NEXT) | instid1(TRANS32_DEP_1)
	v_and_b32_e32 v22, 0xffff, v22
	v_ldexp_f32 v23, v23, v26
	s_delay_alu instid0(VALU_DEP_2) | instskip(NEXT) | instid1(VALU_DEP_2)
	v_mul_u32_u24_e32 v25, 0x10001, v22
	v_dual_sub_f32 v22, v109, v2 :: v_dual_cndmask_b32 v23, 0, v23
	v_cmp_nlt_f32_e32 vcc_lo, 0x42b17218, v14
	s_delay_alu instid0(VALU_DEP_2) | instskip(SKIP_2) | instid1(VALU_DEP_2)
	v_cndmask_b32_e32 v14, 0x7f800000, v23, vcc_lo
	v_mul_f32_e32 v23, 0x3fb8aa3b, v16
	v_cmp_ngt_f32_e32 vcc_lo, 0xc2ce8ed0, v16
	v_fma_f32 v26, 0x3fb8aa3b, v16, -v23
	v_rndne_f32_e32 v27, v23
	s_delay_alu instid0(VALU_DEP_1) | instskip(NEXT) | instid1(VALU_DEP_1)
	v_dual_fmac_f32 v26, 0x32a5705f, v16 :: v_dual_sub_f32 v23, v23, v27
	v_add_f32_e32 v23, v23, v26
	v_cvt_i32_f32_e32 v26, v27
	s_delay_alu instid0(VALU_DEP_2) | instskip(SKIP_1) | instid1(TRANS32_DEP_1)
	v_exp_f32_e32 v23, v23
	v_nop
	v_ldexp_f32 v23, v23, v26
	s_delay_alu instid0(VALU_DEP_1) | instskip(SKIP_1) | instid1(VALU_DEP_2)
	v_cndmask_b32_e32 v23, 0, v23, vcc_lo
	v_cmp_nlt_f32_e32 vcc_lo, 0x42b17218, v16
	v_cndmask_b32_e32 v16, 0x7f800000, v23, vcc_lo
	v_mul_f32_e32 v23, 0x3fb8aa3b, v18
	v_cmp_ngt_f32_e32 vcc_lo, 0xc2ce8ed0, v18
	s_delay_alu instid0(VALU_DEP_2) | instskip(SKIP_1) | instid1(VALU_DEP_1)
	v_fma_f32 v26, 0x3fb8aa3b, v18, -v23
	v_rndne_f32_e32 v27, v23
	v_dual_fmac_f32 v26, 0x32a5705f, v18 :: v_dual_sub_f32 v23, v23, v27
	s_delay_alu instid0(VALU_DEP_1) | instskip(SKIP_1) | instid1(VALU_DEP_2)
	v_add_f32_e32 v23, v23, v26
	v_cvt_i32_f32_e32 v26, v27
	v_exp_f32_e32 v23, v23
	v_nop
	s_delay_alu instid0(TRANS32_DEP_1) | instskip(NEXT) | instid1(VALU_DEP_1)
	v_ldexp_f32 v23, v23, v26
	v_cndmask_b32_e32 v23, 0, v23, vcc_lo
	v_cmp_nlt_f32_e32 vcc_lo, 0x42b17218, v18
	s_delay_alu instid0(VALU_DEP_2) | instskip(SKIP_2) | instid1(VALU_DEP_2)
	v_cndmask_b32_e32 v18, 0x7f800000, v23, vcc_lo
	v_mul_f32_e32 v23, 0x3fb8aa3b, v20
	v_cmp_ngt_f32_e32 vcc_lo, 0xc2ce8ed0, v20
	v_fma_f32 v26, 0x3fb8aa3b, v20, -v23
	v_rndne_f32_e32 v27, v23
	s_delay_alu instid0(VALU_DEP_1) | instskip(NEXT) | instid1(VALU_DEP_1)
	v_dual_fmac_f32 v26, 0x32a5705f, v20 :: v_dual_sub_f32 v23, v23, v27
	v_add_f32_e32 v23, v23, v26
	v_cvt_i32_f32_e32 v26, v27
	s_delay_alu instid0(VALU_DEP_2) | instskip(SKIP_1) | instid1(TRANS32_DEP_1)
	v_exp_f32_e32 v23, v23
	v_nop
	v_ldexp_f32 v23, v23, v26
	s_delay_alu instid0(VALU_DEP_1) | instskip(SKIP_1) | instid1(VALU_DEP_2)
	v_cndmask_b32_e32 v23, 0, v23, vcc_lo
	v_cmp_nlt_f32_e32 vcc_lo, 0x42b17218, v20
	v_cndmask_b32_e32 v20, 0x7f800000, v23, vcc_lo
	v_mul_f32_e32 v23, 0x3fb8aa3b, v22
	v_cmp_ngt_f32_e32 vcc_lo, 0xc2ce8ed0, v22
	s_delay_alu instid0(VALU_DEP_2) | instskip(SKIP_1) | instid1(VALU_DEP_1)
	v_fma_f32 v26, 0x3fb8aa3b, v22, -v23
	v_rndne_f32_e32 v27, v23
	v_dual_fmac_f32 v26, 0x32a5705f, v22 :: v_dual_sub_f32 v23, v23, v27
	s_delay_alu instid0(VALU_DEP_1) | instskip(SKIP_2) | instid1(VALU_DEP_3)
	v_add_f32_e32 v23, v23, v26
	v_cvt_i32_f32_e32 v26, v27
	v_mul_f32_e32 v27, 0x3fb8aa3b, v15
	v_exp_f32_e32 v23, v23
	s_delay_alu instid0(VALU_DEP_1) | instskip(SKIP_1) | instid1(TRANS32_DEP_1)
	v_rndne_f32_e32 v29, v27
	v_fma_f32 v28, 0x3fb8aa3b, v15, -v27
	v_ldexp_f32 v23, v23, v26
	s_delay_alu instid0(VALU_DEP_2) | instskip(NEXT) | instid1(VALU_DEP_2)
	v_dual_sub_f32 v27, v27, v29 :: v_dual_fmac_f32 v28, 0x32a5705f, v15
	v_cndmask_b32_e32 v23, 0, v23, vcc_lo
	v_cmp_nlt_f32_e32 vcc_lo, 0x42b17218, v22
	s_delay_alu instid0(VALU_DEP_3) | instskip(SKIP_1) | instid1(VALU_DEP_4)
	v_add_f32_e32 v27, v27, v28
	v_cvt_i32_f32_e32 v28, v29
	v_cndmask_b32_e32 v22, 0x7f800000, v23, vcc_lo
	s_delay_alu instid0(VALU_DEP_3) | instskip(SKIP_1) | instid1(VALU_DEP_2)
	v_exp_f32_e32 v27, v27
	v_cmp_ngt_f32_e32 vcc_lo, 0xc2ce8ed0, v15
	v_cvt_f16_f32_e32 v23, v22
	s_delay_alu instid0(TRANS32_DEP_1) | instskip(NEXT) | instid1(VALU_DEP_2)
	v_ldexp_f32 v27, v27, v28
	v_and_b32_e32 v23, 0xffff, v23
	s_delay_alu instid0(VALU_DEP_2) | instskip(SKIP_1) | instid1(VALU_DEP_3)
	v_cndmask_b32_e32 v27, 0, v27, vcc_lo
	v_cmp_nlt_f32_e32 vcc_lo, 0x42b17218, v15
	v_mul_u32_u24_e32 v26, 0x10001, v23
	v_sub_f32_e32 v23, v108, v3
	s_delay_alu instid0(VALU_DEP_4) | instskip(SKIP_2) | instid1(VALU_DEP_2)
	v_cndmask_b32_e32 v15, 0x7f800000, v27, vcc_lo
	v_mul_f32_e32 v27, 0x3fb8aa3b, v17
	v_cmp_ngt_f32_e32 vcc_lo, 0xc2ce8ed0, v17
	v_fma_f32 v28, 0x3fb8aa3b, v17, -v27
	v_rndne_f32_e32 v29, v27
	s_delay_alu instid0(VALU_DEP_2) | instskip(NEXT) | instid1(VALU_DEP_2)
	v_fmac_f32_e32 v28, 0x32a5705f, v17
	v_sub_f32_e32 v27, v27, v29
	s_delay_alu instid0(VALU_DEP_1) | instskip(SKIP_1) | instid1(VALU_DEP_2)
	v_add_f32_e32 v27, v27, v28
	v_cvt_i32_f32_e32 v28, v29
	v_exp_f32_e32 v27, v27
	v_nop
	s_delay_alu instid0(TRANS32_DEP_1) | instskip(NEXT) | instid1(VALU_DEP_1)
	v_ldexp_f32 v27, v27, v28
	v_cndmask_b32_e32 v27, 0, v27, vcc_lo
	v_cmp_nlt_f32_e32 vcc_lo, 0x42b17218, v17
	s_delay_alu instid0(VALU_DEP_2) | instskip(SKIP_2) | instid1(VALU_DEP_3)
	v_cndmask_b32_e32 v17, 0x7f800000, v27, vcc_lo
	v_mul_f32_e32 v27, 0x3fb8aa3b, v19
	v_cmp_ngt_f32_e32 vcc_lo, 0xc2ce8ed0, v19
	v_pk_add_f32 v[30:31], v[14:15], v[16:17]
	s_delay_alu instid0(VALU_DEP_3) | instskip(SKIP_1) | instid1(VALU_DEP_1)
	v_fma_f32 v28, 0x3fb8aa3b, v19, -v27
	v_rndne_f32_e32 v29, v27
	v_dual_fmac_f32 v28, 0x32a5705f, v19 :: v_dual_sub_f32 v27, v27, v29
	s_delay_alu instid0(VALU_DEP_1) | instskip(SKIP_1) | instid1(VALU_DEP_2)
	v_add_f32_e32 v27, v27, v28
	v_cvt_i32_f32_e32 v28, v29
	v_exp_f32_e32 v27, v27
	v_nop
	s_delay_alu instid0(TRANS32_DEP_1) | instskip(NEXT) | instid1(VALU_DEP_1)
	v_ldexp_f32 v27, v27, v28
	v_cndmask_b32_e32 v27, 0, v27, vcc_lo
	v_cmp_nlt_f32_e32 vcc_lo, 0x42b17218, v19
	s_delay_alu instid0(VALU_DEP_2) | instskip(SKIP_2) | instid1(VALU_DEP_3)
	v_cndmask_b32_e32 v19, 0x7f800000, v27, vcc_lo
	v_mul_f32_e32 v27, 0x3fb8aa3b, v21
	v_cmp_ngt_f32_e32 vcc_lo, 0xc2ce8ed0, v21
	v_pk_add_f32 v[30:31], v[18:19], v[30:31]
	s_delay_alu instid0(VALU_DEP_3) | instskip(SKIP_1) | instid1(VALU_DEP_2)
	v_fma_f32 v28, 0x3fb8aa3b, v21, -v27
	v_rndne_f32_e32 v29, v27
	v_fmac_f32_e32 v28, 0x32a5705f, v21
	s_delay_alu instid0(VALU_DEP_2) | instskip(NEXT) | instid1(VALU_DEP_1)
	v_sub_f32_e32 v27, v27, v29
	v_add_f32_e32 v27, v27, v28
	v_cvt_i32_f32_e32 v28, v29
	s_delay_alu instid0(VALU_DEP_2) | instskip(SKIP_1) | instid1(TRANS32_DEP_1)
	v_exp_f32_e32 v27, v27
	v_nop
	v_ldexp_f32 v27, v27, v28
	s_delay_alu instid0(VALU_DEP_1) | instskip(SKIP_1) | instid1(VALU_DEP_2)
	v_cndmask_b32_e32 v27, 0, v27, vcc_lo
	v_cmp_nlt_f32_e32 vcc_lo, 0x42b17218, v21
	v_cndmask_b32_e32 v21, 0x7f800000, v27, vcc_lo
	v_mul_f32_e32 v27, 0x3fb8aa3b, v23
	v_cmp_ngt_f32_e32 vcc_lo, 0xc2ce8ed0, v23
	s_delay_alu instid0(VALU_DEP_3) | instskip(NEXT) | instid1(VALU_DEP_3)
	v_pk_add_f32 v[30:31], v[20:21], v[30:31]
	v_fma_f32 v28, 0x3fb8aa3b, v23, -v27
	v_rndne_f32_e32 v29, v27
	s_delay_alu instid0(VALU_DEP_1) | instskip(NEXT) | instid1(VALU_DEP_1)
	v_dual_fmac_f32 v28, 0x32a5705f, v23 :: v_dual_sub_f32 v27, v27, v29
	v_add_f32_e32 v27, v27, v28
	v_cvt_i32_f32_e32 v28, v29
	s_delay_alu instid0(VALU_DEP_2) | instskip(SKIP_1) | instid1(TRANS32_DEP_1)
	v_exp_f32_e32 v27, v27
	v_nop
	v_ldexp_f32 v27, v27, v28
	v_pk_add_f32 v[28:29], v[4:5], v[6:7]
	s_delay_alu instid0(VALU_DEP_2) | instskip(SKIP_1) | instid1(VALU_DEP_3)
	v_cndmask_b32_e32 v27, 0, v27, vcc_lo
	v_cmp_nlt_f32_e32 vcc_lo, 0x42b17218, v23
	v_pk_add_f32 v[28:29], v[8:9], v[28:29]
	s_delay_alu instid0(VALU_DEP_3) | instskip(NEXT) | instid1(VALU_DEP_2)
	v_cndmask_b32_e32 v23, 0x7f800000, v27, vcc_lo
	v_pk_add_f32 v[28:29], v[10:11], v[28:29]
	s_delay_alu instid0(VALU_DEP_2) | instskip(NEXT) | instid1(VALU_DEP_2)
	v_pk_fma_f32 v[46:47], v[46:47], v[22:23], v[30:31]
	v_pk_fma_f32 v[52:53], v[52:53], v[12:13], v[28:29]
	v_cvt_f16_f32_e32 v12, v23
	v_cvt_pk_f16_f32 v13, v14, v15
	s_delay_alu instid0(VALU_DEP_2) | instskip(NEXT) | instid1(VALU_DEP_1)
	v_and_b32_e32 v12, 0xffff, v12
	v_mul_u32_u24_e32 v12, 0x10001, v12
	s_delay_alu instid0(VALU_DEP_1)
	v_pk_mul_f16 v22, v107, v12
	v_cvt_pk_f16_f32 v12, v4, v5
	v_cvt_pk_f16_f32 v5, v16, v17
	;; [unrolled: 1-line block ×5, first 2 shown]
	ds_store_2addr_b64 v87, v[12:13], v[4:5] offset1:32
	v_cvt_pk_f16_f32 v5, v18, v19
	v_cvt_pk_f16_f32 v4, v8, v9
	ds_store_2addr_b64 v87, v[4:5], v[6:7] offset0:64 offset1:96
	v_lshl_add_u64 v[6:7], v[48:49], 2, s[24:25]
	v_lshl_add_u64 v[4:5], v[40:41], 2, s[24:25]
	s_delay_alu instid0(VALU_DEP_2) | instskip(SKIP_1) | instid1(VALU_DEP_3)
	v_add_nc_u64_e32 v[20:21], v[6:7], v[56:57]
	v_lshl_add_u64 v[6:7], v[54:55], 2, s[24:25]
	v_add_nc_u64_e32 v[4:5], v[4:5], v[56:57]
	s_delay_alu instid0(VALU_DEP_2) | instskip(SKIP_1) | instid1(VALU_DEP_1)
	v_add_nc_u64_e32 v[18:19], v[6:7], v[56:57]
	v_lshl_add_u64 v[6:7], v[60:61], 2, s[24:25]
	v_add_nc_u64_e32 v[16:17], v[6:7], v[56:57]
	v_lshl_add_u64 v[6:7], v[64:65], 2, s[24:25]
	s_delay_alu instid0(VALU_DEP_1) | instskip(SKIP_1) | instid1(VALU_DEP_1)
	v_add_nc_u64_e32 v[14:15], v[6:7], v[56:57]
	v_lshl_add_u64 v[6:7], v[66:67], 2, s[24:25]
	v_add_nc_u64_e32 v[12:13], v[6:7], v[56:57]
	v_lshl_add_u64 v[6:7], v[68:69], 2, s[24:25]
	s_delay_alu instid0(VALU_DEP_1) | instskip(SKIP_1) | instid1(VALU_DEP_1)
	v_add_nc_u64_e32 v[10:11], v[6:7], v[56:57]
	v_lshl_add_u64 v[6:7], v[70:71], 2, s[24:25]
	v_add_nc_u64_e32 v[8:9], v[6:7], v[56:57]
	global_load_b128 v[4:7], v[4:5], off
	s_wait_loadcnt 0x0
	ds_store_b128 v84, v[4:7]
	global_load_b128 v[4:7], v[20:21], off
	s_wait_xcnt 0x0
	v_add_nc_u32_e32 v20, 0x800, v84
	s_wait_loadcnt 0x0
	ds_store_b128 v20, v[4:7]
	global_load_b128 v[4:7], v[18:19], off
	s_wait_xcnt 0x0
	v_add_nc_u32_e32 v18, 0x1000, v84
	;; [unrolled: 5-line block ×6, first 2 shown]
	s_wait_loadcnt 0x0
	ds_store_b128 v10, v[4:7]
	global_load_b128 v[4:7], v[8:9], off
	s_wait_loadcnt 0x0
	ds_store_b128 v88, v[4:7]
	s_wait_dscnt 0x0
	s_barrier_signal -1
	s_barrier_wait -1
	ds_load_2addr_b32 v[20:21], v74 offset1:32
	ds_load_b128 v[12:15], v86
	ds_load_b128 v[16:19], v86 offset:16
	ds_load_b128 v[8:11], v86 offset:32
	;; [unrolled: 1-line block ×3, first 2 shown]
	s_wait_dscnt 0x3
	v_dual_lshrrev_b32 v23, 16, v12 :: v_dual_lshrrev_b32 v27, 16, v13
	v_and_b32_e32 v12, 0xffff, v12
	v_and_b32_e32 v13, 0xffff, v13
	s_delay_alu instid0(VALU_DEP_3) | instskip(NEXT) | instid1(VALU_DEP_4)
	v_mul_u32_u24_e32 v23, 0x10001, v23
	v_mul_u32_u24_e32 v27, 0x10001, v27
	s_delay_alu instid0(VALU_DEP_4) | instskip(NEXT) | instid1(VALU_DEP_4)
	v_mul_u32_u24_e32 v12, 0x10001, v12
	v_mul_u32_u24_e32 v13, 0x10001, v13
	s_delay_alu instid0(VALU_DEP_4) | instskip(NEXT) | instid1(VALU_DEP_3)
	v_pk_mul_f16 v23, v20, v23
	v_pk_mul_f16 v12, v20, v12
	s_delay_alu instid0(VALU_DEP_3)
	v_pk_mul_f16 v13, v20, v13
	v_pk_fma_f16 v20, v20, v27, v22
	v_lshrrev_b32_e32 v22, 16, v14
	v_and_b32_e32 v14, 0xffff, v14
	v_pk_fma_f16 v12, v106, v24, v12
	v_lshrrev_b32_e32 v24, 16, v15
	v_and_b32_e32 v15, 0xffff, v15
	v_pk_fma_f16 v13, v104, v26, v13
	v_mul_u32_u24_e32 v14, 0x10001, v14
	v_pk_fma_f16 v23, v105, v25, v23
	v_mul_u32_u24_e32 v22, 0x10001, v22
	v_mul_u32_u24_e32 v15, 0x10001, v15
	;; [unrolled: 1-line block ×3, first 2 shown]
	v_pk_fma_f16 v14, v21, v14, v12
	s_delay_alu instid0(VALU_DEP_4) | instskip(NEXT) | instid1(VALU_DEP_4)
	v_pk_fma_f16 v22, v21, v22, v23
	v_pk_fma_f16 v15, v21, v15, v13
	ds_load_2addr_b32 v[12:13], v74 offset0:64 offset1:96
	v_pk_fma_f16 v20, v21, v24, v20
	s_wait_dscnt 0x3
	v_dual_lshrrev_b32 v21, 16, v16 :: v_dual_lshrrev_b32 v23, 16, v17
	v_and_b32_e32 v16, 0xffff, v16
	v_and_b32_e32 v17, 0xffff, v17
	s_delay_alu instid0(VALU_DEP_3) | instskip(NEXT) | instid1(VALU_DEP_4)
	v_mul_u32_u24_e32 v21, 0x10001, v21
	v_mul_u32_u24_e32 v23, 0x10001, v23
	s_delay_alu instid0(VALU_DEP_4) | instskip(NEXT) | instid1(VALU_DEP_4)
	v_mul_u32_u24_e32 v16, 0x10001, v16
	v_mul_u32_u24_e32 v17, 0x10001, v17
	s_wait_dscnt 0x0
	s_delay_alu instid0(VALU_DEP_2) | instskip(SKIP_1) | instid1(VALU_DEP_3)
	v_pk_fma_f16 v14, v12, v16, v14
	v_pk_fma_f16 v16, v12, v21, v22
	v_pk_fma_f16 v15, v12, v17, v15
	v_pk_fma_f16 v12, v12, v23, v20
	v_dual_lshrrev_b32 v17, 16, v18 :: v_dual_lshrrev_b32 v20, 16, v19
	v_and_b32_e32 v18, 0xffff, v18
	v_and_b32_e32 v19, 0xffff, v19
	s_delay_alu instid0(VALU_DEP_3) | instskip(NEXT) | instid1(VALU_DEP_4)
	v_mul_u32_u24_e32 v17, 0x10001, v17
	v_mul_u32_u24_e32 v20, 0x10001, v20
	s_delay_alu instid0(VALU_DEP_4) | instskip(NEXT) | instid1(VALU_DEP_4)
	v_mul_u32_u24_e32 v18, 0x10001, v18
	v_mul_u32_u24_e32 v19, 0x10001, v19
	s_delay_alu instid0(VALU_DEP_4) | instskip(NEXT) | instid1(VALU_DEP_4)
	v_pk_fma_f16 v16, v13, v17, v16
	v_pk_fma_f16 v17, v13, v20, v12
	s_delay_alu instid0(VALU_DEP_4) | instskip(NEXT) | instid1(VALU_DEP_4)
	v_pk_fma_f16 v14, v13, v18, v14
	v_pk_fma_f16 v15, v13, v19, v15
	ds_load_2addr_b32 v[12:13], v74 offset0:128 offset1:160
	v_dual_lshrrev_b32 v18, 16, v8 :: v_dual_lshrrev_b32 v19, 16, v9
	v_and_b32_e32 v8, 0xffff, v8
	v_and_b32_e32 v9, 0xffff, v9
	s_delay_alu instid0(VALU_DEP_3) | instskip(NEXT) | instid1(VALU_DEP_4)
	v_mul_u32_u24_e32 v18, 0x10001, v18
	v_mul_u32_u24_e32 v19, 0x10001, v19
	s_delay_alu instid0(VALU_DEP_4) | instskip(NEXT) | instid1(VALU_DEP_4)
	v_mul_u32_u24_e32 v8, 0x10001, v8
	v_mul_u32_u24_e32 v9, 0x10001, v9
	s_wait_dscnt 0x0
	s_delay_alu instid0(VALU_DEP_2) | instskip(SKIP_1) | instid1(VALU_DEP_3)
	v_pk_fma_f16 v8, v12, v8, v14
	v_pk_fma_f16 v14, v12, v18, v16
	v_pk_fma_f16 v9, v12, v9, v15
	v_dual_lshrrev_b32 v15, 16, v10 :: v_dual_lshrrev_b32 v16, 16, v11
	v_and_b32_e32 v10, 0xffff, v10
	v_and_b32_e32 v11, 0xffff, v11
	v_pk_fma_f16 v12, v12, v19, v17
	s_delay_alu instid0(VALU_DEP_4) | instskip(SKIP_3) | instid1(VALU_DEP_4)
	v_mul_u32_u24_e32 v15, 0x10001, v15
	v_mul_u32_u24_e32 v16, 0x10001, v16
	;; [unrolled: 1-line block ×4, first 2 shown]
	v_pk_fma_f16 v14, v13, v15, v14
	s_delay_alu instid0(VALU_DEP_4) | instskip(NEXT) | instid1(VALU_DEP_4)
	v_pk_fma_f16 v12, v13, v16, v12
	v_pk_fma_f16 v10, v13, v10, v8
	s_delay_alu instid0(VALU_DEP_4) | instskip(SKIP_4) | instid1(VALU_DEP_3)
	v_pk_fma_f16 v11, v13, v11, v9
	ds_load_2addr_b32 v[8:9], v74 offset0:192 offset1:224
	v_dual_lshrrev_b32 v13, 16, v4 :: v_dual_lshrrev_b32 v15, 16, v5
	v_and_b32_e32 v4, 0xffff, v4
	v_and_b32_e32 v5, 0xffff, v5
	v_mul_u32_u24_e32 v13, 0x10001, v13
	s_delay_alu instid0(VALU_DEP_4) | instskip(NEXT) | instid1(VALU_DEP_4)
	v_mul_u32_u24_e32 v15, 0x10001, v15
	v_mul_u32_u24_e32 v4, 0x10001, v4
	s_delay_alu instid0(VALU_DEP_4) | instskip(SKIP_1) | instid1(VALU_DEP_2)
	v_mul_u32_u24_e32 v5, 0x10001, v5
	s_wait_dscnt 0x0
	v_pk_fma_f16 v4, v8, v4, v10
	v_pk_fma_f16 v10, v8, v13, v14
	s_delay_alu instid0(VALU_DEP_3) | instskip(SKIP_4) | instid1(VALU_DEP_3)
	v_pk_fma_f16 v5, v8, v5, v11
	v_pk_fma_f16 v8, v8, v15, v12
	v_dual_lshrrev_b32 v11, 16, v6 :: v_dual_lshrrev_b32 v12, 16, v7
	v_and_b32_e32 v6, 0xffff, v6
	v_and_b32_e32 v7, 0xffff, v7
	v_mul_u32_u24_e32 v11, 0x10001, v11
	s_delay_alu instid0(VALU_DEP_4) | instskip(NEXT) | instid1(VALU_DEP_4)
	v_mul_u32_u24_e32 v12, 0x10001, v12
	v_mul_u32_u24_e32 v6, 0x10001, v6
	s_delay_alu instid0(VALU_DEP_4) | instskip(NEXT) | instid1(VALU_DEP_4)
	v_mul_u32_u24_e32 v7, 0x10001, v7
	v_pk_fma_f16 v10, v9, v11, v10
	s_delay_alu instid0(VALU_DEP_4) | instskip(NEXT) | instid1(VALU_DEP_4)
	v_pk_fma_f16 v12, v9, v12, v8
	v_pk_fma_f16 v13, v9, v6, v4
	s_delay_alu instid0(VALU_DEP_4)
	v_pk_fma_f16 v11, v9, v7, v5
	ds_load_2addr_b32 v[8:9], v89 offset1:32
	ds_load_b128 v[4:7], v86 offset:64
	s_wait_dscnt 0x0
	v_dual_lshrrev_b32 v14, 16, v4 :: v_dual_lshrrev_b32 v15, 16, v5
	v_and_b32_e32 v4, 0xffff, v4
	v_and_b32_e32 v5, 0xffff, v5
	s_delay_alu instid0(VALU_DEP_3) | instskip(NEXT) | instid1(VALU_DEP_4)
	v_mul_u32_u24_e32 v14, 0x10001, v14
	v_mul_u32_u24_e32 v15, 0x10001, v15
	s_delay_alu instid0(VALU_DEP_4) | instskip(NEXT) | instid1(VALU_DEP_4)
	v_mul_u32_u24_e32 v4, 0x10001, v4
	v_mul_u32_u24_e32 v5, 0x10001, v5
	s_delay_alu instid0(VALU_DEP_4) | instskip(NEXT) | instid1(VALU_DEP_3)
	v_pk_fma_f16 v10, v8, v14, v10
	v_pk_fma_f16 v4, v8, v4, v13
	s_delay_alu instid0(VALU_DEP_3) | instskip(SKIP_4) | instid1(VALU_DEP_3)
	v_pk_fma_f16 v5, v8, v5, v11
	v_pk_fma_f16 v8, v8, v15, v12
	v_dual_lshrrev_b32 v11, 16, v6 :: v_dual_lshrrev_b32 v12, 16, v7
	v_and_b32_e32 v6, 0xffff, v6
	v_and_b32_e32 v7, 0xffff, v7
	v_mul_u32_u24_e32 v11, 0x10001, v11
	s_delay_alu instid0(VALU_DEP_4) | instskip(NEXT) | instid1(VALU_DEP_4)
	v_mul_u32_u24_e32 v12, 0x10001, v12
	v_mul_u32_u24_e32 v6, 0x10001, v6
	s_delay_alu instid0(VALU_DEP_4) | instskip(NEXT) | instid1(VALU_DEP_4)
	v_mul_u32_u24_e32 v7, 0x10001, v7
	v_pk_fma_f16 v10, v9, v11, v10
	s_delay_alu instid0(VALU_DEP_4) | instskip(NEXT) | instid1(VALU_DEP_4)
	v_pk_fma_f16 v12, v9, v12, v8
	v_pk_fma_f16 v13, v9, v6, v4
	s_delay_alu instid0(VALU_DEP_4)
	v_pk_fma_f16 v11, v9, v7, v5
	ds_load_2addr_b32 v[8:9], v89 offset0:64 offset1:96
	ds_load_b128 v[4:7], v86 offset:80
	s_wait_dscnt 0x0
	v_lshrrev_b32_e32 v15, 16, v5
	v_and_b32_e32 v5, 0xffff, v5
	v_lshrrev_b32_e32 v14, 16, v4
	v_and_b32_e32 v4, 0xffff, v4
	s_delay_alu instid0(VALU_DEP_3) | instskip(NEXT) | instid1(VALU_DEP_3)
	v_mul_u32_u24_e32 v5, 0x10001, v5
	v_mul_u32_u24_e32 v14, 0x10001, v14
	s_delay_alu instid0(VALU_DEP_3) | instskip(NEXT) | instid1(VALU_DEP_3)
	v_mul_u32_u24_e32 v4, 0x10001, v4
	v_pk_fma_f16 v5, v8, v5, v11
	v_lshrrev_b32_e32 v11, 16, v6
	v_mul_u32_u24_e32 v15, 0x10001, v15
	s_delay_alu instid0(VALU_DEP_4)
	v_pk_fma_f16 v4, v8, v4, v13
	v_pk_fma_f16 v10, v8, v14, v10
	v_and_b32_e32 v6, 0xffff, v6
	v_mul_u32_u24_e32 v11, 0x10001, v11
	v_pk_fma_f16 v8, v8, v15, v12
	v_lshrrev_b32_e32 v12, 16, v7
	v_and_b32_e32 v7, 0xffff, v7
	v_mul_u32_u24_e32 v6, 0x10001, v6
	v_pk_fma_f16 v10, v9, v11, v10
	s_delay_alu instid0(VALU_DEP_4) | instskip(NEXT) | instid1(VALU_DEP_4)
	v_mul_u32_u24_e32 v12, 0x10001, v12
	v_mul_u32_u24_e32 v7, 0x10001, v7
	s_delay_alu instid0(VALU_DEP_4) | instskip(NEXT) | instid1(VALU_DEP_3)
	v_pk_fma_f16 v13, v9, v6, v4
	v_pk_fma_f16 v12, v9, v12, v8
	s_delay_alu instid0(VALU_DEP_3)
	v_pk_fma_f16 v11, v9, v7, v5
	ds_load_2addr_b32 v[8:9], v89 offset0:128 offset1:160
	ds_load_b128 v[4:7], v86 offset:96
	s_wait_dscnt 0x0
	v_dual_lshrrev_b32 v14, 16, v4 :: v_dual_lshrrev_b32 v15, 16, v5
	v_and_b32_e32 v4, 0xffff, v4
	v_and_b32_e32 v5, 0xffff, v5
	s_delay_alu instid0(VALU_DEP_3) | instskip(NEXT) | instid1(VALU_DEP_4)
	v_mul_u32_u24_e32 v14, 0x10001, v14
	v_mul_u32_u24_e32 v15, 0x10001, v15
	s_delay_alu instid0(VALU_DEP_4) | instskip(NEXT) | instid1(VALU_DEP_4)
	v_mul_u32_u24_e32 v4, 0x10001, v4
	v_mul_u32_u24_e32 v5, 0x10001, v5
	s_delay_alu instid0(VALU_DEP_4) | instskip(NEXT) | instid1(VALU_DEP_3)
	v_pk_fma_f16 v10, v8, v14, v10
	v_pk_fma_f16 v4, v8, v4, v13
	s_delay_alu instid0(VALU_DEP_3) | instskip(SKIP_4) | instid1(VALU_DEP_3)
	v_pk_fma_f16 v5, v8, v5, v11
	v_pk_fma_f16 v8, v8, v15, v12
	v_dual_lshrrev_b32 v11, 16, v6 :: v_dual_lshrrev_b32 v12, 16, v7
	v_and_b32_e32 v6, 0xffff, v6
	v_and_b32_e32 v7, 0xffff, v7
	v_mul_u32_u24_e32 v11, 0x10001, v11
	s_delay_alu instid0(VALU_DEP_4) | instskip(NEXT) | instid1(VALU_DEP_4)
	v_mul_u32_u24_e32 v12, 0x10001, v12
	v_mul_u32_u24_e32 v6, 0x10001, v6
	s_delay_alu instid0(VALU_DEP_4) | instskip(NEXT) | instid1(VALU_DEP_4)
	v_mul_u32_u24_e32 v7, 0x10001, v7
	v_pk_fma_f16 v10, v9, v11, v10
	s_delay_alu instid0(VALU_DEP_4) | instskip(NEXT) | instid1(VALU_DEP_4)
	v_pk_fma_f16 v12, v9, v12, v8
	v_pk_fma_f16 v13, v9, v6, v4
	s_delay_alu instid0(VALU_DEP_4)
	v_pk_fma_f16 v11, v9, v7, v5
	ds_load_2addr_b32 v[8:9], v89 offset0:192 offset1:224
	ds_load_b128 v[4:7], v86 offset:112
	s_wait_dscnt 0x0
	v_lshrrev_b32_e32 v15, 16, v5
	v_and_b32_e32 v5, 0xffff, v5
	v_lshrrev_b32_e32 v14, 16, v4
	v_and_b32_e32 v4, 0xffff, v4
	s_delay_alu instid0(VALU_DEP_3) | instskip(NEXT) | instid1(VALU_DEP_3)
	v_mul_u32_u24_e32 v5, 0x10001, v5
	v_mul_u32_u24_e32 v14, 0x10001, v14
	s_delay_alu instid0(VALU_DEP_3) | instskip(NEXT) | instid1(VALU_DEP_3)
	v_mul_u32_u24_e32 v4, 0x10001, v4
	v_pk_fma_f16 v5, v8, v5, v11
	v_lshrrev_b32_e32 v11, 16, v6
	v_mul_u32_u24_e32 v15, 0x10001, v15
	s_delay_alu instid0(VALU_DEP_4)
	v_pk_fma_f16 v4, v8, v4, v13
	v_pk_fma_f16 v10, v8, v14, v10
	v_and_b32_e32 v6, 0xffff, v6
	v_mul_u32_u24_e32 v11, 0x10001, v11
	v_pk_fma_f16 v8, v8, v15, v12
	v_lshrrev_b32_e32 v12, 16, v7
	v_and_b32_e32 v7, 0xffff, v7
	v_mul_u32_u24_e32 v6, 0x10001, v6
	v_pk_fma_f16 v10, v9, v11, v10
	s_delay_alu instid0(VALU_DEP_4) | instskip(NEXT) | instid1(VALU_DEP_4)
	v_mul_u32_u24_e32 v12, 0x10001, v12
	v_mul_u32_u24_e32 v7, 0x10001, v7
	s_delay_alu instid0(VALU_DEP_4) | instskip(NEXT) | instid1(VALU_DEP_3)
	v_pk_fma_f16 v13, v9, v6, v4
	v_pk_fma_f16 v12, v9, v12, v8
	s_delay_alu instid0(VALU_DEP_3)
	v_pk_fma_f16 v11, v9, v7, v5
	ds_load_2addr_b32 v[8:9], v90 offset1:32
	ds_load_b128 v[4:7], v86 offset:128
	s_wait_dscnt 0x0
	v_dual_lshrrev_b32 v14, 16, v4 :: v_dual_lshrrev_b32 v15, 16, v5
	v_and_b32_e32 v4, 0xffff, v4
	v_and_b32_e32 v5, 0xffff, v5
	s_delay_alu instid0(VALU_DEP_3) | instskip(NEXT) | instid1(VALU_DEP_4)
	v_mul_u32_u24_e32 v14, 0x10001, v14
	v_mul_u32_u24_e32 v15, 0x10001, v15
	s_delay_alu instid0(VALU_DEP_4) | instskip(NEXT) | instid1(VALU_DEP_4)
	v_mul_u32_u24_e32 v4, 0x10001, v4
	v_mul_u32_u24_e32 v5, 0x10001, v5
	s_delay_alu instid0(VALU_DEP_4) | instskip(NEXT) | instid1(VALU_DEP_3)
	v_pk_fma_f16 v10, v8, v14, v10
	v_pk_fma_f16 v4, v8, v4, v13
	s_delay_alu instid0(VALU_DEP_3) | instskip(SKIP_4) | instid1(VALU_DEP_3)
	v_pk_fma_f16 v5, v8, v5, v11
	v_pk_fma_f16 v8, v8, v15, v12
	v_dual_lshrrev_b32 v11, 16, v6 :: v_dual_lshrrev_b32 v12, 16, v7
	v_and_b32_e32 v6, 0xffff, v6
	v_and_b32_e32 v7, 0xffff, v7
	v_mul_u32_u24_e32 v11, 0x10001, v11
	s_delay_alu instid0(VALU_DEP_4) | instskip(NEXT) | instid1(VALU_DEP_4)
	v_mul_u32_u24_e32 v12, 0x10001, v12
	v_mul_u32_u24_e32 v6, 0x10001, v6
	s_delay_alu instid0(VALU_DEP_4) | instskip(NEXT) | instid1(VALU_DEP_4)
	v_mul_u32_u24_e32 v7, 0x10001, v7
	v_pk_fma_f16 v10, v9, v11, v10
	s_delay_alu instid0(VALU_DEP_4) | instskip(NEXT) | instid1(VALU_DEP_4)
	v_pk_fma_f16 v12, v9, v12, v8
	v_pk_fma_f16 v13, v9, v6, v4
	s_delay_alu instid0(VALU_DEP_4)
	v_pk_fma_f16 v11, v9, v7, v5
	ds_load_2addr_b32 v[8:9], v90 offset0:64 offset1:96
	ds_load_b128 v[4:7], v86 offset:144
	s_wait_dscnt 0x0
	v_lshrrev_b32_e32 v15, 16, v5
	v_and_b32_e32 v5, 0xffff, v5
	v_lshrrev_b32_e32 v14, 16, v4
	v_and_b32_e32 v4, 0xffff, v4
	s_delay_alu instid0(VALU_DEP_3) | instskip(NEXT) | instid1(VALU_DEP_3)
	v_mul_u32_u24_e32 v5, 0x10001, v5
	v_mul_u32_u24_e32 v14, 0x10001, v14
	s_delay_alu instid0(VALU_DEP_3) | instskip(NEXT) | instid1(VALU_DEP_3)
	v_mul_u32_u24_e32 v4, 0x10001, v4
	v_pk_fma_f16 v5, v8, v5, v11
	v_lshrrev_b32_e32 v11, 16, v6
	v_mul_u32_u24_e32 v15, 0x10001, v15
	s_delay_alu instid0(VALU_DEP_4)
	v_pk_fma_f16 v4, v8, v4, v13
	v_pk_fma_f16 v10, v8, v14, v10
	v_and_b32_e32 v6, 0xffff, v6
	v_mul_u32_u24_e32 v11, 0x10001, v11
	v_pk_fma_f16 v8, v8, v15, v12
	v_lshrrev_b32_e32 v12, 16, v7
	v_and_b32_e32 v7, 0xffff, v7
	v_mul_u32_u24_e32 v6, 0x10001, v6
	v_pk_fma_f16 v10, v9, v11, v10
	s_delay_alu instid0(VALU_DEP_4) | instskip(NEXT) | instid1(VALU_DEP_4)
	v_mul_u32_u24_e32 v12, 0x10001, v12
	v_mul_u32_u24_e32 v7, 0x10001, v7
	s_delay_alu instid0(VALU_DEP_4) | instskip(NEXT) | instid1(VALU_DEP_3)
	v_pk_fma_f16 v13, v9, v6, v4
	v_pk_fma_f16 v12, v9, v12, v8
	s_delay_alu instid0(VALU_DEP_3)
	v_pk_fma_f16 v11, v9, v7, v5
	ds_load_2addr_b32 v[8:9], v90 offset0:128 offset1:160
	ds_load_b128 v[4:7], v86 offset:160
	s_wait_dscnt 0x0
	v_dual_lshrrev_b32 v14, 16, v4 :: v_dual_lshrrev_b32 v15, 16, v5
	v_and_b32_e32 v4, 0xffff, v4
	v_and_b32_e32 v5, 0xffff, v5
	s_delay_alu instid0(VALU_DEP_3) | instskip(NEXT) | instid1(VALU_DEP_4)
	v_mul_u32_u24_e32 v14, 0x10001, v14
	v_mul_u32_u24_e32 v15, 0x10001, v15
	s_delay_alu instid0(VALU_DEP_4) | instskip(NEXT) | instid1(VALU_DEP_4)
	v_mul_u32_u24_e32 v4, 0x10001, v4
	v_mul_u32_u24_e32 v5, 0x10001, v5
	s_delay_alu instid0(VALU_DEP_4) | instskip(NEXT) | instid1(VALU_DEP_3)
	v_pk_fma_f16 v10, v8, v14, v10
	v_pk_fma_f16 v4, v8, v4, v13
	s_delay_alu instid0(VALU_DEP_3) | instskip(SKIP_4) | instid1(VALU_DEP_3)
	v_pk_fma_f16 v5, v8, v5, v11
	v_pk_fma_f16 v8, v8, v15, v12
	v_dual_lshrrev_b32 v11, 16, v6 :: v_dual_lshrrev_b32 v12, 16, v7
	v_and_b32_e32 v6, 0xffff, v6
	v_and_b32_e32 v7, 0xffff, v7
	v_mul_u32_u24_e32 v11, 0x10001, v11
	s_delay_alu instid0(VALU_DEP_4) | instskip(NEXT) | instid1(VALU_DEP_4)
	v_mul_u32_u24_e32 v12, 0x10001, v12
	v_mul_u32_u24_e32 v6, 0x10001, v6
	s_delay_alu instid0(VALU_DEP_4) | instskip(NEXT) | instid1(VALU_DEP_4)
	v_mul_u32_u24_e32 v7, 0x10001, v7
	v_pk_fma_f16 v10, v9, v11, v10
	s_delay_alu instid0(VALU_DEP_4) | instskip(NEXT) | instid1(VALU_DEP_4)
	v_pk_fma_f16 v12, v9, v12, v8
	v_pk_fma_f16 v13, v9, v6, v4
	s_delay_alu instid0(VALU_DEP_4)
	v_pk_fma_f16 v11, v9, v7, v5
	ds_load_2addr_b32 v[8:9], v90 offset0:192 offset1:224
	ds_load_b128 v[4:7], v86 offset:176
	s_wait_dscnt 0x0
	v_lshrrev_b32_e32 v15, 16, v5
	v_and_b32_e32 v5, 0xffff, v5
	v_lshrrev_b32_e32 v14, 16, v4
	v_and_b32_e32 v4, 0xffff, v4
	s_delay_alu instid0(VALU_DEP_3) | instskip(NEXT) | instid1(VALU_DEP_3)
	v_mul_u32_u24_e32 v5, 0x10001, v5
	v_mul_u32_u24_e32 v14, 0x10001, v14
	s_delay_alu instid0(VALU_DEP_3) | instskip(NEXT) | instid1(VALU_DEP_3)
	v_mul_u32_u24_e32 v4, 0x10001, v4
	v_pk_fma_f16 v5, v8, v5, v11
	v_lshrrev_b32_e32 v11, 16, v6
	v_mul_u32_u24_e32 v15, 0x10001, v15
	s_delay_alu instid0(VALU_DEP_4)
	v_pk_fma_f16 v4, v8, v4, v13
	v_pk_fma_f16 v10, v8, v14, v10
	v_and_b32_e32 v6, 0xffff, v6
	v_mul_u32_u24_e32 v11, 0x10001, v11
	v_pk_fma_f16 v8, v8, v15, v12
	v_lshrrev_b32_e32 v12, 16, v7
	v_and_b32_e32 v7, 0xffff, v7
	v_mul_u32_u24_e32 v6, 0x10001, v6
	v_pk_fma_f16 v10, v9, v11, v10
	s_delay_alu instid0(VALU_DEP_4) | instskip(NEXT) | instid1(VALU_DEP_4)
	v_mul_u32_u24_e32 v12, 0x10001, v12
	v_mul_u32_u24_e32 v7, 0x10001, v7
	s_delay_alu instid0(VALU_DEP_4) | instskip(NEXT) | instid1(VALU_DEP_3)
	v_pk_fma_f16 v13, v9, v6, v4
	v_pk_fma_f16 v12, v9, v12, v8
	s_delay_alu instid0(VALU_DEP_3)
	v_pk_fma_f16 v11, v9, v7, v5
	ds_load_2addr_b32 v[8:9], v91 offset1:32
	ds_load_b128 v[4:7], v86 offset:192
	s_wait_dscnt 0x0
	v_lshrrev_b32_e32 v15, 16, v5
	v_and_b32_e32 v5, 0xffff, v5
	v_lshrrev_b32_e32 v14, 16, v4
	v_and_b32_e32 v4, 0xffff, v4
	s_delay_alu instid0(VALU_DEP_3) | instskip(NEXT) | instid1(VALU_DEP_3)
	v_mul_u32_u24_e32 v5, 0x10001, v5
	v_mul_u32_u24_e32 v14, 0x10001, v14
	s_delay_alu instid0(VALU_DEP_3) | instskip(NEXT) | instid1(VALU_DEP_3)
	v_mul_u32_u24_e32 v4, 0x10001, v4
	v_pk_fma_f16 v5, v8, v5, v11
	v_lshrrev_b32_e32 v11, 16, v6
	v_mul_u32_u24_e32 v15, 0x10001, v15
	s_delay_alu instid0(VALU_DEP_4)
	v_pk_fma_f16 v4, v8, v4, v13
	v_pk_fma_f16 v10, v8, v14, v10
	v_and_b32_e32 v6, 0xffff, v6
	v_mul_u32_u24_e32 v11, 0x10001, v11
	v_pk_fma_f16 v8, v8, v15, v12
	v_lshrrev_b32_e32 v12, 16, v7
	v_and_b32_e32 v7, 0xffff, v7
	v_mul_u32_u24_e32 v6, 0x10001, v6
	v_pk_fma_f16 v10, v9, v11, v10
	s_delay_alu instid0(VALU_DEP_4) | instskip(NEXT) | instid1(VALU_DEP_4)
	v_mul_u32_u24_e32 v12, 0x10001, v12
	v_mul_u32_u24_e32 v7, 0x10001, v7
	s_delay_alu instid0(VALU_DEP_4) | instskip(NEXT) | instid1(VALU_DEP_3)
	v_pk_fma_f16 v13, v9, v6, v4
	v_pk_fma_f16 v12, v9, v12, v8
	s_delay_alu instid0(VALU_DEP_3)
	v_pk_fma_f16 v11, v9, v7, v5
	ds_load_2addr_b32 v[8:9], v91 offset0:64 offset1:96
	ds_load_b128 v[4:7], v86 offset:208
	s_wait_dscnt 0x0
	v_lshrrev_b32_e32 v15, 16, v5
	v_and_b32_e32 v5, 0xffff, v5
	v_lshrrev_b32_e32 v14, 16, v4
	v_and_b32_e32 v4, 0xffff, v4
	s_delay_alu instid0(VALU_DEP_3) | instskip(NEXT) | instid1(VALU_DEP_3)
	v_mul_u32_u24_e32 v5, 0x10001, v5
	v_mul_u32_u24_e32 v14, 0x10001, v14
	s_delay_alu instid0(VALU_DEP_3) | instskip(NEXT) | instid1(VALU_DEP_3)
	v_mul_u32_u24_e32 v4, 0x10001, v4
	v_pk_fma_f16 v5, v8, v5, v11
	v_lshrrev_b32_e32 v11, 16, v6
	v_mul_u32_u24_e32 v15, 0x10001, v15
	s_delay_alu instid0(VALU_DEP_4)
	v_pk_fma_f16 v4, v8, v4, v13
	v_pk_fma_f16 v10, v8, v14, v10
	v_and_b32_e32 v6, 0xffff, v6
	v_mul_u32_u24_e32 v11, 0x10001, v11
	v_pk_fma_f16 v8, v8, v15, v12
	v_lshrrev_b32_e32 v12, 16, v7
	v_and_b32_e32 v7, 0xffff, v7
	v_mul_u32_u24_e32 v6, 0x10001, v6
	v_pk_fma_f16 v10, v9, v11, v10
	s_delay_alu instid0(VALU_DEP_4) | instskip(NEXT) | instid1(VALU_DEP_4)
	v_mul_u32_u24_e32 v12, 0x10001, v12
	v_mul_u32_u24_e32 v7, 0x10001, v7
	s_delay_alu instid0(VALU_DEP_4) | instskip(NEXT) | instid1(VALU_DEP_3)
	v_pk_fma_f16 v13, v9, v6, v4
	v_pk_fma_f16 v12, v9, v12, v8
	s_delay_alu instid0(VALU_DEP_3)
	v_pk_fma_f16 v11, v9, v7, v5
	ds_load_2addr_b32 v[8:9], v91 offset0:128 offset1:160
	;; [unrolled: 33-line block ×3, first 2 shown]
	ds_load_b128 v[4:7], v86 offset:240
	s_wait_dscnt 0x0
	v_lshrrev_b32_e32 v15, 16, v5
	v_and_b32_e32 v5, 0xffff, v5
	v_lshrrev_b32_e32 v14, 16, v4
	v_and_b32_e32 v4, 0xffff, v4
	s_delay_alu instid0(VALU_DEP_3) | instskip(NEXT) | instid1(VALU_DEP_3)
	v_mul_u32_u24_e32 v5, 0x10001, v5
	v_mul_u32_u24_e32 v14, 0x10001, v14
	s_delay_alu instid0(VALU_DEP_3) | instskip(NEXT) | instid1(VALU_DEP_3)
	v_mul_u32_u24_e32 v4, 0x10001, v4
	v_pk_fma_f16 v5, v8, v5, v11
	v_lshrrev_b32_e32 v11, 16, v6
	v_mul_u32_u24_e32 v15, 0x10001, v15
	s_delay_alu instid0(VALU_DEP_4)
	v_pk_fma_f16 v4, v8, v4, v13
	v_pk_fma_f16 v10, v8, v14, v10
	v_and_b32_e32 v6, 0xffff, v6
	v_mul_u32_u24_e32 v11, 0x10001, v11
	v_pk_fma_f16 v8, v8, v15, v12
	v_lshrrev_b32_e32 v12, 16, v7
	v_and_b32_e32 v7, 0xffff, v7
	v_mul_u32_u24_e32 v6, 0x10001, v6
	v_pk_fma_f16 v10, v9, v11, v10
	s_delay_alu instid0(VALU_DEP_4) | instskip(NEXT) | instid1(VALU_DEP_4)
	v_mul_u32_u24_e32 v12, 0x10001, v12
	v_mul_u32_u24_e32 v7, 0x10001, v7
	s_delay_alu instid0(VALU_DEP_4) | instskip(NEXT) | instid1(VALU_DEP_3)
	v_pk_fma_f16 v13, v9, v6, v4
	v_pk_fma_f16 v12, v9, v12, v8
	s_delay_alu instid0(VALU_DEP_3)
	v_pk_fma_f16 v11, v9, v7, v5
	ds_load_2addr_b32 v[8:9], v92 offset1:32
	ds_load_b128 v[4:7], v86 offset:256
	s_wait_dscnt 0x0
	v_lshrrev_b32_e32 v15, 16, v5
	v_and_b32_e32 v5, 0xffff, v5
	v_lshrrev_b32_e32 v14, 16, v4
	v_and_b32_e32 v4, 0xffff, v4
	s_delay_alu instid0(VALU_DEP_3) | instskip(NEXT) | instid1(VALU_DEP_3)
	v_mul_u32_u24_e32 v5, 0x10001, v5
	v_mul_u32_u24_e32 v14, 0x10001, v14
	s_delay_alu instid0(VALU_DEP_3) | instskip(NEXT) | instid1(VALU_DEP_3)
	v_mul_u32_u24_e32 v4, 0x10001, v4
	v_pk_fma_f16 v5, v8, v5, v11
	v_lshrrev_b32_e32 v11, 16, v6
	v_mul_u32_u24_e32 v15, 0x10001, v15
	s_delay_alu instid0(VALU_DEP_4)
	v_pk_fma_f16 v4, v8, v4, v13
	v_pk_fma_f16 v10, v8, v14, v10
	v_and_b32_e32 v6, 0xffff, v6
	v_mul_u32_u24_e32 v11, 0x10001, v11
	v_pk_fma_f16 v8, v8, v15, v12
	v_lshrrev_b32_e32 v12, 16, v7
	v_and_b32_e32 v7, 0xffff, v7
	v_mul_u32_u24_e32 v6, 0x10001, v6
	v_pk_fma_f16 v10, v9, v11, v10
	s_delay_alu instid0(VALU_DEP_4) | instskip(NEXT) | instid1(VALU_DEP_4)
	v_mul_u32_u24_e32 v12, 0x10001, v12
	v_mul_u32_u24_e32 v7, 0x10001, v7
	s_delay_alu instid0(VALU_DEP_4) | instskip(NEXT) | instid1(VALU_DEP_3)
	v_pk_fma_f16 v13, v9, v6, v4
	v_pk_fma_f16 v12, v9, v12, v8
	s_delay_alu instid0(VALU_DEP_3)
	v_pk_fma_f16 v11, v9, v7, v5
	ds_load_2addr_b32 v[8:9], v92 offset0:64 offset1:96
	ds_load_b128 v[4:7], v86 offset:272
	s_wait_dscnt 0x0
	v_lshrrev_b32_e32 v15, 16, v5
	v_and_b32_e32 v5, 0xffff, v5
	v_lshrrev_b32_e32 v14, 16, v4
	v_and_b32_e32 v4, 0xffff, v4
	s_delay_alu instid0(VALU_DEP_3) | instskip(NEXT) | instid1(VALU_DEP_3)
	v_mul_u32_u24_e32 v5, 0x10001, v5
	v_mul_u32_u24_e32 v14, 0x10001, v14
	s_delay_alu instid0(VALU_DEP_3) | instskip(NEXT) | instid1(VALU_DEP_3)
	v_mul_u32_u24_e32 v4, 0x10001, v4
	v_pk_fma_f16 v5, v8, v5, v11
	v_lshrrev_b32_e32 v11, 16, v6
	v_mul_u32_u24_e32 v15, 0x10001, v15
	s_delay_alu instid0(VALU_DEP_4)
	v_pk_fma_f16 v4, v8, v4, v13
	v_pk_fma_f16 v10, v8, v14, v10
	v_and_b32_e32 v6, 0xffff, v6
	v_mul_u32_u24_e32 v11, 0x10001, v11
	v_pk_fma_f16 v8, v8, v15, v12
	v_lshrrev_b32_e32 v12, 16, v7
	v_and_b32_e32 v7, 0xffff, v7
	v_mul_u32_u24_e32 v6, 0x10001, v6
	v_pk_fma_f16 v10, v9, v11, v10
	s_delay_alu instid0(VALU_DEP_4) | instskip(NEXT) | instid1(VALU_DEP_4)
	v_mul_u32_u24_e32 v12, 0x10001, v12
	v_mul_u32_u24_e32 v7, 0x10001, v7
	s_delay_alu instid0(VALU_DEP_4) | instskip(NEXT) | instid1(VALU_DEP_3)
	v_pk_fma_f16 v13, v9, v6, v4
	v_pk_fma_f16 v12, v9, v12, v8
	s_delay_alu instid0(VALU_DEP_3)
	v_pk_fma_f16 v11, v9, v7, v5
	ds_load_2addr_b32 v[8:9], v92 offset0:128 offset1:160
	;; [unrolled: 33-line block ×3, first 2 shown]
	ds_load_b128 v[4:7], v86 offset:304
	s_wait_dscnt 0x0
	v_lshrrev_b32_e32 v15, 16, v5
	v_and_b32_e32 v5, 0xffff, v5
	v_lshrrev_b32_e32 v14, 16, v4
	v_and_b32_e32 v4, 0xffff, v4
	s_delay_alu instid0(VALU_DEP_3) | instskip(NEXT) | instid1(VALU_DEP_3)
	v_mul_u32_u24_e32 v5, 0x10001, v5
	v_mul_u32_u24_e32 v14, 0x10001, v14
	s_delay_alu instid0(VALU_DEP_3) | instskip(NEXT) | instid1(VALU_DEP_3)
	v_mul_u32_u24_e32 v4, 0x10001, v4
	v_pk_fma_f16 v5, v8, v5, v11
	v_lshrrev_b32_e32 v11, 16, v6
	v_mul_u32_u24_e32 v15, 0x10001, v15
	s_delay_alu instid0(VALU_DEP_4)
	v_pk_fma_f16 v4, v8, v4, v13
	v_pk_fma_f16 v10, v8, v14, v10
	v_and_b32_e32 v6, 0xffff, v6
	v_mul_u32_u24_e32 v11, 0x10001, v11
	v_pk_fma_f16 v8, v8, v15, v12
	v_lshrrev_b32_e32 v12, 16, v7
	v_and_b32_e32 v7, 0xffff, v7
	v_mul_u32_u24_e32 v6, 0x10001, v6
	v_pk_fma_f16 v10, v9, v11, v10
	s_delay_alu instid0(VALU_DEP_4) | instskip(NEXT) | instid1(VALU_DEP_4)
	v_mul_u32_u24_e32 v12, 0x10001, v12
	v_mul_u32_u24_e32 v7, 0x10001, v7
	s_delay_alu instid0(VALU_DEP_4) | instskip(NEXT) | instid1(VALU_DEP_3)
	v_pk_fma_f16 v13, v9, v6, v4
	v_pk_fma_f16 v12, v9, v12, v8
	s_delay_alu instid0(VALU_DEP_3)
	v_pk_fma_f16 v11, v9, v7, v5
	ds_load_2addr_b32 v[8:9], v93 offset1:32
	ds_load_b128 v[4:7], v86 offset:320
	s_wait_dscnt 0x0
	v_lshrrev_b32_e32 v15, 16, v5
	v_and_b32_e32 v5, 0xffff, v5
	v_lshrrev_b32_e32 v14, 16, v4
	v_and_b32_e32 v4, 0xffff, v4
	s_delay_alu instid0(VALU_DEP_3) | instskip(NEXT) | instid1(VALU_DEP_3)
	v_mul_u32_u24_e32 v5, 0x10001, v5
	v_mul_u32_u24_e32 v14, 0x10001, v14
	s_delay_alu instid0(VALU_DEP_3) | instskip(NEXT) | instid1(VALU_DEP_3)
	v_mul_u32_u24_e32 v4, 0x10001, v4
	v_pk_fma_f16 v5, v8, v5, v11
	v_lshrrev_b32_e32 v11, 16, v6
	v_mul_u32_u24_e32 v15, 0x10001, v15
	s_delay_alu instid0(VALU_DEP_4)
	v_pk_fma_f16 v4, v8, v4, v13
	v_pk_fma_f16 v10, v8, v14, v10
	v_and_b32_e32 v6, 0xffff, v6
	v_mul_u32_u24_e32 v11, 0x10001, v11
	v_pk_fma_f16 v8, v8, v15, v12
	v_lshrrev_b32_e32 v12, 16, v7
	v_and_b32_e32 v7, 0xffff, v7
	v_mul_u32_u24_e32 v6, 0x10001, v6
	v_pk_fma_f16 v10, v9, v11, v10
	s_delay_alu instid0(VALU_DEP_4) | instskip(NEXT) | instid1(VALU_DEP_4)
	v_mul_u32_u24_e32 v12, 0x10001, v12
	v_mul_u32_u24_e32 v7, 0x10001, v7
	s_delay_alu instid0(VALU_DEP_4) | instskip(NEXT) | instid1(VALU_DEP_3)
	v_pk_fma_f16 v13, v9, v6, v4
	v_pk_fma_f16 v12, v9, v12, v8
	s_delay_alu instid0(VALU_DEP_3)
	v_pk_fma_f16 v11, v9, v7, v5
	ds_load_2addr_b32 v[8:9], v93 offset0:64 offset1:96
	ds_load_b128 v[4:7], v86 offset:336
	s_wait_dscnt 0x0
	v_lshrrev_b32_e32 v15, 16, v5
	v_and_b32_e32 v5, 0xffff, v5
	v_lshrrev_b32_e32 v14, 16, v4
	v_and_b32_e32 v4, 0xffff, v4
	s_delay_alu instid0(VALU_DEP_3) | instskip(NEXT) | instid1(VALU_DEP_3)
	v_mul_u32_u24_e32 v5, 0x10001, v5
	v_mul_u32_u24_e32 v14, 0x10001, v14
	s_delay_alu instid0(VALU_DEP_3) | instskip(NEXT) | instid1(VALU_DEP_3)
	v_mul_u32_u24_e32 v4, 0x10001, v4
	v_pk_fma_f16 v5, v8, v5, v11
	v_lshrrev_b32_e32 v11, 16, v6
	v_mul_u32_u24_e32 v15, 0x10001, v15
	s_delay_alu instid0(VALU_DEP_4)
	v_pk_fma_f16 v4, v8, v4, v13
	v_pk_fma_f16 v10, v8, v14, v10
	v_and_b32_e32 v6, 0xffff, v6
	v_mul_u32_u24_e32 v11, 0x10001, v11
	v_pk_fma_f16 v8, v8, v15, v12
	v_lshrrev_b32_e32 v12, 16, v7
	v_and_b32_e32 v7, 0xffff, v7
	v_mul_u32_u24_e32 v6, 0x10001, v6
	v_pk_fma_f16 v10, v9, v11, v10
	s_delay_alu instid0(VALU_DEP_4) | instskip(NEXT) | instid1(VALU_DEP_4)
	v_mul_u32_u24_e32 v12, 0x10001, v12
	v_mul_u32_u24_e32 v7, 0x10001, v7
	s_delay_alu instid0(VALU_DEP_4) | instskip(NEXT) | instid1(VALU_DEP_3)
	v_pk_fma_f16 v13, v9, v6, v4
	v_pk_fma_f16 v12, v9, v12, v8
	s_delay_alu instid0(VALU_DEP_3)
	v_pk_fma_f16 v11, v9, v7, v5
	ds_load_2addr_b32 v[8:9], v93 offset0:128 offset1:160
	;; [unrolled: 33-line block ×3, first 2 shown]
	ds_load_b128 v[4:7], v86 offset:368
	s_wait_dscnt 0x0
	v_lshrrev_b32_e32 v15, 16, v5
	v_and_b32_e32 v5, 0xffff, v5
	v_lshrrev_b32_e32 v14, 16, v4
	v_and_b32_e32 v4, 0xffff, v4
	s_delay_alu instid0(VALU_DEP_3) | instskip(NEXT) | instid1(VALU_DEP_3)
	v_mul_u32_u24_e32 v5, 0x10001, v5
	v_mul_u32_u24_e32 v14, 0x10001, v14
	s_delay_alu instid0(VALU_DEP_3) | instskip(NEXT) | instid1(VALU_DEP_3)
	v_mul_u32_u24_e32 v4, 0x10001, v4
	v_pk_fma_f16 v5, v8, v5, v11
	v_lshrrev_b32_e32 v11, 16, v6
	v_mul_u32_u24_e32 v15, 0x10001, v15
	s_delay_alu instid0(VALU_DEP_4)
	v_pk_fma_f16 v4, v8, v4, v13
	v_pk_fma_f16 v10, v8, v14, v10
	v_and_b32_e32 v6, 0xffff, v6
	v_mul_u32_u24_e32 v11, 0x10001, v11
	v_pk_fma_f16 v8, v8, v15, v12
	v_lshrrev_b32_e32 v12, 16, v7
	v_and_b32_e32 v7, 0xffff, v7
	v_mul_u32_u24_e32 v6, 0x10001, v6
	v_pk_fma_f16 v10, v9, v11, v10
	s_delay_alu instid0(VALU_DEP_4) | instskip(NEXT) | instid1(VALU_DEP_4)
	v_mul_u32_u24_e32 v12, 0x10001, v12
	v_mul_u32_u24_e32 v7, 0x10001, v7
	s_delay_alu instid0(VALU_DEP_4) | instskip(NEXT) | instid1(VALU_DEP_3)
	v_pk_fma_f16 v13, v9, v6, v4
	v_pk_fma_f16 v12, v9, v12, v8
	s_delay_alu instid0(VALU_DEP_3)
	v_pk_fma_f16 v11, v9, v7, v5
	ds_load_2addr_b32 v[8:9], v94 offset1:32
	ds_load_b128 v[4:7], v86 offset:384
	s_wait_dscnt 0x0
	v_lshrrev_b32_e32 v15, 16, v5
	v_and_b32_e32 v5, 0xffff, v5
	v_lshrrev_b32_e32 v14, 16, v4
	v_and_b32_e32 v4, 0xffff, v4
	s_delay_alu instid0(VALU_DEP_3) | instskip(NEXT) | instid1(VALU_DEP_3)
	v_mul_u32_u24_e32 v5, 0x10001, v5
	v_mul_u32_u24_e32 v14, 0x10001, v14
	s_delay_alu instid0(VALU_DEP_3) | instskip(NEXT) | instid1(VALU_DEP_3)
	v_mul_u32_u24_e32 v4, 0x10001, v4
	v_pk_fma_f16 v5, v8, v5, v11
	v_lshrrev_b32_e32 v11, 16, v6
	v_mul_u32_u24_e32 v15, 0x10001, v15
	s_delay_alu instid0(VALU_DEP_4)
	v_pk_fma_f16 v4, v8, v4, v13
	v_pk_fma_f16 v10, v8, v14, v10
	v_and_b32_e32 v6, 0xffff, v6
	v_mul_u32_u24_e32 v11, 0x10001, v11
	v_pk_fma_f16 v8, v8, v15, v12
	v_lshrrev_b32_e32 v12, 16, v7
	v_and_b32_e32 v7, 0xffff, v7
	v_mul_u32_u24_e32 v6, 0x10001, v6
	v_pk_fma_f16 v10, v9, v11, v10
	s_delay_alu instid0(VALU_DEP_4) | instskip(NEXT) | instid1(VALU_DEP_4)
	v_mul_u32_u24_e32 v12, 0x10001, v12
	v_mul_u32_u24_e32 v7, 0x10001, v7
	s_delay_alu instid0(VALU_DEP_4) | instskip(NEXT) | instid1(VALU_DEP_3)
	v_pk_fma_f16 v13, v9, v6, v4
	v_pk_fma_f16 v12, v9, v12, v8
	s_delay_alu instid0(VALU_DEP_3)
	v_pk_fma_f16 v11, v9, v7, v5
	ds_load_2addr_b32 v[8:9], v94 offset0:64 offset1:96
	ds_load_b128 v[4:7], v86 offset:400
	s_wait_dscnt 0x0
	v_lshrrev_b32_e32 v15, 16, v5
	v_and_b32_e32 v5, 0xffff, v5
	v_lshrrev_b32_e32 v14, 16, v4
	v_and_b32_e32 v4, 0xffff, v4
	s_delay_alu instid0(VALU_DEP_3) | instskip(NEXT) | instid1(VALU_DEP_3)
	v_mul_u32_u24_e32 v5, 0x10001, v5
	v_mul_u32_u24_e32 v14, 0x10001, v14
	s_delay_alu instid0(VALU_DEP_3) | instskip(NEXT) | instid1(VALU_DEP_3)
	v_mul_u32_u24_e32 v4, 0x10001, v4
	v_pk_fma_f16 v5, v8, v5, v11
	v_lshrrev_b32_e32 v11, 16, v6
	v_mul_u32_u24_e32 v15, 0x10001, v15
	s_delay_alu instid0(VALU_DEP_4)
	v_pk_fma_f16 v4, v8, v4, v13
	v_pk_fma_f16 v10, v8, v14, v10
	v_and_b32_e32 v6, 0xffff, v6
	v_mul_u32_u24_e32 v11, 0x10001, v11
	v_pk_fma_f16 v8, v8, v15, v12
	v_lshrrev_b32_e32 v12, 16, v7
	v_and_b32_e32 v7, 0xffff, v7
	v_mul_u32_u24_e32 v6, 0x10001, v6
	v_pk_fma_f16 v10, v9, v11, v10
	s_delay_alu instid0(VALU_DEP_4) | instskip(NEXT) | instid1(VALU_DEP_4)
	v_mul_u32_u24_e32 v12, 0x10001, v12
	v_mul_u32_u24_e32 v7, 0x10001, v7
	s_delay_alu instid0(VALU_DEP_4) | instskip(NEXT) | instid1(VALU_DEP_3)
	v_pk_fma_f16 v13, v9, v6, v4
	v_pk_fma_f16 v12, v9, v12, v8
	s_delay_alu instid0(VALU_DEP_3)
	v_pk_fma_f16 v11, v9, v7, v5
	ds_load_2addr_b32 v[8:9], v94 offset0:128 offset1:160
	;; [unrolled: 33-line block ×3, first 2 shown]
	ds_load_b128 v[4:7], v86 offset:432
	s_wait_dscnt 0x0
	v_lshrrev_b32_e32 v15, 16, v5
	v_and_b32_e32 v5, 0xffff, v5
	v_lshrrev_b32_e32 v14, 16, v4
	v_and_b32_e32 v4, 0xffff, v4
	s_delay_alu instid0(VALU_DEP_3) | instskip(NEXT) | instid1(VALU_DEP_3)
	v_mul_u32_u24_e32 v5, 0x10001, v5
	v_mul_u32_u24_e32 v14, 0x10001, v14
	s_delay_alu instid0(VALU_DEP_3) | instskip(NEXT) | instid1(VALU_DEP_3)
	v_mul_u32_u24_e32 v4, 0x10001, v4
	v_pk_fma_f16 v5, v8, v5, v11
	v_lshrrev_b32_e32 v11, 16, v6
	v_mul_u32_u24_e32 v15, 0x10001, v15
	s_delay_alu instid0(VALU_DEP_4)
	v_pk_fma_f16 v4, v8, v4, v13
	v_pk_fma_f16 v10, v8, v14, v10
	v_and_b32_e32 v6, 0xffff, v6
	v_mul_u32_u24_e32 v11, 0x10001, v11
	v_pk_fma_f16 v8, v8, v15, v12
	v_lshrrev_b32_e32 v12, 16, v7
	v_and_b32_e32 v7, 0xffff, v7
	v_mul_u32_u24_e32 v6, 0x10001, v6
	v_pk_fma_f16 v10, v9, v11, v10
	s_delay_alu instid0(VALU_DEP_4) | instskip(NEXT) | instid1(VALU_DEP_4)
	v_mul_u32_u24_e32 v12, 0x10001, v12
	v_mul_u32_u24_e32 v7, 0x10001, v7
	s_delay_alu instid0(VALU_DEP_4) | instskip(NEXT) | instid1(VALU_DEP_3)
	v_pk_fma_f16 v13, v9, v6, v4
	v_pk_fma_f16 v12, v9, v12, v8
	s_delay_alu instid0(VALU_DEP_3)
	v_pk_fma_f16 v11, v9, v7, v5
	ds_load_2addr_b32 v[8:9], v95 offset1:32
	ds_load_b128 v[4:7], v86 offset:448
	s_wait_dscnt 0x0
	v_lshrrev_b32_e32 v15, 16, v5
	v_and_b32_e32 v5, 0xffff, v5
	v_lshrrev_b32_e32 v14, 16, v4
	v_and_b32_e32 v4, 0xffff, v4
	s_delay_alu instid0(VALU_DEP_3) | instskip(NEXT) | instid1(VALU_DEP_3)
	v_mul_u32_u24_e32 v5, 0x10001, v5
	v_mul_u32_u24_e32 v14, 0x10001, v14
	s_delay_alu instid0(VALU_DEP_3) | instskip(NEXT) | instid1(VALU_DEP_3)
	v_mul_u32_u24_e32 v4, 0x10001, v4
	v_pk_fma_f16 v5, v8, v5, v11
	v_lshrrev_b32_e32 v11, 16, v6
	v_mul_u32_u24_e32 v15, 0x10001, v15
	s_delay_alu instid0(VALU_DEP_4)
	v_pk_fma_f16 v4, v8, v4, v13
	v_pk_fma_f16 v10, v8, v14, v10
	v_and_b32_e32 v6, 0xffff, v6
	v_mul_u32_u24_e32 v11, 0x10001, v11
	v_pk_fma_f16 v8, v8, v15, v12
	v_lshrrev_b32_e32 v12, 16, v7
	v_and_b32_e32 v7, 0xffff, v7
	v_mul_u32_u24_e32 v6, 0x10001, v6
	v_pk_fma_f16 v10, v9, v11, v10
	s_delay_alu instid0(VALU_DEP_4) | instskip(NEXT) | instid1(VALU_DEP_4)
	v_mul_u32_u24_e32 v12, 0x10001, v12
	v_mul_u32_u24_e32 v7, 0x10001, v7
	s_delay_alu instid0(VALU_DEP_4) | instskip(NEXT) | instid1(VALU_DEP_3)
	v_pk_fma_f16 v13, v9, v6, v4
	v_pk_fma_f16 v12, v9, v12, v8
	s_delay_alu instid0(VALU_DEP_3)
	v_pk_fma_f16 v11, v9, v7, v5
	ds_load_2addr_b32 v[8:9], v95 offset0:64 offset1:96
	ds_load_b128 v[4:7], v86 offset:464
	s_wait_dscnt 0x0
	v_lshrrev_b32_e32 v15, 16, v5
	v_and_b32_e32 v5, 0xffff, v5
	v_lshrrev_b32_e32 v14, 16, v4
	v_and_b32_e32 v4, 0xffff, v4
	s_delay_alu instid0(VALU_DEP_3) | instskip(NEXT) | instid1(VALU_DEP_3)
	v_mul_u32_u24_e32 v5, 0x10001, v5
	v_mul_u32_u24_e32 v14, 0x10001, v14
	s_delay_alu instid0(VALU_DEP_3) | instskip(NEXT) | instid1(VALU_DEP_3)
	v_mul_u32_u24_e32 v4, 0x10001, v4
	v_pk_fma_f16 v5, v8, v5, v11
	v_lshrrev_b32_e32 v11, 16, v6
	v_mul_u32_u24_e32 v15, 0x10001, v15
	s_delay_alu instid0(VALU_DEP_4)
	v_pk_fma_f16 v4, v8, v4, v13
	v_pk_fma_f16 v10, v8, v14, v10
	v_and_b32_e32 v6, 0xffff, v6
	v_mul_u32_u24_e32 v11, 0x10001, v11
	v_pk_fma_f16 v8, v8, v15, v12
	v_lshrrev_b32_e32 v12, 16, v7
	v_and_b32_e32 v7, 0xffff, v7
	v_mul_u32_u24_e32 v6, 0x10001, v6
	v_pk_fma_f16 v10, v9, v11, v10
	s_delay_alu instid0(VALU_DEP_4) | instskip(NEXT) | instid1(VALU_DEP_4)
	v_mul_u32_u24_e32 v12, 0x10001, v12
	v_mul_u32_u24_e32 v7, 0x10001, v7
	s_delay_alu instid0(VALU_DEP_4) | instskip(NEXT) | instid1(VALU_DEP_3)
	v_pk_fma_f16 v13, v9, v6, v4
	v_pk_fma_f16 v12, v9, v12, v8
	s_delay_alu instid0(VALU_DEP_3)
	v_pk_fma_f16 v11, v9, v7, v5
	ds_load_2addr_b32 v[8:9], v95 offset0:128 offset1:160
	;; [unrolled: 33-line block ×3, first 2 shown]
	ds_load_b128 v[4:7], v86 offset:496
	s_wait_dscnt 0x0
	v_lshrrev_b32_e32 v15, 16, v5
	v_and_b32_e32 v5, 0xffff, v5
	v_lshrrev_b32_e32 v14, 16, v4
	v_and_b32_e32 v4, 0xffff, v4
	s_delay_alu instid0(VALU_DEP_3) | instskip(NEXT) | instid1(VALU_DEP_3)
	v_mul_u32_u24_e32 v5, 0x10001, v5
	v_mul_u32_u24_e32 v14, 0x10001, v14
	s_delay_alu instid0(VALU_DEP_3) | instskip(NEXT) | instid1(VALU_DEP_3)
	v_mul_u32_u24_e32 v4, 0x10001, v4
	v_pk_fma_f16 v5, v8, v5, v11
	v_lshrrev_b32_e32 v11, 16, v6
	v_mul_u32_u24_e32 v15, 0x10001, v15
	s_delay_alu instid0(VALU_DEP_4)
	v_pk_fma_f16 v4, v8, v4, v13
	v_pk_fma_f16 v10, v8, v14, v10
	v_and_b32_e32 v6, 0xffff, v6
	v_mul_u32_u24_e32 v11, 0x10001, v11
	v_pk_fma_f16 v8, v8, v15, v12
	v_lshrrev_b32_e32 v12, 16, v7
	v_and_b32_e32 v7, 0xffff, v7
	v_mul_u32_u24_e32 v6, 0x10001, v6
	v_pk_fma_f16 v10, v9, v11, v10
	s_delay_alu instid0(VALU_DEP_4) | instskip(NEXT) | instid1(VALU_DEP_4)
	v_mul_u32_u24_e32 v12, 0x10001, v12
	v_mul_u32_u24_e32 v7, 0x10001, v7
	s_delay_alu instid0(VALU_DEP_4) | instskip(NEXT) | instid1(VALU_DEP_3)
	v_pk_fma_f16 v13, v9, v6, v4
	v_pk_fma_f16 v12, v9, v12, v8
	s_delay_alu instid0(VALU_DEP_3)
	v_pk_fma_f16 v11, v9, v7, v5
	ds_load_2addr_b32 v[8:9], v96 offset1:32
	ds_load_b128 v[4:7], v86 offset:512
	s_wait_dscnt 0x0
	v_lshrrev_b32_e32 v15, 16, v5
	v_and_b32_e32 v5, 0xffff, v5
	v_lshrrev_b32_e32 v14, 16, v4
	v_and_b32_e32 v4, 0xffff, v4
	s_delay_alu instid0(VALU_DEP_3) | instskip(NEXT) | instid1(VALU_DEP_3)
	v_mul_u32_u24_e32 v5, 0x10001, v5
	v_mul_u32_u24_e32 v14, 0x10001, v14
	s_delay_alu instid0(VALU_DEP_3) | instskip(NEXT) | instid1(VALU_DEP_3)
	v_mul_u32_u24_e32 v4, 0x10001, v4
	v_pk_fma_f16 v5, v8, v5, v11
	v_lshrrev_b32_e32 v11, 16, v6
	v_mul_u32_u24_e32 v15, 0x10001, v15
	s_delay_alu instid0(VALU_DEP_4)
	v_pk_fma_f16 v4, v8, v4, v13
	v_pk_fma_f16 v10, v8, v14, v10
	v_and_b32_e32 v6, 0xffff, v6
	v_mul_u32_u24_e32 v11, 0x10001, v11
	v_pk_fma_f16 v8, v8, v15, v12
	v_lshrrev_b32_e32 v12, 16, v7
	v_and_b32_e32 v7, 0xffff, v7
	v_mul_u32_u24_e32 v6, 0x10001, v6
	v_pk_fma_f16 v10, v9, v11, v10
	s_delay_alu instid0(VALU_DEP_4) | instskip(NEXT) | instid1(VALU_DEP_4)
	v_mul_u32_u24_e32 v12, 0x10001, v12
	v_mul_u32_u24_e32 v7, 0x10001, v7
	s_delay_alu instid0(VALU_DEP_4) | instskip(NEXT) | instid1(VALU_DEP_3)
	v_pk_fma_f16 v13, v9, v6, v4
	v_pk_fma_f16 v12, v9, v12, v8
	s_delay_alu instid0(VALU_DEP_3)
	v_pk_fma_f16 v11, v9, v7, v5
	ds_load_2addr_b32 v[4:5], v96 offset0:64 offset1:96
	ds_load_b128 v[6:9], v86 offset:528
	s_wait_dscnt 0x0
	v_lshrrev_b32_e32 v15, 16, v7
	v_and_b32_e32 v7, 0xffff, v7
	v_lshrrev_b32_e32 v14, 16, v6
	v_and_b32_e32 v6, 0xffff, v6
	s_delay_alu instid0(VALU_DEP_3) | instskip(NEXT) | instid1(VALU_DEP_3)
	v_mul_u32_u24_e32 v7, 0x10001, v7
	v_mul_u32_u24_e32 v14, 0x10001, v14
	s_delay_alu instid0(VALU_DEP_3) | instskip(NEXT) | instid1(VALU_DEP_3)
	v_mul_u32_u24_e32 v6, 0x10001, v6
	v_pk_fma_f16 v7, v4, v7, v11
	v_lshrrev_b32_e32 v11, 16, v8
	v_mul_u32_u24_e32 v15, 0x10001, v15
	s_delay_alu instid0(VALU_DEP_4)
	v_pk_fma_f16 v6, v4, v6, v13
	v_pk_fma_f16 v10, v4, v14, v10
	v_and_b32_e32 v8, 0xffff, v8
	v_mul_u32_u24_e32 v11, 0x10001, v11
	v_pk_fma_f16 v4, v4, v15, v12
	v_lshrrev_b32_e32 v12, 16, v9
	v_and_b32_e32 v9, 0xffff, v9
	v_mul_u32_u24_e32 v8, 0x10001, v8
	v_pk_fma_f16 v10, v5, v11, v10
	s_delay_alu instid0(VALU_DEP_4) | instskip(NEXT) | instid1(VALU_DEP_4)
	v_mul_u32_u24_e32 v12, 0x10001, v12
	v_mul_u32_u24_e32 v9, 0x10001, v9
	s_delay_alu instid0(VALU_DEP_4) | instskip(NEXT) | instid1(VALU_DEP_3)
	v_pk_fma_f16 v13, v5, v8, v6
	v_pk_fma_f16 v12, v5, v12, v4
	s_delay_alu instid0(VALU_DEP_3)
	v_pk_fma_f16 v11, v5, v9, v7
	ds_load_2addr_b32 v[8:9], v96 offset0:128 offset1:160
	ds_load_b128 v[4:7], v86 offset:544
	s_wait_dscnt 0x0
	v_lshrrev_b32_e32 v15, 16, v5
	v_and_b32_e32 v5, 0xffff, v5
	v_lshrrev_b32_e32 v14, 16, v4
	v_and_b32_e32 v4, 0xffff, v4
	s_delay_alu instid0(VALU_DEP_3) | instskip(NEXT) | instid1(VALU_DEP_3)
	v_mul_u32_u24_e32 v5, 0x10001, v5
	v_mul_u32_u24_e32 v14, 0x10001, v14
	s_delay_alu instid0(VALU_DEP_3) | instskip(NEXT) | instid1(VALU_DEP_3)
	v_mul_u32_u24_e32 v4, 0x10001, v4
	v_pk_fma_f16 v5, v8, v5, v11
	v_lshrrev_b32_e32 v11, 16, v6
	v_mul_u32_u24_e32 v15, 0x10001, v15
	s_delay_alu instid0(VALU_DEP_4)
	v_pk_fma_f16 v4, v8, v4, v13
	v_pk_fma_f16 v10, v8, v14, v10
	v_and_b32_e32 v6, 0xffff, v6
	v_mul_u32_u24_e32 v11, 0x10001, v11
	v_pk_fma_f16 v8, v8, v15, v12
	v_lshrrev_b32_e32 v12, 16, v7
	v_and_b32_e32 v7, 0xffff, v7
	v_mul_u32_u24_e32 v6, 0x10001, v6
	v_pk_fma_f16 v10, v9, v11, v10
	s_delay_alu instid0(VALU_DEP_4) | instskip(NEXT) | instid1(VALU_DEP_4)
	v_mul_u32_u24_e32 v12, 0x10001, v12
	v_mul_u32_u24_e32 v7, 0x10001, v7
	s_delay_alu instid0(VALU_DEP_4) | instskip(NEXT) | instid1(VALU_DEP_3)
	v_pk_fma_f16 v13, v9, v6, v4
	v_pk_fma_f16 v12, v9, v12, v8
	s_delay_alu instid0(VALU_DEP_3)
	v_pk_fma_f16 v11, v9, v7, v5
	ds_load_2addr_b32 v[4:5], v96 offset0:192 offset1:224
	ds_load_b128 v[6:9], v86 offset:560
	s_wait_dscnt 0x0
	v_lshrrev_b32_e32 v15, 16, v7
	v_and_b32_e32 v7, 0xffff, v7
	v_lshrrev_b32_e32 v14, 16, v6
	v_and_b32_e32 v6, 0xffff, v6
	s_delay_alu instid0(VALU_DEP_3) | instskip(NEXT) | instid1(VALU_DEP_3)
	v_mul_u32_u24_e32 v7, 0x10001, v7
	v_mul_u32_u24_e32 v14, 0x10001, v14
	s_delay_alu instid0(VALU_DEP_3) | instskip(NEXT) | instid1(VALU_DEP_3)
	v_mul_u32_u24_e32 v6, 0x10001, v6
	v_pk_fma_f16 v7, v4, v7, v11
	v_lshrrev_b32_e32 v11, 16, v8
	v_mul_u32_u24_e32 v15, 0x10001, v15
	s_delay_alu instid0(VALU_DEP_4)
	v_pk_fma_f16 v6, v4, v6, v13
	v_pk_fma_f16 v10, v4, v14, v10
	v_and_b32_e32 v8, 0xffff, v8
	v_mul_u32_u24_e32 v11, 0x10001, v11
	v_pk_fma_f16 v4, v4, v15, v12
	v_lshrrev_b32_e32 v12, 16, v9
	v_and_b32_e32 v9, 0xffff, v9
	v_mul_u32_u24_e32 v8, 0x10001, v8
	v_pk_fma_f16 v10, v5, v11, v10
	s_delay_alu instid0(VALU_DEP_4) | instskip(NEXT) | instid1(VALU_DEP_4)
	v_mul_u32_u24_e32 v12, 0x10001, v12
	v_mul_u32_u24_e32 v9, 0x10001, v9
	s_delay_alu instid0(VALU_DEP_4) | instskip(NEXT) | instid1(VALU_DEP_3)
	v_pk_fma_f16 v13, v5, v8, v6
	v_pk_fma_f16 v12, v5, v12, v4
	s_delay_alu instid0(VALU_DEP_3)
	v_pk_fma_f16 v11, v5, v9, v7
	ds_load_2addr_b32 v[8:9], v97 offset1:32
	ds_load_b128 v[4:7], v86 offset:576
	s_wait_dscnt 0x0
	v_lshrrev_b32_e32 v15, 16, v5
	v_and_b32_e32 v5, 0xffff, v5
	v_lshrrev_b32_e32 v14, 16, v4
	v_and_b32_e32 v4, 0xffff, v4
	s_delay_alu instid0(VALU_DEP_3) | instskip(NEXT) | instid1(VALU_DEP_3)
	v_mul_u32_u24_e32 v5, 0x10001, v5
	v_mul_u32_u24_e32 v14, 0x10001, v14
	s_delay_alu instid0(VALU_DEP_3) | instskip(NEXT) | instid1(VALU_DEP_3)
	v_mul_u32_u24_e32 v4, 0x10001, v4
	v_pk_fma_f16 v5, v8, v5, v11
	v_lshrrev_b32_e32 v11, 16, v6
	v_mul_u32_u24_e32 v15, 0x10001, v15
	s_delay_alu instid0(VALU_DEP_4)
	v_pk_fma_f16 v4, v8, v4, v13
	v_pk_fma_f16 v10, v8, v14, v10
	v_and_b32_e32 v6, 0xffff, v6
	v_mul_u32_u24_e32 v11, 0x10001, v11
	v_pk_fma_f16 v8, v8, v15, v12
	v_lshrrev_b32_e32 v12, 16, v7
	v_and_b32_e32 v7, 0xffff, v7
	v_mul_u32_u24_e32 v6, 0x10001, v6
	v_pk_fma_f16 v10, v9, v11, v10
	s_delay_alu instid0(VALU_DEP_4) | instskip(NEXT) | instid1(VALU_DEP_4)
	v_mul_u32_u24_e32 v12, 0x10001, v12
	v_mul_u32_u24_e32 v7, 0x10001, v7
	s_delay_alu instid0(VALU_DEP_4) | instskip(NEXT) | instid1(VALU_DEP_3)
	v_pk_fma_f16 v13, v9, v6, v4
	v_pk_fma_f16 v12, v9, v12, v8
	s_delay_alu instid0(VALU_DEP_3)
	v_pk_fma_f16 v11, v9, v7, v5
	ds_load_2addr_b32 v[4:5], v97 offset0:64 offset1:96
	ds_load_b128 v[6:9], v86 offset:592
	s_wait_dscnt 0x0
	v_lshrrev_b32_e32 v15, 16, v7
	v_and_b32_e32 v7, 0xffff, v7
	v_lshrrev_b32_e32 v14, 16, v6
	v_and_b32_e32 v6, 0xffff, v6
	s_delay_alu instid0(VALU_DEP_3) | instskip(NEXT) | instid1(VALU_DEP_3)
	v_mul_u32_u24_e32 v7, 0x10001, v7
	v_mul_u32_u24_e32 v14, 0x10001, v14
	s_delay_alu instid0(VALU_DEP_3) | instskip(NEXT) | instid1(VALU_DEP_3)
	v_mul_u32_u24_e32 v6, 0x10001, v6
	v_pk_fma_f16 v7, v4, v7, v11
	v_lshrrev_b32_e32 v11, 16, v8
	v_mul_u32_u24_e32 v15, 0x10001, v15
	s_delay_alu instid0(VALU_DEP_4)
	v_pk_fma_f16 v6, v4, v6, v13
	v_pk_fma_f16 v10, v4, v14, v10
	v_and_b32_e32 v8, 0xffff, v8
	v_mul_u32_u24_e32 v11, 0x10001, v11
	v_pk_fma_f16 v4, v4, v15, v12
	v_lshrrev_b32_e32 v12, 16, v9
	v_and_b32_e32 v9, 0xffff, v9
	v_mul_u32_u24_e32 v8, 0x10001, v8
	v_pk_fma_f16 v10, v5, v11, v10
	s_delay_alu instid0(VALU_DEP_4) | instskip(NEXT) | instid1(VALU_DEP_4)
	v_mul_u32_u24_e32 v12, 0x10001, v12
	v_mul_u32_u24_e32 v9, 0x10001, v9
	s_delay_alu instid0(VALU_DEP_4) | instskip(NEXT) | instid1(VALU_DEP_3)
	v_pk_fma_f16 v13, v5, v8, v6
	v_pk_fma_f16 v12, v5, v12, v4
	s_delay_alu instid0(VALU_DEP_3)
	v_pk_fma_f16 v11, v5, v9, v7
	ds_load_2addr_b32 v[8:9], v97 offset0:128 offset1:160
	;; [unrolled: 33-line block ×3, first 2 shown]
	ds_load_b128 v[6:9], v86 offset:624
	s_wait_dscnt 0x0
	v_lshrrev_b32_e32 v15, 16, v7
	v_and_b32_e32 v7, 0xffff, v7
	v_lshrrev_b32_e32 v14, 16, v6
	v_and_b32_e32 v6, 0xffff, v6
	s_delay_alu instid0(VALU_DEP_3) | instskip(NEXT) | instid1(VALU_DEP_3)
	v_mul_u32_u24_e32 v7, 0x10001, v7
	v_mul_u32_u24_e32 v14, 0x10001, v14
	s_delay_alu instid0(VALU_DEP_3) | instskip(NEXT) | instid1(VALU_DEP_3)
	v_mul_u32_u24_e32 v6, 0x10001, v6
	v_pk_fma_f16 v7, v4, v7, v11
	v_lshrrev_b32_e32 v11, 16, v8
	v_mul_u32_u24_e32 v15, 0x10001, v15
	s_delay_alu instid0(VALU_DEP_4)
	v_pk_fma_f16 v6, v4, v6, v13
	v_pk_fma_f16 v10, v4, v14, v10
	v_and_b32_e32 v8, 0xffff, v8
	v_mul_u32_u24_e32 v11, 0x10001, v11
	v_pk_fma_f16 v4, v4, v15, v12
	v_lshrrev_b32_e32 v12, 16, v9
	v_and_b32_e32 v9, 0xffff, v9
	v_mul_u32_u24_e32 v8, 0x10001, v8
	v_pk_fma_f16 v10, v5, v11, v10
	s_delay_alu instid0(VALU_DEP_4) | instskip(NEXT) | instid1(VALU_DEP_4)
	v_mul_u32_u24_e32 v12, 0x10001, v12
	v_mul_u32_u24_e32 v9, 0x10001, v9
	s_delay_alu instid0(VALU_DEP_4) | instskip(NEXT) | instid1(VALU_DEP_3)
	v_pk_fma_f16 v13, v5, v8, v6
	v_pk_fma_f16 v12, v5, v12, v4
	s_delay_alu instid0(VALU_DEP_3)
	v_pk_fma_f16 v11, v5, v9, v7
	ds_load_2addr_b32 v[8:9], v98 offset1:32
	ds_load_b128 v[4:7], v86 offset:640
	s_wait_dscnt 0x0
	v_lshrrev_b32_e32 v15, 16, v5
	v_and_b32_e32 v5, 0xffff, v5
	v_lshrrev_b32_e32 v14, 16, v4
	v_and_b32_e32 v4, 0xffff, v4
	s_delay_alu instid0(VALU_DEP_3) | instskip(NEXT) | instid1(VALU_DEP_3)
	v_mul_u32_u24_e32 v5, 0x10001, v5
	v_mul_u32_u24_e32 v14, 0x10001, v14
	s_delay_alu instid0(VALU_DEP_3) | instskip(NEXT) | instid1(VALU_DEP_3)
	v_mul_u32_u24_e32 v4, 0x10001, v4
	v_pk_fma_f16 v5, v8, v5, v11
	v_lshrrev_b32_e32 v11, 16, v6
	v_mul_u32_u24_e32 v15, 0x10001, v15
	s_delay_alu instid0(VALU_DEP_4)
	v_pk_fma_f16 v4, v8, v4, v13
	v_pk_fma_f16 v10, v8, v14, v10
	v_and_b32_e32 v6, 0xffff, v6
	v_mul_u32_u24_e32 v11, 0x10001, v11
	v_pk_fma_f16 v8, v8, v15, v12
	v_lshrrev_b32_e32 v12, 16, v7
	v_and_b32_e32 v7, 0xffff, v7
	v_mul_u32_u24_e32 v6, 0x10001, v6
	v_pk_fma_f16 v10, v9, v11, v10
	s_delay_alu instid0(VALU_DEP_4) | instskip(NEXT) | instid1(VALU_DEP_4)
	v_mul_u32_u24_e32 v12, 0x10001, v12
	v_mul_u32_u24_e32 v7, 0x10001, v7
	s_delay_alu instid0(VALU_DEP_4) | instskip(NEXT) | instid1(VALU_DEP_3)
	v_pk_fma_f16 v13, v9, v6, v4
	v_pk_fma_f16 v12, v9, v12, v8
	s_delay_alu instid0(VALU_DEP_3)
	v_pk_fma_f16 v11, v9, v7, v5
	ds_load_2addr_b32 v[4:5], v98 offset0:64 offset1:96
	ds_load_b128 v[6:9], v86 offset:656
	s_wait_dscnt 0x0
	v_lshrrev_b32_e32 v15, 16, v7
	v_and_b32_e32 v7, 0xffff, v7
	v_lshrrev_b32_e32 v14, 16, v6
	v_and_b32_e32 v6, 0xffff, v6
	s_delay_alu instid0(VALU_DEP_3) | instskip(NEXT) | instid1(VALU_DEP_3)
	v_mul_u32_u24_e32 v7, 0x10001, v7
	v_mul_u32_u24_e32 v14, 0x10001, v14
	s_delay_alu instid0(VALU_DEP_3) | instskip(NEXT) | instid1(VALU_DEP_3)
	v_mul_u32_u24_e32 v6, 0x10001, v6
	v_pk_fma_f16 v7, v4, v7, v11
	v_lshrrev_b32_e32 v11, 16, v8
	v_mul_u32_u24_e32 v15, 0x10001, v15
	s_delay_alu instid0(VALU_DEP_4)
	v_pk_fma_f16 v6, v4, v6, v13
	v_pk_fma_f16 v10, v4, v14, v10
	v_and_b32_e32 v8, 0xffff, v8
	v_mul_u32_u24_e32 v11, 0x10001, v11
	v_pk_fma_f16 v4, v4, v15, v12
	v_lshrrev_b32_e32 v12, 16, v9
	v_and_b32_e32 v9, 0xffff, v9
	v_mul_u32_u24_e32 v8, 0x10001, v8
	v_pk_fma_f16 v10, v5, v11, v10
	s_delay_alu instid0(VALU_DEP_4) | instskip(NEXT) | instid1(VALU_DEP_4)
	v_mul_u32_u24_e32 v12, 0x10001, v12
	v_mul_u32_u24_e32 v9, 0x10001, v9
	s_delay_alu instid0(VALU_DEP_4) | instskip(NEXT) | instid1(VALU_DEP_3)
	v_pk_fma_f16 v13, v5, v8, v6
	v_pk_fma_f16 v12, v5, v12, v4
	s_delay_alu instid0(VALU_DEP_3)
	v_pk_fma_f16 v11, v5, v9, v7
	ds_load_2addr_b32 v[8:9], v98 offset0:128 offset1:160
	;; [unrolled: 33-line block ×3, first 2 shown]
	ds_load_b128 v[6:9], v86 offset:688
	s_wait_dscnt 0x0
	v_lshrrev_b32_e32 v15, 16, v7
	v_and_b32_e32 v7, 0xffff, v7
	v_lshrrev_b32_e32 v14, 16, v6
	v_and_b32_e32 v6, 0xffff, v6
	s_delay_alu instid0(VALU_DEP_3) | instskip(NEXT) | instid1(VALU_DEP_3)
	v_mul_u32_u24_e32 v7, 0x10001, v7
	v_mul_u32_u24_e32 v14, 0x10001, v14
	s_delay_alu instid0(VALU_DEP_3) | instskip(NEXT) | instid1(VALU_DEP_3)
	v_mul_u32_u24_e32 v6, 0x10001, v6
	v_pk_fma_f16 v7, v4, v7, v11
	v_lshrrev_b32_e32 v11, 16, v8
	v_mul_u32_u24_e32 v15, 0x10001, v15
	s_delay_alu instid0(VALU_DEP_4)
	v_pk_fma_f16 v6, v4, v6, v13
	v_pk_fma_f16 v10, v4, v14, v10
	v_and_b32_e32 v8, 0xffff, v8
	v_mul_u32_u24_e32 v11, 0x10001, v11
	v_pk_fma_f16 v4, v4, v15, v12
	v_lshrrev_b32_e32 v12, 16, v9
	v_and_b32_e32 v9, 0xffff, v9
	v_mul_u32_u24_e32 v8, 0x10001, v8
	v_pk_fma_f16 v10, v5, v11, v10
	s_delay_alu instid0(VALU_DEP_4) | instskip(NEXT) | instid1(VALU_DEP_4)
	v_mul_u32_u24_e32 v12, 0x10001, v12
	v_mul_u32_u24_e32 v9, 0x10001, v9
	s_delay_alu instid0(VALU_DEP_4) | instskip(NEXT) | instid1(VALU_DEP_3)
	v_pk_fma_f16 v13, v5, v8, v6
	v_pk_fma_f16 v12, v5, v12, v4
	s_delay_alu instid0(VALU_DEP_3)
	v_pk_fma_f16 v11, v5, v9, v7
	ds_load_2addr_b32 v[8:9], v99 offset1:32
	ds_load_b128 v[4:7], v86 offset:704
	s_wait_dscnt 0x0
	v_lshrrev_b32_e32 v15, 16, v5
	v_and_b32_e32 v5, 0xffff, v5
	v_lshrrev_b32_e32 v14, 16, v4
	v_and_b32_e32 v4, 0xffff, v4
	s_delay_alu instid0(VALU_DEP_3) | instskip(NEXT) | instid1(VALU_DEP_3)
	v_mul_u32_u24_e32 v5, 0x10001, v5
	v_mul_u32_u24_e32 v14, 0x10001, v14
	s_delay_alu instid0(VALU_DEP_3) | instskip(NEXT) | instid1(VALU_DEP_3)
	v_mul_u32_u24_e32 v4, 0x10001, v4
	v_pk_fma_f16 v5, v8, v5, v11
	v_lshrrev_b32_e32 v11, 16, v6
	v_mul_u32_u24_e32 v15, 0x10001, v15
	s_delay_alu instid0(VALU_DEP_4)
	v_pk_fma_f16 v4, v8, v4, v13
	v_pk_fma_f16 v10, v8, v14, v10
	v_and_b32_e32 v6, 0xffff, v6
	v_mul_u32_u24_e32 v11, 0x10001, v11
	v_pk_fma_f16 v8, v8, v15, v12
	v_lshrrev_b32_e32 v12, 16, v7
	v_and_b32_e32 v7, 0xffff, v7
	v_mul_u32_u24_e32 v6, 0x10001, v6
	v_pk_fma_f16 v10, v9, v11, v10
	s_delay_alu instid0(VALU_DEP_4) | instskip(NEXT) | instid1(VALU_DEP_4)
	v_mul_u32_u24_e32 v12, 0x10001, v12
	v_mul_u32_u24_e32 v7, 0x10001, v7
	s_delay_alu instid0(VALU_DEP_4) | instskip(NEXT) | instid1(VALU_DEP_3)
	v_pk_fma_f16 v13, v9, v6, v4
	v_pk_fma_f16 v12, v9, v12, v8
	s_delay_alu instid0(VALU_DEP_3)
	v_pk_fma_f16 v11, v9, v7, v5
	ds_load_2addr_b32 v[4:5], v99 offset0:64 offset1:96
	ds_load_b128 v[6:9], v86 offset:720
	s_wait_dscnt 0x0
	v_lshrrev_b32_e32 v15, 16, v7
	v_and_b32_e32 v7, 0xffff, v7
	v_lshrrev_b32_e32 v14, 16, v6
	v_and_b32_e32 v6, 0xffff, v6
	s_delay_alu instid0(VALU_DEP_3) | instskip(NEXT) | instid1(VALU_DEP_3)
	v_mul_u32_u24_e32 v7, 0x10001, v7
	v_mul_u32_u24_e32 v14, 0x10001, v14
	s_delay_alu instid0(VALU_DEP_3) | instskip(NEXT) | instid1(VALU_DEP_3)
	v_mul_u32_u24_e32 v6, 0x10001, v6
	v_pk_fma_f16 v7, v4, v7, v11
	v_lshrrev_b32_e32 v11, 16, v8
	v_mul_u32_u24_e32 v15, 0x10001, v15
	s_delay_alu instid0(VALU_DEP_4)
	v_pk_fma_f16 v6, v4, v6, v13
	v_pk_fma_f16 v10, v4, v14, v10
	v_and_b32_e32 v8, 0xffff, v8
	v_mul_u32_u24_e32 v11, 0x10001, v11
	v_pk_fma_f16 v4, v4, v15, v12
	v_lshrrev_b32_e32 v12, 16, v9
	v_and_b32_e32 v9, 0xffff, v9
	v_mul_u32_u24_e32 v8, 0x10001, v8
	v_pk_fma_f16 v10, v5, v11, v10
	s_delay_alu instid0(VALU_DEP_4) | instskip(NEXT) | instid1(VALU_DEP_4)
	v_mul_u32_u24_e32 v12, 0x10001, v12
	v_mul_u32_u24_e32 v9, 0x10001, v9
	s_delay_alu instid0(VALU_DEP_4) | instskip(NEXT) | instid1(VALU_DEP_3)
	v_pk_fma_f16 v13, v5, v8, v6
	v_pk_fma_f16 v12, v5, v12, v4
	s_delay_alu instid0(VALU_DEP_3)
	v_pk_fma_f16 v11, v5, v9, v7
	ds_load_2addr_b32 v[8:9], v99 offset0:128 offset1:160
	ds_load_b128 v[4:7], v86 offset:736
	s_wait_dscnt 0x0
	v_lshrrev_b32_e32 v15, 16, v5
	v_and_b32_e32 v5, 0xffff, v5
	v_lshrrev_b32_e32 v14, 16, v4
	v_and_b32_e32 v4, 0xffff, v4
	s_delay_alu instid0(VALU_DEP_3) | instskip(NEXT) | instid1(VALU_DEP_3)
	v_mul_u32_u24_e32 v5, 0x10001, v5
	v_mul_u32_u24_e32 v14, 0x10001, v14
	s_delay_alu instid0(VALU_DEP_3) | instskip(NEXT) | instid1(VALU_DEP_3)
	v_mul_u32_u24_e32 v4, 0x10001, v4
	v_pk_fma_f16 v5, v8, v5, v11
	v_lshrrev_b32_e32 v11, 16, v6
	v_mul_u32_u24_e32 v15, 0x10001, v15
	s_delay_alu instid0(VALU_DEP_4)
	v_pk_fma_f16 v4, v8, v4, v13
	v_pk_fma_f16 v10, v8, v14, v10
	v_and_b32_e32 v6, 0xffff, v6
	v_mul_u32_u24_e32 v11, 0x10001, v11
	v_pk_fma_f16 v8, v8, v15, v12
	v_lshrrev_b32_e32 v12, 16, v7
	v_and_b32_e32 v7, 0xffff, v7
	v_mul_u32_u24_e32 v6, 0x10001, v6
	v_pk_fma_f16 v10, v9, v11, v10
	s_delay_alu instid0(VALU_DEP_4) | instskip(NEXT) | instid1(VALU_DEP_4)
	v_mul_u32_u24_e32 v12, 0x10001, v12
	v_mul_u32_u24_e32 v7, 0x10001, v7
	s_delay_alu instid0(VALU_DEP_4) | instskip(NEXT) | instid1(VALU_DEP_3)
	v_pk_fma_f16 v13, v9, v6, v4
	v_pk_fma_f16 v12, v9, v12, v8
	s_delay_alu instid0(VALU_DEP_3)
	v_pk_fma_f16 v11, v9, v7, v5
	ds_load_2addr_b32 v[4:5], v99 offset0:192 offset1:224
	ds_load_b128 v[6:9], v86 offset:752
	s_wait_dscnt 0x0
	v_lshrrev_b32_e32 v15, 16, v7
	v_and_b32_e32 v7, 0xffff, v7
	v_lshrrev_b32_e32 v14, 16, v6
	v_and_b32_e32 v6, 0xffff, v6
	s_delay_alu instid0(VALU_DEP_3) | instskip(NEXT) | instid1(VALU_DEP_3)
	v_mul_u32_u24_e32 v7, 0x10001, v7
	v_mul_u32_u24_e32 v14, 0x10001, v14
	s_delay_alu instid0(VALU_DEP_3) | instskip(NEXT) | instid1(VALU_DEP_3)
	v_mul_u32_u24_e32 v6, 0x10001, v6
	v_pk_fma_f16 v7, v4, v7, v11
	v_lshrrev_b32_e32 v11, 16, v8
	v_mul_u32_u24_e32 v15, 0x10001, v15
	s_delay_alu instid0(VALU_DEP_4)
	v_pk_fma_f16 v6, v4, v6, v13
	v_pk_fma_f16 v10, v4, v14, v10
	v_and_b32_e32 v8, 0xffff, v8
	v_mul_u32_u24_e32 v11, 0x10001, v11
	v_pk_fma_f16 v4, v4, v15, v12
	v_lshrrev_b32_e32 v12, 16, v9
	v_and_b32_e32 v9, 0xffff, v9
	v_mul_u32_u24_e32 v8, 0x10001, v8
	v_pk_fma_f16 v10, v5, v11, v10
	s_delay_alu instid0(VALU_DEP_4) | instskip(NEXT) | instid1(VALU_DEP_4)
	v_mul_u32_u24_e32 v12, 0x10001, v12
	v_mul_u32_u24_e32 v9, 0x10001, v9
	s_delay_alu instid0(VALU_DEP_4) | instskip(NEXT) | instid1(VALU_DEP_3)
	v_pk_fma_f16 v13, v5, v8, v6
	v_pk_fma_f16 v12, v5, v12, v4
	s_delay_alu instid0(VALU_DEP_3)
	v_pk_fma_f16 v11, v5, v9, v7
	ds_load_2addr_b32 v[8:9], v100 offset1:32
	ds_load_b128 v[4:7], v86 offset:768
	s_wait_dscnt 0x0
	v_lshrrev_b32_e32 v15, 16, v5
	v_and_b32_e32 v5, 0xffff, v5
	v_lshrrev_b32_e32 v14, 16, v4
	v_and_b32_e32 v4, 0xffff, v4
	s_delay_alu instid0(VALU_DEP_3) | instskip(NEXT) | instid1(VALU_DEP_3)
	v_mul_u32_u24_e32 v5, 0x10001, v5
	v_mul_u32_u24_e32 v14, 0x10001, v14
	s_delay_alu instid0(VALU_DEP_3) | instskip(NEXT) | instid1(VALU_DEP_3)
	v_mul_u32_u24_e32 v4, 0x10001, v4
	v_pk_fma_f16 v5, v8, v5, v11
	v_lshrrev_b32_e32 v11, 16, v6
	v_mul_u32_u24_e32 v15, 0x10001, v15
	s_delay_alu instid0(VALU_DEP_4)
	v_pk_fma_f16 v4, v8, v4, v13
	v_pk_fma_f16 v10, v8, v14, v10
	v_and_b32_e32 v6, 0xffff, v6
	v_mul_u32_u24_e32 v11, 0x10001, v11
	v_pk_fma_f16 v8, v8, v15, v12
	v_lshrrev_b32_e32 v12, 16, v7
	v_and_b32_e32 v7, 0xffff, v7
	v_mul_u32_u24_e32 v6, 0x10001, v6
	v_pk_fma_f16 v10, v9, v11, v10
	s_delay_alu instid0(VALU_DEP_4) | instskip(NEXT) | instid1(VALU_DEP_4)
	v_mul_u32_u24_e32 v12, 0x10001, v12
	v_mul_u32_u24_e32 v7, 0x10001, v7
	s_delay_alu instid0(VALU_DEP_4) | instskip(NEXT) | instid1(VALU_DEP_3)
	v_pk_fma_f16 v13, v9, v6, v4
	v_pk_fma_f16 v12, v9, v12, v8
	s_delay_alu instid0(VALU_DEP_3)
	v_pk_fma_f16 v11, v9, v7, v5
	ds_load_2addr_b32 v[4:5], v100 offset0:64 offset1:96
	ds_load_b128 v[6:9], v86 offset:784
	s_wait_dscnt 0x0
	v_lshrrev_b32_e32 v15, 16, v7
	v_and_b32_e32 v7, 0xffff, v7
	v_lshrrev_b32_e32 v14, 16, v6
	v_and_b32_e32 v6, 0xffff, v6
	s_delay_alu instid0(VALU_DEP_3) | instskip(NEXT) | instid1(VALU_DEP_3)
	v_mul_u32_u24_e32 v7, 0x10001, v7
	v_mul_u32_u24_e32 v14, 0x10001, v14
	s_delay_alu instid0(VALU_DEP_3) | instskip(NEXT) | instid1(VALU_DEP_3)
	v_mul_u32_u24_e32 v6, 0x10001, v6
	v_pk_fma_f16 v7, v4, v7, v11
	v_lshrrev_b32_e32 v11, 16, v8
	v_mul_u32_u24_e32 v15, 0x10001, v15
	s_delay_alu instid0(VALU_DEP_4)
	v_pk_fma_f16 v6, v4, v6, v13
	v_pk_fma_f16 v10, v4, v14, v10
	v_and_b32_e32 v8, 0xffff, v8
	v_mul_u32_u24_e32 v11, 0x10001, v11
	v_pk_fma_f16 v4, v4, v15, v12
	v_lshrrev_b32_e32 v12, 16, v9
	v_and_b32_e32 v9, 0xffff, v9
	v_mul_u32_u24_e32 v8, 0x10001, v8
	v_pk_fma_f16 v10, v5, v11, v10
	s_delay_alu instid0(VALU_DEP_4) | instskip(NEXT) | instid1(VALU_DEP_4)
	v_mul_u32_u24_e32 v12, 0x10001, v12
	v_mul_u32_u24_e32 v9, 0x10001, v9
	s_delay_alu instid0(VALU_DEP_4) | instskip(NEXT) | instid1(VALU_DEP_3)
	v_pk_fma_f16 v13, v5, v8, v6
	v_pk_fma_f16 v12, v5, v12, v4
	s_delay_alu instid0(VALU_DEP_3)
	v_pk_fma_f16 v11, v5, v9, v7
	ds_load_2addr_b32 v[8:9], v100 offset0:128 offset1:160
	;; [unrolled: 33-line block ×3, first 2 shown]
	ds_load_b128 v[6:9], v86 offset:816
	s_wait_dscnt 0x0
	v_lshrrev_b32_e32 v15, 16, v7
	v_and_b32_e32 v7, 0xffff, v7
	v_lshrrev_b32_e32 v14, 16, v6
	v_and_b32_e32 v6, 0xffff, v6
	s_delay_alu instid0(VALU_DEP_3) | instskip(NEXT) | instid1(VALU_DEP_3)
	v_mul_u32_u24_e32 v7, 0x10001, v7
	v_mul_u32_u24_e32 v14, 0x10001, v14
	s_delay_alu instid0(VALU_DEP_3) | instskip(NEXT) | instid1(VALU_DEP_3)
	v_mul_u32_u24_e32 v6, 0x10001, v6
	v_pk_fma_f16 v7, v4, v7, v11
	v_lshrrev_b32_e32 v11, 16, v8
	v_mul_u32_u24_e32 v15, 0x10001, v15
	s_delay_alu instid0(VALU_DEP_4)
	v_pk_fma_f16 v6, v4, v6, v13
	v_pk_fma_f16 v10, v4, v14, v10
	v_and_b32_e32 v8, 0xffff, v8
	v_mul_u32_u24_e32 v11, 0x10001, v11
	v_pk_fma_f16 v4, v4, v15, v12
	v_lshrrev_b32_e32 v12, 16, v9
	v_and_b32_e32 v9, 0xffff, v9
	v_mul_u32_u24_e32 v8, 0x10001, v8
	v_pk_fma_f16 v10, v5, v11, v10
	s_delay_alu instid0(VALU_DEP_4) | instskip(NEXT) | instid1(VALU_DEP_4)
	v_mul_u32_u24_e32 v12, 0x10001, v12
	v_mul_u32_u24_e32 v9, 0x10001, v9
	s_delay_alu instid0(VALU_DEP_4) | instskip(NEXT) | instid1(VALU_DEP_3)
	v_pk_fma_f16 v13, v5, v8, v6
	v_pk_fma_f16 v12, v5, v12, v4
	s_delay_alu instid0(VALU_DEP_3)
	v_pk_fma_f16 v11, v5, v9, v7
	ds_load_2addr_b32 v[8:9], v101 offset1:32
	ds_load_b128 v[4:7], v86 offset:832
	s_wait_dscnt 0x0
	v_lshrrev_b32_e32 v15, 16, v5
	v_and_b32_e32 v5, 0xffff, v5
	v_lshrrev_b32_e32 v14, 16, v4
	v_and_b32_e32 v4, 0xffff, v4
	s_delay_alu instid0(VALU_DEP_3) | instskip(NEXT) | instid1(VALU_DEP_3)
	v_mul_u32_u24_e32 v5, 0x10001, v5
	v_mul_u32_u24_e32 v14, 0x10001, v14
	s_delay_alu instid0(VALU_DEP_3) | instskip(NEXT) | instid1(VALU_DEP_3)
	v_mul_u32_u24_e32 v4, 0x10001, v4
	v_pk_fma_f16 v5, v8, v5, v11
	v_lshrrev_b32_e32 v11, 16, v6
	v_mul_u32_u24_e32 v15, 0x10001, v15
	s_delay_alu instid0(VALU_DEP_4)
	v_pk_fma_f16 v4, v8, v4, v13
	v_pk_fma_f16 v10, v8, v14, v10
	v_and_b32_e32 v6, 0xffff, v6
	v_mul_u32_u24_e32 v11, 0x10001, v11
	v_pk_fma_f16 v8, v8, v15, v12
	v_lshrrev_b32_e32 v12, 16, v7
	v_and_b32_e32 v7, 0xffff, v7
	v_mul_u32_u24_e32 v6, 0x10001, v6
	v_pk_fma_f16 v10, v9, v11, v10
	s_delay_alu instid0(VALU_DEP_4) | instskip(NEXT) | instid1(VALU_DEP_4)
	v_mul_u32_u24_e32 v12, 0x10001, v12
	v_mul_u32_u24_e32 v7, 0x10001, v7
	s_delay_alu instid0(VALU_DEP_4) | instskip(NEXT) | instid1(VALU_DEP_3)
	v_pk_fma_f16 v13, v9, v6, v4
	v_pk_fma_f16 v12, v9, v12, v8
	s_delay_alu instid0(VALU_DEP_3)
	v_pk_fma_f16 v11, v9, v7, v5
	ds_load_2addr_b32 v[4:5], v101 offset0:64 offset1:96
	ds_load_b128 v[6:9], v86 offset:848
	s_wait_dscnt 0x0
	v_lshrrev_b32_e32 v15, 16, v7
	v_and_b32_e32 v7, 0xffff, v7
	v_lshrrev_b32_e32 v14, 16, v6
	v_and_b32_e32 v6, 0xffff, v6
	s_delay_alu instid0(VALU_DEP_3) | instskip(NEXT) | instid1(VALU_DEP_3)
	v_mul_u32_u24_e32 v7, 0x10001, v7
	v_mul_u32_u24_e32 v14, 0x10001, v14
	s_delay_alu instid0(VALU_DEP_3) | instskip(NEXT) | instid1(VALU_DEP_3)
	v_mul_u32_u24_e32 v6, 0x10001, v6
	v_pk_fma_f16 v7, v4, v7, v11
	v_lshrrev_b32_e32 v11, 16, v8
	v_mul_u32_u24_e32 v15, 0x10001, v15
	s_delay_alu instid0(VALU_DEP_4)
	v_pk_fma_f16 v6, v4, v6, v13
	v_pk_fma_f16 v10, v4, v14, v10
	v_and_b32_e32 v8, 0xffff, v8
	v_mul_u32_u24_e32 v11, 0x10001, v11
	v_pk_fma_f16 v4, v4, v15, v12
	v_lshrrev_b32_e32 v12, 16, v9
	v_and_b32_e32 v9, 0xffff, v9
	v_mul_u32_u24_e32 v8, 0x10001, v8
	v_pk_fma_f16 v10, v5, v11, v10
	s_delay_alu instid0(VALU_DEP_4) | instskip(NEXT) | instid1(VALU_DEP_4)
	v_mul_u32_u24_e32 v12, 0x10001, v12
	v_mul_u32_u24_e32 v9, 0x10001, v9
	s_delay_alu instid0(VALU_DEP_4) | instskip(NEXT) | instid1(VALU_DEP_3)
	v_pk_fma_f16 v13, v5, v8, v6
	v_pk_fma_f16 v12, v5, v12, v4
	s_delay_alu instid0(VALU_DEP_3)
	v_pk_fma_f16 v11, v5, v9, v7
	ds_load_2addr_b32 v[8:9], v101 offset0:128 offset1:160
	;; [unrolled: 33-line block ×3, first 2 shown]
	ds_load_b128 v[6:9], v86 offset:880
	s_wait_dscnt 0x0
	v_lshrrev_b32_e32 v15, 16, v7
	v_and_b32_e32 v7, 0xffff, v7
	v_lshrrev_b32_e32 v14, 16, v6
	v_and_b32_e32 v6, 0xffff, v6
	s_delay_alu instid0(VALU_DEP_3) | instskip(NEXT) | instid1(VALU_DEP_3)
	v_mul_u32_u24_e32 v7, 0x10001, v7
	v_mul_u32_u24_e32 v14, 0x10001, v14
	s_delay_alu instid0(VALU_DEP_3) | instskip(NEXT) | instid1(VALU_DEP_3)
	v_mul_u32_u24_e32 v6, 0x10001, v6
	v_pk_fma_f16 v7, v4, v7, v11
	v_lshrrev_b32_e32 v11, 16, v8
	v_mul_u32_u24_e32 v15, 0x10001, v15
	s_delay_alu instid0(VALU_DEP_4)
	v_pk_fma_f16 v6, v4, v6, v13
	v_pk_fma_f16 v10, v4, v14, v10
	v_and_b32_e32 v8, 0xffff, v8
	v_mul_u32_u24_e32 v11, 0x10001, v11
	v_pk_fma_f16 v4, v4, v15, v12
	v_lshrrev_b32_e32 v12, 16, v9
	v_and_b32_e32 v9, 0xffff, v9
	v_mul_u32_u24_e32 v8, 0x10001, v8
	v_pk_fma_f16 v10, v5, v11, v10
	s_delay_alu instid0(VALU_DEP_4) | instskip(NEXT) | instid1(VALU_DEP_4)
	v_mul_u32_u24_e32 v12, 0x10001, v12
	v_mul_u32_u24_e32 v9, 0x10001, v9
	s_delay_alu instid0(VALU_DEP_4) | instskip(NEXT) | instid1(VALU_DEP_3)
	v_pk_fma_f16 v13, v5, v8, v6
	v_pk_fma_f16 v12, v5, v12, v4
	s_delay_alu instid0(VALU_DEP_3)
	v_pk_fma_f16 v11, v5, v9, v7
	ds_load_2addr_b32 v[8:9], v102 offset1:32
	ds_load_b128 v[4:7], v86 offset:896
	s_wait_dscnt 0x0
	v_lshrrev_b32_e32 v15, 16, v5
	v_and_b32_e32 v5, 0xffff, v5
	v_lshrrev_b32_e32 v14, 16, v4
	v_and_b32_e32 v4, 0xffff, v4
	s_delay_alu instid0(VALU_DEP_3) | instskip(NEXT) | instid1(VALU_DEP_3)
	v_mul_u32_u24_e32 v5, 0x10001, v5
	v_mul_u32_u24_e32 v14, 0x10001, v14
	s_delay_alu instid0(VALU_DEP_3) | instskip(NEXT) | instid1(VALU_DEP_3)
	v_mul_u32_u24_e32 v4, 0x10001, v4
	v_pk_fma_f16 v5, v8, v5, v11
	v_lshrrev_b32_e32 v11, 16, v6
	v_mul_u32_u24_e32 v15, 0x10001, v15
	s_delay_alu instid0(VALU_DEP_4)
	v_pk_fma_f16 v4, v8, v4, v13
	v_pk_fma_f16 v10, v8, v14, v10
	v_and_b32_e32 v6, 0xffff, v6
	v_mul_u32_u24_e32 v11, 0x10001, v11
	v_pk_fma_f16 v8, v8, v15, v12
	v_lshrrev_b32_e32 v12, 16, v7
	v_and_b32_e32 v7, 0xffff, v7
	v_mul_u32_u24_e32 v6, 0x10001, v6
	v_pk_fma_f16 v10, v9, v11, v10
	s_delay_alu instid0(VALU_DEP_4) | instskip(NEXT) | instid1(VALU_DEP_4)
	v_mul_u32_u24_e32 v12, 0x10001, v12
	v_mul_u32_u24_e32 v7, 0x10001, v7
	s_delay_alu instid0(VALU_DEP_4) | instskip(NEXT) | instid1(VALU_DEP_3)
	v_pk_fma_f16 v13, v9, v6, v4
	v_pk_fma_f16 v12, v9, v12, v8
	s_delay_alu instid0(VALU_DEP_3)
	v_pk_fma_f16 v11, v9, v7, v5
	ds_load_2addr_b32 v[4:5], v102 offset0:64 offset1:96
	ds_load_b128 v[6:9], v86 offset:912
	s_wait_dscnt 0x0
	v_lshrrev_b32_e32 v15, 16, v7
	v_and_b32_e32 v7, 0xffff, v7
	v_lshrrev_b32_e32 v14, 16, v6
	v_and_b32_e32 v6, 0xffff, v6
	s_delay_alu instid0(VALU_DEP_3) | instskip(NEXT) | instid1(VALU_DEP_3)
	v_mul_u32_u24_e32 v7, 0x10001, v7
	v_mul_u32_u24_e32 v14, 0x10001, v14
	s_delay_alu instid0(VALU_DEP_3) | instskip(NEXT) | instid1(VALU_DEP_3)
	v_mul_u32_u24_e32 v6, 0x10001, v6
	v_pk_fma_f16 v7, v4, v7, v11
	v_lshrrev_b32_e32 v11, 16, v8
	v_mul_u32_u24_e32 v15, 0x10001, v15
	s_delay_alu instid0(VALU_DEP_4)
	v_pk_fma_f16 v6, v4, v6, v13
	v_pk_fma_f16 v10, v4, v14, v10
	v_and_b32_e32 v8, 0xffff, v8
	v_mul_u32_u24_e32 v11, 0x10001, v11
	v_pk_fma_f16 v4, v4, v15, v12
	v_lshrrev_b32_e32 v12, 16, v9
	v_and_b32_e32 v9, 0xffff, v9
	v_mul_u32_u24_e32 v8, 0x10001, v8
	v_pk_fma_f16 v10, v5, v11, v10
	s_delay_alu instid0(VALU_DEP_4) | instskip(NEXT) | instid1(VALU_DEP_4)
	v_mul_u32_u24_e32 v12, 0x10001, v12
	v_mul_u32_u24_e32 v9, 0x10001, v9
	s_delay_alu instid0(VALU_DEP_4) | instskip(NEXT) | instid1(VALU_DEP_3)
	v_pk_fma_f16 v13, v5, v8, v6
	v_pk_fma_f16 v12, v5, v12, v4
	s_delay_alu instid0(VALU_DEP_3)
	v_pk_fma_f16 v11, v5, v9, v7
	ds_load_2addr_b32 v[8:9], v102 offset0:128 offset1:160
	;; [unrolled: 33-line block ×3, first 2 shown]
	ds_load_b128 v[6:9], v86 offset:944
	s_wait_dscnt 0x0
	v_lshrrev_b32_e32 v15, 16, v7
	v_and_b32_e32 v7, 0xffff, v7
	v_lshrrev_b32_e32 v14, 16, v6
	v_and_b32_e32 v6, 0xffff, v6
	s_delay_alu instid0(VALU_DEP_3) | instskip(NEXT) | instid1(VALU_DEP_3)
	v_mul_u32_u24_e32 v7, 0x10001, v7
	v_mul_u32_u24_e32 v14, 0x10001, v14
	s_delay_alu instid0(VALU_DEP_3) | instskip(NEXT) | instid1(VALU_DEP_3)
	v_mul_u32_u24_e32 v6, 0x10001, v6
	v_pk_fma_f16 v7, v4, v7, v11
	v_lshrrev_b32_e32 v11, 16, v8
	v_mul_u32_u24_e32 v15, 0x10001, v15
	s_delay_alu instid0(VALU_DEP_4)
	v_pk_fma_f16 v6, v4, v6, v13
	v_pk_fma_f16 v10, v4, v14, v10
	v_and_b32_e32 v8, 0xffff, v8
	v_mul_u32_u24_e32 v11, 0x10001, v11
	v_pk_fma_f16 v4, v4, v15, v12
	v_lshrrev_b32_e32 v12, 16, v9
	v_and_b32_e32 v9, 0xffff, v9
	v_mul_u32_u24_e32 v8, 0x10001, v8
	v_pk_fma_f16 v10, v5, v11, v10
	s_delay_alu instid0(VALU_DEP_4) | instskip(NEXT) | instid1(VALU_DEP_4)
	v_mul_u32_u24_e32 v12, 0x10001, v12
	v_mul_u32_u24_e32 v9, 0x10001, v9
	s_delay_alu instid0(VALU_DEP_4) | instskip(NEXT) | instid1(VALU_DEP_3)
	v_pk_fma_f16 v13, v5, v8, v6
	v_pk_fma_f16 v12, v5, v12, v4
	s_delay_alu instid0(VALU_DEP_3)
	v_pk_fma_f16 v11, v5, v9, v7
	ds_load_2addr_b32 v[8:9], v103 offset1:32
	ds_load_b128 v[4:7], v86 offset:960
	s_wait_dscnt 0x0
	v_lshrrev_b32_e32 v15, 16, v5
	v_and_b32_e32 v5, 0xffff, v5
	v_lshrrev_b32_e32 v14, 16, v4
	v_and_b32_e32 v4, 0xffff, v4
	s_delay_alu instid0(VALU_DEP_3) | instskip(NEXT) | instid1(VALU_DEP_3)
	v_mul_u32_u24_e32 v5, 0x10001, v5
	v_mul_u32_u24_e32 v14, 0x10001, v14
	s_delay_alu instid0(VALU_DEP_3) | instskip(NEXT) | instid1(VALU_DEP_3)
	v_mul_u32_u24_e32 v4, 0x10001, v4
	v_pk_fma_f16 v5, v8, v5, v11
	v_lshrrev_b32_e32 v11, 16, v6
	v_mul_u32_u24_e32 v15, 0x10001, v15
	s_delay_alu instid0(VALU_DEP_4)
	v_pk_fma_f16 v4, v8, v4, v13
	v_pk_fma_f16 v10, v8, v14, v10
	v_and_b32_e32 v6, 0xffff, v6
	v_mul_u32_u24_e32 v11, 0x10001, v11
	v_pk_fma_f16 v8, v8, v15, v12
	v_lshrrev_b32_e32 v12, 16, v7
	v_and_b32_e32 v7, 0xffff, v7
	v_mul_u32_u24_e32 v6, 0x10001, v6
	v_pk_fma_f16 v10, v9, v11, v10
	s_delay_alu instid0(VALU_DEP_4) | instskip(NEXT) | instid1(VALU_DEP_4)
	v_mul_u32_u24_e32 v12, 0x10001, v12
	v_mul_u32_u24_e32 v7, 0x10001, v7
	s_delay_alu instid0(VALU_DEP_4) | instskip(NEXT) | instid1(VALU_DEP_3)
	v_pk_fma_f16 v13, v9, v6, v4
	v_pk_fma_f16 v12, v9, v12, v8
	s_delay_alu instid0(VALU_DEP_3)
	v_pk_fma_f16 v11, v9, v7, v5
	ds_load_2addr_b32 v[4:5], v103 offset0:64 offset1:96
	ds_load_b128 v[6:9], v86 offset:976
	s_wait_dscnt 0x0
	v_lshrrev_b32_e32 v15, 16, v7
	v_and_b32_e32 v7, 0xffff, v7
	v_lshrrev_b32_e32 v14, 16, v6
	v_and_b32_e32 v6, 0xffff, v6
	s_delay_alu instid0(VALU_DEP_3) | instskip(NEXT) | instid1(VALU_DEP_3)
	v_mul_u32_u24_e32 v7, 0x10001, v7
	v_mul_u32_u24_e32 v14, 0x10001, v14
	s_delay_alu instid0(VALU_DEP_3) | instskip(NEXT) | instid1(VALU_DEP_3)
	v_mul_u32_u24_e32 v6, 0x10001, v6
	v_pk_fma_f16 v7, v4, v7, v11
	v_lshrrev_b32_e32 v11, 16, v8
	v_mul_u32_u24_e32 v15, 0x10001, v15
	s_delay_alu instid0(VALU_DEP_4)
	v_pk_fma_f16 v6, v4, v6, v13
	v_pk_fma_f16 v10, v4, v14, v10
	v_and_b32_e32 v8, 0xffff, v8
	v_mul_u32_u24_e32 v11, 0x10001, v11
	v_pk_fma_f16 v4, v4, v15, v12
	v_lshrrev_b32_e32 v12, 16, v9
	v_and_b32_e32 v9, 0xffff, v9
	v_mul_u32_u24_e32 v8, 0x10001, v8
	v_pk_fma_f16 v10, v5, v11, v10
	s_delay_alu instid0(VALU_DEP_4) | instskip(NEXT) | instid1(VALU_DEP_4)
	v_mul_u32_u24_e32 v12, 0x10001, v12
	v_mul_u32_u24_e32 v9, 0x10001, v9
	s_delay_alu instid0(VALU_DEP_4) | instskip(NEXT) | instid1(VALU_DEP_3)
	v_pk_fma_f16 v13, v5, v8, v6
	v_pk_fma_f16 v12, v5, v12, v4
	s_delay_alu instid0(VALU_DEP_3)
	v_pk_fma_f16 v11, v5, v9, v7
	ds_load_2addr_b32 v[8:9], v103 offset0:128 offset1:160
	ds_load_b128 v[4:7], v86 offset:992
	s_wait_dscnt 0x0
	v_dual_lshrrev_b32 v14, 16, v4 :: v_dual_lshrrev_b32 v15, 16, v5
	v_and_b32_e32 v4, 0xffff, v4
	v_and_b32_e32 v5, 0xffff, v5
	s_delay_alu instid0(VALU_DEP_3) | instskip(NEXT) | instid1(VALU_DEP_3)
	v_mul_u32_u24_e32 v14, 0x10001, v14
	v_mul_u32_u24_e32 v4, 0x10001, v4
	s_delay_alu instid0(VALU_DEP_3) | instskip(NEXT) | instid1(VALU_DEP_2)
	v_mul_u32_u24_e32 v5, 0x10001, v5
	v_pk_fma_f16 v4, v8, v4, v13
	s_delay_alu instid0(VALU_DEP_4) | instskip(NEXT) | instid1(VALU_DEP_3)
	v_pk_fma_f16 v13, v8, v14, v10
	v_pk_fma_f16 v5, v8, v5, v11
	v_lshrrev_b32_e32 v10, 16, v6
	v_mul_u32_u24_e32 v15, 0x10001, v15
	v_lshrrev_b32_e32 v11, 16, v7
	v_and_b32_e32 v6, 0xffff, v6
	v_and_b32_e32 v7, 0xffff, v7
	s_delay_alu instid0(VALU_DEP_4) | instskip(SKIP_1) | instid1(VALU_DEP_4)
	v_pk_fma_f16 v8, v8, v15, v12
	v_mul_u32_u24_e32 v12, 0x10001, v10
	v_mul_u32_u24_e32 v6, 0x10001, v6
	s_delay_alu instid0(VALU_DEP_4) | instskip(SKIP_1) | instid1(VALU_DEP_4)
	v_mul_u32_u24_e32 v7, 0x10001, v7
	v_mul_u32_u24_e32 v14, 0x10001, v11
	v_pk_fma_f16 v11, v9, v12, v13
	s_delay_alu instid0(VALU_DEP_4) | instskip(NEXT) | instid1(VALU_DEP_4)
	v_pk_fma_f16 v10, v9, v6, v4
	v_pk_fma_f16 v12, v9, v7, v5
	s_delay_alu instid0(VALU_DEP_4)
	v_pk_fma_f16 v13, v9, v14, v8
	ds_load_2addr_b32 v[8:9], v103 offset0:192 offset1:224
	ds_load_b128 v[4:7], v86 offset:1008
	s_wait_dscnt 0x0
	s_barrier_signal -1
	s_barrier_wait -1
	s_load_b32 s3, s[20:21], 0x4
	v_dual_lshrrev_b32 v14, 16, v4 :: v_dual_lshrrev_b32 v15, 16, v5
	v_and_b32_e32 v4, 0xffff, v4
	v_and_b32_e32 v5, 0xffff, v5
	s_delay_alu instid0(VALU_DEP_3)
	v_mul_u32_u24_e32 v14, 0x10001, v14
	s_wait_kmcnt 0x0
	s_lshl_b32 s3, s3, 7
	v_mul_u32_u24_e32 v4, 0x10001, v4
	v_mul_u32_u24_e32 v5, 0x10001, v5
	s_add_co_i32 s4, s3, s4
	s_delay_alu instid0(SALU_CYCLE_1) | instskip(NEXT) | instid1(VALU_DEP_2)
	s_cmp_ge_i32 s4, s28
	v_pk_fma_f16 v4, v8, v4, v10
	v_pk_fma_f16 v10, v8, v14, v11
	;; [unrolled: 1-line block ×3, first 2 shown]
	v_lshrrev_b32_e32 v11, 16, v6
	v_mul_u32_u24_e32 v15, 0x10001, v15
	v_lshrrev_b32_e32 v12, 16, v7
	v_and_b32_e32 v6, 0xffff, v6
	v_and_b32_e32 v7, 0xffff, v7
	v_mul_u32_u24_e32 v11, 0x10001, v11
	v_pk_fma_f16 v8, v8, v15, v13
	v_mul_u32_u24_e32 v12, 0x10001, v12
	v_mul_u32_u24_e32 v6, 0x10001, v6
	v_mul_u32_u24_e32 v7, 0x10001, v7
	v_pk_fma_f16 v105, v9, v11, v10
	s_delay_alu instid0(VALU_DEP_4) | instskip(NEXT) | instid1(VALU_DEP_4)
	v_pk_fma_f16 v107, v9, v12, v8
	v_pk_fma_f16 v106, v9, v6, v4
	s_delay_alu instid0(VALU_DEP_4)
	v_pk_fma_f16 v104, v9, v7, v5
	s_cbranch_scc0 .LBB9_9
; %bb.10:
	v_mov_b32_e32 v5, v73
.LBB9_11:
	v_lshlrev_b32_e32 v11, 1, v33
	v_cmp_lt_i32_e32 vcc_lo, v81, v75
	s_cmp_lg_u64 s[12:13], 0
	s_cselect_b32 s3, -1, 0
	s_cmp_eq_u32 s29, 0
	v_cndmask_b32_e32 v4, v5, v81, vcc_lo
	v_cmp_lt_i32_e32 vcc_lo, v79, v75
	s_cselect_b32 s4, -1, 0
	s_delay_alu instid0(SALU_CYCLE_1) | instskip(NEXT) | instid1(VALU_DEP_2)
	s_and_b32 s3, s4, s3
	v_lshlrev_b32_e32 v4, 2, v4
	ds_bpermute_b32 v6, v4, v52
	ds_bpermute_b32 v7, v4, v53
	ds_bpermute_b32 v8, v4, v46
	ds_bpermute_b32 v9, v4, v47
	v_cndmask_b32_e32 v4, v5, v79, vcc_lo
	v_cmp_lt_i32_e32 vcc_lo, v78, v75
	s_delay_alu instid0(VALU_DEP_2)
	v_lshlrev_b32_e32 v4, 2, v4
	s_wait_dscnt 0x2
	v_pk_add_f32 v[6:7], v[52:53], v[6:7]
	s_wait_dscnt 0x0
	v_pk_add_f32 v[8:9], v[46:47], v[8:9]
	ds_bpermute_b32 v12, v4, v6
	ds_bpermute_b32 v13, v4, v7
	ds_bpermute_b32 v14, v4, v8
	ds_bpermute_b32 v15, v4, v9
	v_cndmask_b32_e32 v4, v5, v78, vcc_lo
	v_cmp_lt_i32_e32 vcc_lo, v77, v75
	s_delay_alu instid0(VALU_DEP_2)
	v_lshlrev_b32_e32 v4, 2, v4
	s_wait_dscnt 0x2
	v_pk_add_f32 v[6:7], v[6:7], v[12:13]
	s_wait_dscnt 0x0
	v_pk_add_f32 v[8:9], v[8:9], v[14:15]
	;; [unrolled: 12-line block ×3, first 2 shown]
	ds_bpermute_b32 v12, v4, v6
	ds_bpermute_b32 v13, v4, v7
	;; [unrolled: 1-line block ×4, first 2 shown]
	v_cndmask_b32_e32 v4, v5, v76, vcc_lo
	s_and_b32 vcc_lo, exec_lo, s3
	s_delay_alu instid0(VALU_DEP_1)
	v_lshlrev_b32_e32 v10, 2, v4
	s_wait_dscnt 0x2
	v_pk_add_f32 v[4:5], v[6:7], v[12:13]
	s_wait_dscnt 0x0
	v_pk_add_f32 v[8:9], v[8:9], v[14:15]
	ds_bpermute_b32 v6, v10, v4
	ds_bpermute_b32 v7, v10, v5
	;; [unrolled: 1-line block ×4, first 2 shown]
	s_wait_dscnt 0x2
	v_pk_add_f32 v[6:7], v[4:5], v[6:7]
	s_wait_dscnt 0x0
	v_pk_add_f32 v[4:5], v[8:9], v[12:13]
	v_add_nc_u32_e32 v8, s33, v32
	s_cbranch_vccz .LBB9_13
; %bb.12:
	s_delay_alu instid0(VALU_DEP_1) | instskip(SKIP_1) | instid1(VALU_DEP_2)
	v_dual_max_num_f32 v10, v1, v1 :: v_dual_ashrrev_i32 v9, 31, v8
	v_dual_max_num_f32 v18, v2, v2 :: v_dual_max_num_f32 v19, v3, v3
	v_lshl_add_u64 v[12:13], v[8:9], 2, s[12:13]
	v_max_num_f32_e32 v9, v0, v0
	global_load_b128 v[12:15], v[12:13], off
	s_wait_loadcnt 0x0
	v_dual_max_num_f32 v16, v12, v12 :: v_dual_max_num_f32 v17, v13, v13
	v_dual_max_num_f32 v20, v14, v14 :: v_dual_max_num_f32 v21, v15, v15
	s_delay_alu instid0(VALU_DEP_2) | instskip(NEXT) | instid1(VALU_DEP_2)
	v_dual_max_num_f32 v16, v9, v16 :: v_dual_max_num_f32 v17, v10, v17
	v_dual_max_num_f32 v18, v18, v20 :: v_dual_max_num_f32 v19, v19, v21
	s_delay_alu instid0(VALU_DEP_2) | instskip(NEXT) | instid1(VALU_DEP_3)
	v_sub_f32_e32 v0, v0, v16
	v_dual_sub_f32 v9, v12, v16 :: v_dual_sub_f32 v1, v1, v17
	s_delay_alu instid0(VALU_DEP_3) | instskip(NEXT) | instid1(VALU_DEP_4)
	v_dual_sub_f32 v10, v13, v17 :: v_dual_sub_f32 v12, v2, v18
	v_dual_sub_f32 v14, v14, v18 :: v_dual_sub_f32 v13, v3, v19
	s_delay_alu instid0(VALU_DEP_4) | instskip(NEXT) | instid1(VALU_DEP_3)
	v_dual_sub_f32 v15, v15, v19 :: v_dual_mul_f32 v2, 0x3fb8aa3b, v0
	v_dual_mul_f32 v3, 0x3fb8aa3b, v9 :: v_dual_mul_f32 v22, 0x3fb8aa3b, v12
	s_delay_alu instid0(VALU_DEP_4) | instskip(NEXT) | instid1(VALU_DEP_4)
	v_dual_mul_f32 v20, 0x3fb8aa3b, v1 :: v_dual_mul_f32 v21, 0x3fb8aa3b, v10
	v_dual_mul_f32 v23, 0x3fb8aa3b, v14 :: v_dual_mul_f32 v24, 0x3fb8aa3b, v13
	s_delay_alu instid0(VALU_DEP_4)
	v_fma_f32 v26, 0x3fb8aa3b, v0, -v2
	v_rndne_f32_e32 v27, v2
	v_fma_f32 v28, 0x3fb8aa3b, v9, -v3
	v_rndne_f32_e32 v29, v3
	;; [unrolled: 2-line block ×3, first 2 shown]
	v_rndne_f32_e32 v36, v22
	v_mul_f32_e32 v25, 0x3fb8aa3b, v15
	v_fma_f32 v39, 0x3fb8aa3b, v13, -v24
	v_dual_fmac_f32 v26, 0x32a5705f, v0 :: v_dual_sub_f32 v3, v3, v29
	v_dual_sub_f32 v2, v2, v27 :: v_dual_sub_f32 v21, v21, v34
	v_fma_f32 v30, 0x3fb8aa3b, v1, -v20
	v_rndne_f32_e32 v31, v20
	v_fma_f32 v35, 0x3fb8aa3b, v12, -v22
	v_fmac_f32_e32 v28, 0x32a5705f, v9
	v_dual_fmac_f32 v32, 0x32a5705f, v10 :: v_dual_fmac_f32 v39, 0x32a5705f, v13
	v_sub_f32_e32 v22, v22, v36
	v_rndne_f32_e32 v42, v25
	s_delay_alu instid0(VALU_DEP_3)
	v_dual_add_f32 v2, v2, v26 :: v_dual_add_f32 v21, v21, v32
	v_fma_f32 v37, 0x3fb8aa3b, v14, -v23
	v_rndne_f32_e32 v38, v23
	v_fma_f32 v41, 0x3fb8aa3b, v15, -v25
	v_fmac_f32_e32 v30, 0x32a5705f, v1
	v_dual_sub_f32 v20, v20, v31 :: v_dual_fmac_f32 v35, 0x32a5705f, v12
	v_dual_sub_f32 v25, v25, v42 :: v_dual_add_f32 v3, v3, v28
	v_exp_f32_e32 v2, v2
	v_rndne_f32_e32 v40, v24
	v_cvt_i32_f32_e32 v27, v27
	v_fmac_f32_e32 v37, 0x32a5705f, v14
	v_sub_f32_e32 v23, v23, v38
	v_dual_add_f32 v20, v20, v30 :: v_dual_add_f32 v22, v22, v35
	v_exp_f32_e32 v3, v3
	v_cvt_i32_f32_e32 v29, v29
	v_dual_sub_f32 v24, v24, v40 :: v_dual_fmac_f32 v41, 0x32a5705f, v15
	v_ldexp_f32 v2, v2, v27
	v_cmp_ngt_f32_e32 vcc_lo, 0xc2ce8ed0, v0
	v_exp_f32_e32 v20, v20
	v_cvt_i32_f32_e32 v31, v31
	v_add_f32_e32 v25, v25, v41
	v_ldexp_f32 v3, v3, v29
	v_cndmask_b32_e32 v2, 0, v2, vcc_lo
	v_cmp_ngt_f32_e32 vcc_lo, 0xc2ce8ed0, v9
	v_exp_f32_e32 v21, v21
	v_cvt_i32_f32_e32 v34, v34
	v_ldexp_f32 v20, v20, v31
	v_dual_add_f32 v23, v23, v37 :: v_dual_add_f32 v24, v24, v39
	v_cndmask_b32_e32 v3, 0, v3, vcc_lo
	v_cmp_ngt_f32_e32 vcc_lo, 0xc2ce8ed0, v1
	v_exp_f32_e32 v22, v22
	v_cvt_i32_f32_e32 v36, v36
	v_ldexp_f32 v21, v21, v34
	v_exp_f32_e32 v23, v23
	v_cndmask_b32_e32 v20, 0, v20, vcc_lo
	v_cmp_ngt_f32_e32 vcc_lo, 0xc2ce8ed0, v10
	v_cvt_i32_f32_e32 v38, v38
	v_ldexp_f32 v22, v22, v36
	v_exp_f32_e32 v24, v24
	v_cvt_i32_f32_e32 v40, v40
	v_cndmask_b32_e32 v21, 0, v21, vcc_lo
	v_cmp_ngt_f32_e32 vcc_lo, 0xc2ce8ed0, v12
	v_ldexp_f32 v23, v23, v38
	v_exp_f32_e32 v25, v25
	v_cvt_i32_f32_e32 v42, v42
	v_ldexp_f32 v24, v24, v40
	v_cndmask_b32_e32 v22, 0, v22, vcc_lo
	v_cmp_ngt_f32_e32 vcc_lo, 0xc2ce8ed0, v14
	s_delay_alu instid0(TRANS32_DEP_1) | instid1(VALU_DEP_4)
	v_ldexp_f32 v25, v25, v42
	v_cndmask_b32_e32 v23, 0, v23, vcc_lo
	v_cmp_ngt_f32_e32 vcc_lo, 0xc2ce8ed0, v13
	v_cndmask_b32_e32 v24, 0, v24, vcc_lo
	v_cmp_ngt_f32_e32 vcc_lo, 0xc2ce8ed0, v15
	v_cndmask_b32_e32 v25, 0, v25, vcc_lo
	v_cmp_nlt_f32_e32 vcc_lo, 0x42b17218, v0
	v_cndmask_b32_e32 v0, 0x7f800000, v2, vcc_lo
	v_cmp_nlt_f32_e32 vcc_lo, 0x42b17218, v9
	s_delay_alu instid0(VALU_DEP_2) | instskip(SKIP_2) | instid1(VALU_DEP_3)
	v_cvt_f16_f32_e32 v9, v0
	v_cndmask_b32_e32 v2, 0x7f800000, v3, vcc_lo
	v_cmp_nlt_f32_e32 vcc_lo, 0x42b17218, v1
	v_and_b32_e32 v9, 0xffff, v9
	v_cndmask_b32_e32 v1, 0x7f800000, v20, vcc_lo
	v_cmp_nlt_f32_e32 vcc_lo, 0x42b17218, v10
	s_delay_alu instid0(VALU_DEP_2) | instskip(SKIP_2) | instid1(VALU_DEP_3)
	v_cvt_f16_f32_e32 v10, v1
	v_cndmask_b32_e32 v3, 0x7f800000, v21, vcc_lo
	v_cmp_nlt_f32_e32 vcc_lo, 0x42b17218, v12
	v_and_b32_e32 v10, 0xffff, v10
	s_delay_alu instid0(VALU_DEP_3) | instskip(SKIP_4) | instid1(VALU_DEP_4)
	v_pk_fma_f32 v[6:7], v[6:7], v[0:1], v[2:3]
	v_cndmask_b32_e32 v12, 0x7f800000, v22, vcc_lo
	v_cmp_nlt_f32_e32 vcc_lo, 0x42b17218, v13
	v_mul_u32_u24_e32 v0, 0x10001, v9
	v_mul_u32_u24_e32 v1, 0x10001, v10
	v_cvt_f16_f32_e32 v20, v12
	v_cndmask_b32_e32 v13, 0x7f800000, v24, vcc_lo
	v_cmp_nlt_f32_e32 vcc_lo, 0x42b17218, v14
	v_pk_mul_f16 v106, v106, v0
	v_pk_mul_f16 v105, v105, v1
	v_and_b32_e32 v20, 0xffff, v20
	v_cvt_f16_f32_e32 v21, v13
	v_cndmask_b32_e32 v14, 0x7f800000, v23, vcc_lo
	v_cmp_nlt_f32_e32 vcc_lo, 0x42b17218, v15
	s_delay_alu instid0(VALU_DEP_4) | instskip(NEXT) | instid1(VALU_DEP_4)
	v_mul_u32_u24_e32 v2, 0x10001, v20
	v_and_b32_e32 v21, 0xffff, v21
	v_cndmask_b32_e32 v15, 0x7f800000, v25, vcc_lo
	s_delay_alu instid0(VALU_DEP_3) | instskip(NEXT) | instid1(VALU_DEP_3)
	v_pk_mul_f16 v104, v104, v2
	v_mul_u32_u24_e32 v3, 0x10001, v21
	s_delay_alu instid0(VALU_DEP_3) | instskip(NEXT) | instid1(VALU_DEP_2)
	v_pk_fma_f32 v[4:5], v[4:5], v[12:13], v[14:15]
	v_pk_mul_f16 v107, v107, v3
	v_mov_b64_e32 v[0:1], v[16:17]
	v_mov_b64_e32 v[2:3], v[18:19]
.LBB9_13:
	s_mov_b32 s3, exec_lo
	v_cmpx_gt_i32_e64 s22, v72
	s_cbranch_execz .LBB9_30
; %bb.14:
	s_load_b32 s0, s[0:1], 0xd4
	v_mov_b32_e32 v10, 1.0
	s_wait_kmcnt 0x0
	s_cmp_lg_u32 s0, 1
	s_cselect_b32 s1, -1, 0
	s_cmp_eq_u32 s0, 1
	s_cselect_b32 s3, -1, 0
	s_and_b32 vcc_lo, exec_lo, s1
	s_cbranch_vccnz .LBB9_16
; %bb.15:
	v_div_scale_f32 v9, null, v6, v6, 1.0
	s_delay_alu instid0(VALU_DEP_1) | instskip(SKIP_1) | instid1(TRANS32_DEP_1)
	v_rcp_f32_e32 v10, v9
	v_nop
	v_fma_f32 v12, -v9, v10, 1.0
	s_delay_alu instid0(VALU_DEP_1) | instskip(SKIP_1) | instid1(VALU_DEP_1)
	v_fmac_f32_e32 v10, v12, v10
	v_div_scale_f32 v12, vcc_lo, 1.0, v6, 1.0
	v_mul_f32_e32 v13, v12, v10
	s_delay_alu instid0(VALU_DEP_1) | instskip(NEXT) | instid1(VALU_DEP_1)
	v_fma_f32 v14, -v9, v13, v12
	v_fmac_f32_e32 v13, v14, v10
	s_delay_alu instid0(VALU_DEP_1) | instskip(NEXT) | instid1(VALU_DEP_1)
	v_fma_f32 v9, -v9, v13, v12
	v_div_fmas_f32 v9, v9, v10, v13
	s_delay_alu instid0(VALU_DEP_1)
	v_div_fixup_f32 v10, v9, v6, 1.0
.LBB9_16:
	v_mad_u32 v9, s2, s22, v72
	v_cvt_f32_f16_e32 v14, v106
	v_cmp_eq_u32_e32 vcc_lo, 0, v33
	v_mov_b32_e32 v13, 0
	s_and_b32 s1, vcc_lo, s1
	s_delay_alu instid0(VALU_DEP_4) | instskip(NEXT) | instid1(VALU_DEP_1)
	v_mad_u32 v8, v9, s23, v8
	v_mad_u32 v9, s0, v8, s29
	v_lshrrev_b32_e32 v8, 16, v106
	s_delay_alu instid0(VALU_DEP_1) | instskip(NEXT) | instid1(VALU_DEP_1)
	v_cvt_f32_f16_e32 v15, v8
	v_pk_mul_f32 v[14:15], v[10:11], v[14:15] op_sel_hi:[0,1]
	s_delay_alu instid0(VALU_DEP_4) | instskip(NEXT) | instid1(VALU_DEP_1)
	v_lshl_add_u32 v12, v9, 6, v11
	v_lshl_add_u64 v[12:13], v[12:13], 2, s[16:17]
	global_store_b64 v[12:13], v[14:15], off
	s_wait_xcnt 0x0
	s_and_saveexec_b32 s2, s1
	s_cbranch_execz .LBB9_18
; %bb.17:
	v_dual_mov_b32 v12, v0 :: v_dual_mov_b32 v13, v6
	global_store_b64 v9, v[12:13], s[18:19] scale_offset
.LBB9_18:
	s_wait_xcnt 0x0
	s_or_b32 exec_lo, exec_lo, s2
	v_cndmask_b32_e64 v8, 0, 1, s3
	v_mov_b32_e32 v0, 1.0
	s_and_not1_b32 vcc_lo, exec_lo, s3
	s_cbranch_vccnz .LBB9_20
; %bb.19:
	v_div_scale_f32 v0, null, v7, v7, 1.0
	s_delay_alu instid0(VALU_DEP_1) | instskip(SKIP_1) | instid1(TRANS32_DEP_1)
	v_rcp_f32_e32 v6, v0
	v_nop
	v_fma_f32 v10, -v0, v6, 1.0
	s_delay_alu instid0(VALU_DEP_1) | instskip(SKIP_1) | instid1(VALU_DEP_1)
	v_fmac_f32_e32 v6, v10, v6
	v_div_scale_f32 v10, vcc_lo, 1.0, v7, 1.0
	v_mul_f32_e32 v12, v10, v6
	s_delay_alu instid0(VALU_DEP_1) | instskip(NEXT) | instid1(VALU_DEP_1)
	v_fma_f32 v13, -v0, v12, v10
	v_fmac_f32_e32 v12, v13, v6
	s_delay_alu instid0(VALU_DEP_1) | instskip(NEXT) | instid1(VALU_DEP_1)
	v_fma_f32 v0, -v0, v12, v10
	v_div_fmas_f32 v0, v0, v6, v12
	s_delay_alu instid0(VALU_DEP_1)
	v_div_fixup_f32 v0, v0, v7, 1.0
.LBB9_20:
	v_dual_add_nc_u32 v9, s0, v9 :: v_dual_mov_b32 v13, 0
	v_lshrrev_b32_e32 v6, 16, v105
	v_cvt_f32_f16_e32 v14, v105
	s_delay_alu instid0(VALU_DEP_3) | instskip(NEXT) | instid1(VALU_DEP_3)
	v_lshl_add_u32 v12, v9, 6, v11
	v_cvt_f32_f16_e32 v15, v6
	s_delay_alu instid0(VALU_DEP_2) | instskip(NEXT) | instid1(VALU_DEP_2)
	v_lshl_add_u64 v[12:13], v[12:13], 2, s[16:17]
	v_pk_mul_f32 v[14:15], v[0:1], v[14:15] op_sel_hi:[0,1]
	global_store_b64 v[12:13], v[14:15], off
	s_wait_xcnt 0x0
	s_and_saveexec_b32 s2, s1
	s_cbranch_execz .LBB9_22
; %bb.21:
	v_mov_b32_e32 v6, v1
	global_store_b64 v9, v[6:7], s[18:19] scale_offset
.LBB9_22:
	s_wait_xcnt 0x0
	s_or_b32 exec_lo, exec_lo, s2
	v_cmp_ne_u32_e32 vcc_lo, 1, v8
	v_mov_b32_e32 v0, 1.0
	s_cbranch_vccnz .LBB9_24
; %bb.23:
	v_div_scale_f32 v0, null, v4, v4, 1.0
	s_delay_alu instid0(VALU_DEP_1) | instskip(SKIP_1) | instid1(TRANS32_DEP_1)
	v_rcp_f32_e32 v1, v0
	v_nop
	v_fma_f32 v6, -v0, v1, 1.0
	s_delay_alu instid0(VALU_DEP_1) | instskip(SKIP_1) | instid1(VALU_DEP_1)
	v_fmac_f32_e32 v1, v6, v1
	v_div_scale_f32 v6, vcc_lo, 1.0, v4, 1.0
	v_mul_f32_e32 v7, v6, v1
	s_delay_alu instid0(VALU_DEP_1) | instskip(NEXT) | instid1(VALU_DEP_1)
	v_fma_f32 v10, -v0, v7, v6
	v_fmac_f32_e32 v7, v10, v1
	s_delay_alu instid0(VALU_DEP_1) | instskip(NEXT) | instid1(VALU_DEP_1)
	v_fma_f32 v0, -v0, v7, v6
	v_div_fmas_f32 v0, v0, v1, v7
	s_delay_alu instid0(VALU_DEP_1)
	v_div_fixup_f32 v0, v0, v4, 1.0
.LBB9_24:
	v_dual_add_nc_u32 v1, s0, v9 :: v_dual_lshrrev_b32 v9, 16, v104
	v_mov_b32_e32 v7, 0
	v_cvt_f32_f16_e32 v12, v104
	s_delay_alu instid0(VALU_DEP_3) | instskip(NEXT) | instid1(VALU_DEP_4)
	v_lshl_add_u32 v6, v1, 6, v11
	v_cvt_f32_f16_e32 v13, v9
	s_delay_alu instid0(VALU_DEP_2) | instskip(NEXT) | instid1(VALU_DEP_2)
	v_lshl_add_u64 v[6:7], v[6:7], 2, s[16:17]
	v_pk_mul_f32 v[12:13], v[0:1], v[12:13] op_sel_hi:[0,1]
	global_store_b64 v[6:7], v[12:13], off
	s_wait_xcnt 0x0
	s_and_saveexec_b32 s2, s1
	s_cbranch_execz .LBB9_26
; %bb.25:
	v_dual_mov_b32 v6, v2 :: v_dual_mov_b32 v7, v4
	global_store_b64 v1, v[6:7], s[18:19] scale_offset
.LBB9_26:
	s_wait_xcnt 0x0
	s_or_b32 exec_lo, exec_lo, s2
	v_cmp_ne_u32_e32 vcc_lo, 1, v8
	v_mov_b32_e32 v0, 1.0
	s_cbranch_vccnz .LBB9_28
; %bb.27:
	v_div_scale_f32 v0, null, v5, v5, 1.0
	s_delay_alu instid0(VALU_DEP_1) | instskip(SKIP_1) | instid1(TRANS32_DEP_1)
	v_rcp_f32_e32 v2, v0
	v_nop
	v_fma_f32 v4, -v0, v2, 1.0
	s_delay_alu instid0(VALU_DEP_1) | instskip(SKIP_1) | instid1(VALU_DEP_1)
	v_fmac_f32_e32 v2, v4, v2
	v_div_scale_f32 v4, vcc_lo, 1.0, v5, 1.0
	v_mul_f32_e32 v6, v4, v2
	s_delay_alu instid0(VALU_DEP_1) | instskip(NEXT) | instid1(VALU_DEP_1)
	v_fma_f32 v7, -v0, v6, v4
	v_fmac_f32_e32 v6, v7, v2
	s_delay_alu instid0(VALU_DEP_1) | instskip(NEXT) | instid1(VALU_DEP_1)
	v_fma_f32 v0, -v0, v6, v4
	v_div_fmas_f32 v0, v0, v2, v6
	s_delay_alu instid0(VALU_DEP_1)
	v_div_fixup_f32 v0, v0, v5, 1.0
.LBB9_28:
	v_dual_add_nc_u32 v1, s0, v1 :: v_dual_lshrrev_b32 v2, 16, v107
	v_mov_b32_e32 v7, 0
	v_cvt_f32_f16_e32 v8, v107
	s_delay_alu instid0(VALU_DEP_3) | instskip(NEXT) | instid1(VALU_DEP_4)
	v_lshl_add_u32 v6, v1, 6, v11
	v_cvt_f32_f16_e32 v9, v2
	s_delay_alu instid0(VALU_DEP_2) | instskip(NEXT) | instid1(VALU_DEP_2)
	v_lshl_add_u64 v[6:7], v[6:7], 2, s[16:17]
	v_pk_mul_f32 v[8:9], v[0:1], v[8:9] op_sel_hi:[0,1]
	global_store_b64 v[6:7], v[8:9], off
	s_wait_xcnt 0x0
	s_and_b32 exec_lo, exec_lo, s1
	s_cbranch_execz .LBB9_30
; %bb.29:
	v_mov_b32_e32 v4, v3
	global_store_b64 v1, v[4:5], s[18:19] scale_offset
.LBB9_30:
	s_sendmsg sendmsg(MSG_DEALLOC_VGPRS)
	s_endpgm
	.section	.rodata,"a",@progbits
	.p2align	6, 0x0
	.amdhsa_kernel _ZL15flash_attn_tileILi64ELi64ELi2ELi8ELb0EEvPKcS1_S1_S1_S1_PKiPfP15HIP_vector_typeIfLj2EEffffjfiS5_IjLj3EEiiiiiiiiiiiliiliiiiil
		.amdhsa_group_segment_fixed_size 24576
		.amdhsa_private_segment_fixed_size 0
		.amdhsa_kernarg_size 464
		.amdhsa_user_sgpr_count 2
		.amdhsa_user_sgpr_dispatch_ptr 0
		.amdhsa_user_sgpr_queue_ptr 0
		.amdhsa_user_sgpr_kernarg_segment_ptr 1
		.amdhsa_user_sgpr_dispatch_id 0
		.amdhsa_user_sgpr_kernarg_preload_length 0
		.amdhsa_user_sgpr_kernarg_preload_offset 0
		.amdhsa_user_sgpr_private_segment_size 0
		.amdhsa_wavefront_size32 1
		.amdhsa_uses_dynamic_stack 0
		.amdhsa_enable_private_segment 0
		.amdhsa_system_sgpr_workgroup_id_x 1
		.amdhsa_system_sgpr_workgroup_id_y 1
		.amdhsa_system_sgpr_workgroup_id_z 1
		.amdhsa_system_sgpr_workgroup_info 0
		.amdhsa_system_vgpr_workitem_id 1
		.amdhsa_next_free_vgpr 136
		.amdhsa_next_free_sgpr 42
		.amdhsa_named_barrier_count 0
		.amdhsa_reserve_vcc 1
		.amdhsa_float_round_mode_32 0
		.amdhsa_float_round_mode_16_64 0
		.amdhsa_float_denorm_mode_32 3
		.amdhsa_float_denorm_mode_16_64 3
		.amdhsa_fp16_overflow 0
		.amdhsa_memory_ordered 1
		.amdhsa_forward_progress 1
		.amdhsa_inst_pref_size 184
		.amdhsa_round_robin_scheduling 0
		.amdhsa_exception_fp_ieee_invalid_op 0
		.amdhsa_exception_fp_denorm_src 0
		.amdhsa_exception_fp_ieee_div_zero 0
		.amdhsa_exception_fp_ieee_overflow 0
		.amdhsa_exception_fp_ieee_underflow 0
		.amdhsa_exception_fp_ieee_inexact 0
		.amdhsa_exception_int_div_zero 0
	.end_amdhsa_kernel
	.section	.text._ZL15flash_attn_tileILi64ELi64ELi2ELi8ELb0EEvPKcS1_S1_S1_S1_PKiPfP15HIP_vector_typeIfLj2EEffffjfiS5_IjLj3EEiiiiiiiiiiiliiliiiiil,"axG",@progbits,_ZL15flash_attn_tileILi64ELi64ELi2ELi8ELb0EEvPKcS1_S1_S1_S1_PKiPfP15HIP_vector_typeIfLj2EEffffjfiS5_IjLj3EEiiiiiiiiiiiliiliiiiil,comdat
.Lfunc_end9:
	.size	_ZL15flash_attn_tileILi64ELi64ELi2ELi8ELb0EEvPKcS1_S1_S1_S1_PKiPfP15HIP_vector_typeIfLj2EEffffjfiS5_IjLj3EEiiiiiiiiiiiliiliiiiil, .Lfunc_end9-_ZL15flash_attn_tileILi64ELi64ELi2ELi8ELb0EEvPKcS1_S1_S1_S1_PKiPfP15HIP_vector_typeIfLj2EEffffjfiS5_IjLj3EEiiiiiiiiiiiliiliiiiil
                                        ; -- End function
	.set _ZL15flash_attn_tileILi64ELi64ELi2ELi8ELb0EEvPKcS1_S1_S1_S1_PKiPfP15HIP_vector_typeIfLj2EEffffjfiS5_IjLj3EEiiiiiiiiiiiliiliiiiil.num_vgpr, 136
	.set _ZL15flash_attn_tileILi64ELi64ELi2ELi8ELb0EEvPKcS1_S1_S1_S1_PKiPfP15HIP_vector_typeIfLj2EEffffjfiS5_IjLj3EEiiiiiiiiiiiliiliiiiil.num_agpr, 0
	.set _ZL15flash_attn_tileILi64ELi64ELi2ELi8ELb0EEvPKcS1_S1_S1_S1_PKiPfP15HIP_vector_typeIfLj2EEffffjfiS5_IjLj3EEiiiiiiiiiiiliiliiiiil.numbered_sgpr, 42
	.set _ZL15flash_attn_tileILi64ELi64ELi2ELi8ELb0EEvPKcS1_S1_S1_S1_PKiPfP15HIP_vector_typeIfLj2EEffffjfiS5_IjLj3EEiiiiiiiiiiiliiliiiiil.num_named_barrier, 0
	.set _ZL15flash_attn_tileILi64ELi64ELi2ELi8ELb0EEvPKcS1_S1_S1_S1_PKiPfP15HIP_vector_typeIfLj2EEffffjfiS5_IjLj3EEiiiiiiiiiiiliiliiiiil.private_seg_size, 0
	.set _ZL15flash_attn_tileILi64ELi64ELi2ELi8ELb0EEvPKcS1_S1_S1_S1_PKiPfP15HIP_vector_typeIfLj2EEffffjfiS5_IjLj3EEiiiiiiiiiiiliiliiiiil.uses_vcc, 1
	.set _ZL15flash_attn_tileILi64ELi64ELi2ELi8ELb0EEvPKcS1_S1_S1_S1_PKiPfP15HIP_vector_typeIfLj2EEffffjfiS5_IjLj3EEiiiiiiiiiiiliiliiiiil.uses_flat_scratch, 0
	.set _ZL15flash_attn_tileILi64ELi64ELi2ELi8ELb0EEvPKcS1_S1_S1_S1_PKiPfP15HIP_vector_typeIfLj2EEffffjfiS5_IjLj3EEiiiiiiiiiiiliiliiiiil.has_dyn_sized_stack, 0
	.set _ZL15flash_attn_tileILi64ELi64ELi2ELi8ELb0EEvPKcS1_S1_S1_S1_PKiPfP15HIP_vector_typeIfLj2EEffffjfiS5_IjLj3EEiiiiiiiiiiiliiliiiiil.has_recursion, 0
	.set _ZL15flash_attn_tileILi64ELi64ELi2ELi8ELb0EEvPKcS1_S1_S1_S1_PKiPfP15HIP_vector_typeIfLj2EEffffjfiS5_IjLj3EEiiiiiiiiiiiliiliiiiil.has_indirect_call, 0
	.section	.AMDGPU.csdata,"",@progbits
; Kernel info:
; codeLenInByte = 23548
; TotalNumSgprs: 44
; NumVgprs: 136
; ScratchSize: 0
; MemoryBound: 0
; FloatMode: 240
; IeeeMode: 1
; LDSByteSize: 24576 bytes/workgroup (compile time only)
; SGPRBlocks: 0
; VGPRBlocks: 8
; NumSGPRsForWavesPerEU: 44
; NumVGPRsForWavesPerEU: 136
; NamedBarCnt: 0
; Occupancy: 7
; WaveLimiterHint : 1
; COMPUTE_PGM_RSRC2:SCRATCH_EN: 0
; COMPUTE_PGM_RSRC2:USER_SGPR: 2
; COMPUTE_PGM_RSRC2:TRAP_HANDLER: 0
; COMPUTE_PGM_RSRC2:TGID_X_EN: 1
; COMPUTE_PGM_RSRC2:TGID_Y_EN: 1
; COMPUTE_PGM_RSRC2:TGID_Z_EN: 1
; COMPUTE_PGM_RSRC2:TIDIG_COMP_CNT: 1
	.section	.text._ZL25flash_attn_mask_to_KV_maxILi2EEvPK7__half2Piiii,"axG",@progbits,_ZL25flash_attn_mask_to_KV_maxILi2EEvPK7__half2Piiii,comdat
	.globl	_ZL25flash_attn_mask_to_KV_maxILi2EEvPK7__half2Piiii ; -- Begin function _ZL25flash_attn_mask_to_KV_maxILi2EEvPK7__half2Piiii
	.p2align	8
	.type	_ZL25flash_attn_mask_to_KV_maxILi2EEvPK7__half2Piiii,@function
_ZL25flash_attn_mask_to_KV_maxILi2EEvPK7__half2Piiii: ; @_ZL25flash_attn_mask_to_KV_maxILi2EEvPK7__half2Piiii
; %bb.0:
	s_load_b128 s[4:7], s[0:1], 0x0
	s_mov_b32 s2, exec_lo
	v_cmpx_gt_u32_e32 32, v0
; %bb.1:
	v_dual_mov_b32 v2, 1 :: v_dual_lshlrev_b32 v1, 2, v0
	ds_store_b32 v1, v2
; %bb.2:
	s_or_b32 exec_lo, exec_lo, s2
	s_clause 0x1
	s_load_b96 s[8:10], s[0:1], 0x10
	s_load_b32 s11, s[0:1], 0x20
	s_wait_xcnt 0x0
	s_bfe_u32 s1, ttmp6, 0x4000c
	s_bfe_u32 s2, ttmp6, 0x40010
	s_add_co_i32 s1, s1, 1
	s_add_co_i32 s2, s2, 1
	s_and_b32 s0, ttmp6, 15
	s_bfe_u32 s3, ttmp6, 0x40004
	s_mul_i32 s1, ttmp9, s1
	s_mul_i32 s2, ttmp7, s2
	s_getreg_b32 s12, hwreg(HW_REG_IB_STS2, 6, 4)
	s_add_co_i32 s0, s0, s1
	s_add_co_i32 s3, s3, s2
	s_cmp_eq_u32 s12, 0
	v_dual_lshrrev_b32 v1, 3, v0 :: v_dual_bitop2_b32 v2, 31, v0 bitop3:0x40
	s_cselect_b32 s1, ttmp9, s0
	s_cselect_b32 s12, ttmp7, s3
	s_wait_dscnt 0x0
	s_barrier_signal -1
	s_wait_kmcnt 0x0
	s_mul_i32 s0, s1, s9
	s_mul_i32 s2, s10, s12
	s_lshl_b32 s0, s0, 1
	s_barrier_wait -1
	s_add_co_i32 s2, s2, s0
	v_cmp_eq_u32_e64 s0, 0, v2
	s_ashr_i32 s3, s2, 31
	v_lshlrev_b32_e32 v2, 2, v2
	s_lshl_b64 s[2:3], s[2:3], 2
	s_delay_alu instid0(SALU_CYCLE_1)
	s_add_nc_u64 s[2:3], s[4:5], s[2:3]
	s_lshl_b32 s5, s8, 8
	s_branch .LBB10_4
.LBB10_3:                               ;   in Loop: Header=BB10_4 Depth=1
	s_or_b32 exec_lo, exec_lo, s8
	s_wait_dscnt 0x0
	s_barrier_signal -1
	s_barrier_wait -1
	ds_load_b32 v3, v2
	s_wait_dscnt 0x0
	s_barrier_signal -1
	s_barrier_wait -1
	v_cmp_ne_u32_e32 vcc_lo, 0, v3
	s_cmp_lg_u32 vcc_lo, exec_lo
	s_cselect_b32 s8, -1, 0
	s_delay_alu instid0(SALU_CYCLE_1)
	s_and_b32 vcc_lo, exec_lo, s8
	s_cbranch_vccnz .LBB10_12
.LBB10_4:                               ; =>This Inner Loop Header: Depth=1
	s_mov_b32 s4, s5
	s_addk_co_i32 s5, 0xff00
	s_delay_alu instid0(SALU_CYCLE_1)
	s_cmp_lt_i32 s5, 0
	s_cbranch_scc1 .LBB10_11
; %bb.5:                                ;   in Loop: Header=BB10_4 Depth=1
	s_lshr_b32 s8, s5, 1
	s_delay_alu instid0(SALU_CYCLE_1) | instskip(SKIP_4) | instid1(VALU_DEP_2)
	v_add_nc_u32_e32 v3, s8, v0
	global_load_b32 v4, v3, s[2:3] scale_offset
	s_wait_loadcnt 0x0
	v_lshrrev_b32_e32 v5, 16, v4
	v_cmp_class_f16_e64 s8, v4, 0x204
	v_cmp_class_f16_e64 s10, v5, 0x204
	s_and_b32 s13, s8, s10
	s_mov_b32 s10, 0
	s_and_saveexec_b32 s8, s13
	s_cbranch_execz .LBB10_9
; %bb.6:                                ;   in Loop: Header=BB10_4 Depth=1
	v_add_nc_u32_e32 v3, s9, v3
	global_load_b32 v3, v3, s[2:3] scale_offset
	s_wait_loadcnt 0x0
	v_cmp_class_f16_e64 s14, v3, 0x204
	s_and_saveexec_b32 s13, s14
; %bb.7:                                ;   in Loop: Header=BB10_4 Depth=1
	v_lshrrev_b32_e32 v3, 16, v3
	s_delay_alu instid0(VALU_DEP_1)
	v_cmp_class_f16_e64 s10, v3, 0x204
	s_and_b32 s10, s10, exec_lo
; %bb.8:                                ;   in Loop: Header=BB10_4 Depth=1
	s_or_b32 exec_lo, exec_lo, s13
	s_delay_alu instid0(SALU_CYCLE_1)
	s_and_b32 s10, s10, exec_lo
.LBB10_9:                               ;   in Loop: Header=BB10_4 Depth=1
	s_or_b32 exec_lo, exec_lo, s8
	v_cndmask_b32_e64 v3, 0, 1, s10
	s_mov_b32 s13, exec_lo
	s_delay_alu instid0(VALU_DEP_1)
	v_cmp_ne_u32_e32 vcc_lo, 0, v3
	s_and_saveexec_b32 s8, s0
	s_cbranch_execz .LBB10_3
; %bb.10:                               ;   in Loop: Header=BB10_4 Depth=1
	s_cmp_eq_u32 vcc_lo, s13
	s_cselect_b32 s10, -1, 0
	s_delay_alu instid0(SALU_CYCLE_1)
	v_cndmask_b32_e64 v3, 0, 1, s10
	ds_store_b32 v1, v3
	s_branch .LBB10_3
.LBB10_11:                              ;   in Loop: Header=BB10_4 Depth=1
	s_cbranch_execz .LBB10_4
.LBB10_12:
	s_mov_b32 s0, exec_lo
	v_cmpx_eq_u32_e32 0, v0
	s_cbranch_execz .LBB10_14
; %bb.13:
	s_mul_i32 s0, s11, s12
	v_mov_b32_e32 v1, s4
	s_add_co_i32 s0, s0, s1
	s_delay_alu instid0(SALU_CYCLE_1)
	v_mov_b32_e32 v0, s0
	global_store_b32 v0, v1, s[6:7] scale_offset
.LBB10_14:
	s_endpgm
	.section	.rodata,"a",@progbits
	.p2align	6, 0x0
	.amdhsa_kernel _ZL25flash_attn_mask_to_KV_maxILi2EEvPK7__half2Piiii
		.amdhsa_group_segment_fixed_size 128
		.amdhsa_private_segment_fixed_size 0
		.amdhsa_kernarg_size 288
		.amdhsa_user_sgpr_count 2
		.amdhsa_user_sgpr_dispatch_ptr 0
		.amdhsa_user_sgpr_queue_ptr 0
		.amdhsa_user_sgpr_kernarg_segment_ptr 1
		.amdhsa_user_sgpr_dispatch_id 0
		.amdhsa_user_sgpr_kernarg_preload_length 0
		.amdhsa_user_sgpr_kernarg_preload_offset 0
		.amdhsa_user_sgpr_private_segment_size 0
		.amdhsa_wavefront_size32 1
		.amdhsa_uses_dynamic_stack 0
		.amdhsa_enable_private_segment 0
		.amdhsa_system_sgpr_workgroup_id_x 1
		.amdhsa_system_sgpr_workgroup_id_y 1
		.amdhsa_system_sgpr_workgroup_id_z 0
		.amdhsa_system_sgpr_workgroup_info 0
		.amdhsa_system_vgpr_workitem_id 0
		.amdhsa_next_free_vgpr 6
		.amdhsa_next_free_sgpr 15
		.amdhsa_named_barrier_count 0
		.amdhsa_reserve_vcc 1
		.amdhsa_float_round_mode_32 0
		.amdhsa_float_round_mode_16_64 0
		.amdhsa_float_denorm_mode_32 3
		.amdhsa_float_denorm_mode_16_64 3
		.amdhsa_fp16_overflow 0
		.amdhsa_memory_ordered 1
		.amdhsa_forward_progress 1
		.amdhsa_inst_pref_size 5
		.amdhsa_round_robin_scheduling 0
		.amdhsa_exception_fp_ieee_invalid_op 0
		.amdhsa_exception_fp_denorm_src 0
		.amdhsa_exception_fp_ieee_div_zero 0
		.amdhsa_exception_fp_ieee_overflow 0
		.amdhsa_exception_fp_ieee_underflow 0
		.amdhsa_exception_fp_ieee_inexact 0
		.amdhsa_exception_int_div_zero 0
	.end_amdhsa_kernel
	.section	.text._ZL25flash_attn_mask_to_KV_maxILi2EEvPK7__half2Piiii,"axG",@progbits,_ZL25flash_attn_mask_to_KV_maxILi2EEvPK7__half2Piiii,comdat
.Lfunc_end10:
	.size	_ZL25flash_attn_mask_to_KV_maxILi2EEvPK7__half2Piiii, .Lfunc_end10-_ZL25flash_attn_mask_to_KV_maxILi2EEvPK7__half2Piiii
                                        ; -- End function
	.set _ZL25flash_attn_mask_to_KV_maxILi2EEvPK7__half2Piiii.num_vgpr, 6
	.set _ZL25flash_attn_mask_to_KV_maxILi2EEvPK7__half2Piiii.num_agpr, 0
	.set _ZL25flash_attn_mask_to_KV_maxILi2EEvPK7__half2Piiii.numbered_sgpr, 15
	.set _ZL25flash_attn_mask_to_KV_maxILi2EEvPK7__half2Piiii.num_named_barrier, 0
	.set _ZL25flash_attn_mask_to_KV_maxILi2EEvPK7__half2Piiii.private_seg_size, 0
	.set _ZL25flash_attn_mask_to_KV_maxILi2EEvPK7__half2Piiii.uses_vcc, 1
	.set _ZL25flash_attn_mask_to_KV_maxILi2EEvPK7__half2Piiii.uses_flat_scratch, 0
	.set _ZL25flash_attn_mask_to_KV_maxILi2EEvPK7__half2Piiii.has_dyn_sized_stack, 0
	.set _ZL25flash_attn_mask_to_KV_maxILi2EEvPK7__half2Piiii.has_recursion, 0
	.set _ZL25flash_attn_mask_to_KV_maxILi2EEvPK7__half2Piiii.has_indirect_call, 0
	.section	.AMDGPU.csdata,"",@progbits
; Kernel info:
; codeLenInByte = 548
; TotalNumSgprs: 17
; NumVgprs: 6
; ScratchSize: 0
; MemoryBound: 0
; FloatMode: 240
; IeeeMode: 1
; LDSByteSize: 128 bytes/workgroup (compile time only)
; SGPRBlocks: 0
; VGPRBlocks: 0
; NumSGPRsForWavesPerEU: 17
; NumVGPRsForWavesPerEU: 6
; NamedBarCnt: 0
; Occupancy: 16
; WaveLimiterHint : 0
; COMPUTE_PGM_RSRC2:SCRATCH_EN: 0
; COMPUTE_PGM_RSRC2:USER_SGPR: 2
; COMPUTE_PGM_RSRC2:TRAP_HANDLER: 0
; COMPUTE_PGM_RSRC2:TGID_X_EN: 1
; COMPUTE_PGM_RSRC2:TGID_Y_EN: 1
; COMPUTE_PGM_RSRC2:TGID_Z_EN: 0
; COMPUTE_PGM_RSRC2:TIDIG_COMP_CNT: 0
	.section	.text._ZL33flash_attn_stream_k_fixup_uniformILi64ELi2ELi8EEvPfPK15HIP_vector_typeIfLj2EEiiiiiiS1_IjLj3EES5_S5_,"axG",@progbits,_ZL33flash_attn_stream_k_fixup_uniformILi64ELi2ELi8EEvPfPK15HIP_vector_typeIfLj2EEiiiiiiS1_IjLj3EES5_S5_,comdat
	.globl	_ZL33flash_attn_stream_k_fixup_uniformILi64ELi2ELi8EEvPfPK15HIP_vector_typeIfLj2EEiiiiiiS1_IjLj3EES5_S5_ ; -- Begin function _ZL33flash_attn_stream_k_fixup_uniformILi64ELi2ELi8EEvPfPK15HIP_vector_typeIfLj2EEiiiiiiS1_IjLj3EES5_S5_
	.p2align	8
	.type	_ZL33flash_attn_stream_k_fixup_uniformILi64ELi2ELi8EEvPfPK15HIP_vector_typeIfLj2EEiiiiiiS1_IjLj3EES5_S5_,@function
_ZL33flash_attn_stream_k_fixup_uniformILi64ELi2ELi8EEvPfPK15HIP_vector_typeIfLj2EEiiiiiiS1_IjLj3EES5_S5_: ; @_ZL33flash_attn_stream_k_fixup_uniformILi64ELi2ELi8EEvPfPK15HIP_vector_typeIfLj2EEiiiiiiS1_IjLj3EES5_S5_
; %bb.0:
	s_load_b256 s[4:11], s[0:1], 0x1c
	s_bfe_u32 s2, ttmp6, 0x40014
	s_lshr_b32 s3, ttmp7, 16
	s_add_co_i32 s2, s2, 1
	s_bfe_u32 s13, ttmp6, 0x40010
	s_mul_i32 s2, s3, s2
	s_bfe_u32 s12, ttmp6, 0x40008
	s_and_b32 s15, ttmp7, 0xffff
	s_add_co_i32 s13, s13, 1
	s_bfe_u32 s14, ttmp6, 0x4000c
	s_add_co_i32 s12, s12, s2
	s_mul_i32 s2, s15, s13
	s_bfe_u32 s13, ttmp6, 0x40004
	s_add_co_i32 s14, s14, 1
	s_add_co_i32 s13, s13, s2
	s_and_b32 s2, ttmp6, 15
	s_mul_i32 s14, ttmp9, s14
	s_getreg_b32 s20, hwreg(HW_REG_IB_STS2, 6, 4)
	s_add_co_i32 s2, s2, s14
	s_load_b128 s[16:19], s[0:1], 0x3c
	s_cmp_eq_u32 s20, 0
	s_cselect_b32 s14, ttmp9, s2
	s_cselect_b32 s13, s15, s13
	s_wait_kmcnt 0x0
	s_mul_hi_u32 s2, s7, s14
	s_cselect_b32 s12, s3, s12
	s_add_co_i32 s2, s14, s2
	s_delay_alu instid0(SALU_CYCLE_1) | instskip(NEXT) | instid1(SALU_CYCLE_1)
	s_lshr_b32 s7, s2, s8
	s_mul_i32 s2, s7, s9
	s_delay_alu instid0(SALU_CYCLE_1) | instskip(NEXT) | instid1(SALU_CYCLE_1)
	s_sub_co_i32 s8, s14, s2
	s_mul_hi_u32 s2, s8, s10
	s_delay_alu instid0(SALU_CYCLE_1) | instskip(SKIP_2) | instid1(SALU_CYCLE_1)
	s_add_co_i32 s9, s8, s2
	s_load_b64 s[2:3], s[0:1], 0x10
	s_lshr_b32 s15, s9, s11
	s_mul_i32 s9, s15, s16
	s_delay_alu instid0(SALU_CYCLE_1) | instskip(NEXT) | instid1(SALU_CYCLE_1)
	s_sub_co_i32 s8, s8, s9
	s_mul_hi_u32 s9, s8, s17
	s_delay_alu instid0(SALU_CYCLE_1) | instskip(NEXT) | instid1(SALU_CYCLE_1)
	s_add_co_i32 s9, s8, s9
	s_lshr_b32 s9, s9, s18
	s_delay_alu instid0(SALU_CYCLE_1) | instskip(SKIP_2) | instid1(SALU_CYCLE_1)
	s_mul_i32 s10, s9, s19
	s_lshl_b32 s17, s9, 3
	s_sub_co_i32 s16, s8, s10
	s_lshl_b32 s8, s16, 1
	s_delay_alu instid0(SALU_CYCLE_1) | instskip(SKIP_4) | instid1(SALU_CYCLE_1)
	s_add_co_i32 s8, s8, s13
	s_wait_kmcnt 0x0
	s_cmp_lt_i32 s8, s2
	s_cselect_b32 s8, -1, 0
	s_add_co_i32 s9, s17, s12
	s_cmp_lt_i32 s9, s5
	s_cselect_b32 s9, -1, 0
	s_delay_alu instid0(SALU_CYCLE_1) | instskip(NEXT) | instid1(SALU_CYCLE_1)
	s_and_b32 s8, s8, s9
	s_and_not1_b32 vcc_lo, exec_lo, s8
	s_cbranch_vccnz .LBB11_6
; %bb.1:
	s_mul_i32 s2, s7, s2
	s_load_b128 s[8:11], s[0:1], 0x0
	s_wait_xcnt 0x0
	s_add_co_i32 s0, s2, s13
	s_mul_i32 s15, s15, s5
	s_mul_i32 s0, s0, s3
	;; [unrolled: 1-line block ×3, first 2 shown]
	s_add_co_i32 s0, s0, s12
	s_lshl_b32 s1, s1, 7
	s_add_co_i32 s0, s0, s15
	s_mul_i32 s7, s6, s14
	s_add_co_i32 s0, s0, s17
	s_lshl_b32 s5, s13, 3
	s_lshl_b32 s0, s0, 6
	s_add_co_i32 s15, s7, s6
	s_add_co_i32 s1, s1, s0
	;; [unrolled: 1-line block ×3, first 2 shown]
	v_or_b32_e32 v4, s1, v0
	s_lshl_b32 s1, s15, 4
	s_add_co_i32 s2, s15, -2
	s_add_co_i32 s0, s0, s1
	s_delay_alu instid0(SALU_CYCLE_1)
	s_add_co_i32 s0, s0, -16
	s_wait_kmcnt 0x0
	global_load_b32 v3, v4, s[8:9] scale_offset
	s_ashr_i32 s1, s0, 31
	v_ashrrev_i32_e32 v5, 31, v4
	s_lshl_b64 s[0:1], s[0:1], 3
	s_cmp_lt_i32 s2, s7
	s_add_nc_u64 s[0:1], s[10:11], s[0:1]
	s_load_b32 s16, s[0:1], 0x4
	s_cbranch_scc1 .LBB11_4
; %bb.2:
	s_wait_xcnt 0x0
	s_load_b32 s0, s[0:1], 0x0
	s_add_co_i32 s14, s14, 1
	s_lshl_b32 s3, s13, 9
	s_wait_xcnt 0x0
	s_mul_i32 s1, s6, s14
	s_lshl_b32 s6, s12, 6
	s_lshl_b32 s13, s1, 10
	s_add_co_i32 s6, s6, s3
	s_lshl_b32 s1, s1, 4
	s_add_co_i32 s6, s6, s13
	s_lshl_b32 s2, s4, 6
	s_wait_kmcnt 0x0
	v_dual_mov_b32 v2, s16 :: v_dual_bitop2_b32 v0, s6, v0 bitop3:0x54
	s_add_co_i32 s1, s12, s1
	s_lshl_b32 s4, s4, 4
	s_ashr_i32 s3, s2, 31
	s_add_co_i32 s1, s1, s4
	v_add_nc_u32_e32 v0, 0xfffff800, v0
	s_lshl_b64 s[2:3], s[2:3], 2
	s_add_co_i32 s4, s1, s5
	s_add_nc_u64 s[2:3], s[10:11], s[2:3]
	s_add_co_i32 s1, s15, -1
	s_sub_co_i32 s4, s4, 32
.LBB11_3:                               ; =>This Inner Loop Header: Depth=1
	global_load_b32 v7, v0, s[2:3] scale_offset
	s_ashr_i32 s5, s4, 31
	v_max_num_f32_e64 v1, s0, s0
	s_lshl_b64 s[12:13], s[4:5], 3
	s_delay_alu instid0(SALU_CYCLE_1) | instskip(SKIP_1) | instid1(VALU_DEP_1)
	s_add_nc_u64 s[12:13], s[10:11], s[12:13]
	s_load_b64 s[12:13], s[12:13], 0x0
	v_readfirstlane_b32 s5, v1
	v_add_nc_u32_e32 v0, 0xfffffc00, v0
	s_wait_kmcnt 0x0
	v_max_num_f32_e64 v1, s12, s12
	s_delay_alu instid0(VALU_DEP_1) | instskip(SKIP_1) | instid1(SALU_CYCLE_3)
	v_readfirstlane_b32 s6, v1
	s_max_num_f32 s5, s5, s6
	s_sub_f32 s0, s0, s5
	s_sub_f32 s6, s12, s5
	s_delay_alu instid0(SALU_CYCLE_2) | instskip(NEXT) | instid1(SALU_CYCLE_2)
	s_mul_f32 s12, s0, 0x3fb8aa3b
	s_mul_f32 s14, s6, 0x3fb8aa3b
	s_delay_alu instid0(SALU_CYCLE_2)
	s_xor_b32 s15, s12, 0x80000000
	s_rndne_f32 s16, s12
	s_fmamk_f32 s15, s0, 0x3fb8aa3b, s15
	s_cmp_nlt_f32 s0, 0xc2ce8ed0
	s_rndne_f32 s17, s14
	s_sub_f32 s12, s12, s16
	s_fmamk_f32 s15, s0, 0x32a5705f, s15
	s_cselect_b32 vcc_lo, -1, 0
	s_cmp_ngt_f32 s0, 0x42b17218
	s_delay_alu instid0(SALU_CYCLE_1) | instskip(SKIP_2) | instid1(SALU_CYCLE_1)
	s_add_f32 s12, s12, s15
	s_cvt_i32_f32 s15, s16
	s_sub_f32 s16, s14, s17
	v_s_exp_f32 s12, s12
	v_nop
	s_delay_alu instid0(TRANS32_DEP_1) | instskip(SKIP_1) | instid1(VALU_DEP_1)
	v_ldexp_f32 v1, s12, s15
	s_cvt_i32_f32 s12, s17
	v_cndmask_b32_e32 v1, 0, v1, vcc_lo
	s_cselect_b32 vcc_lo, -1, 0
	s_cmp_ge_f32 s0, 0xc1a00000
	s_delay_alu instid0(VALU_DEP_1)
	v_cndmask_b32_e32 v1, 0x7f800000, v1, vcc_lo
	s_cselect_b32 vcc_lo, -1, 0
	s_xor_b32 s0, s14, 0x80000000
	s_cmp_nlt_f32 s6, 0xc2ce8ed0
	s_fmamk_f32 s0, s6, 0x3fb8aa3b, s0
	v_cndmask_b32_e32 v10, 0, v1, vcc_lo
	s_delay_alu instid0(SALU_CYCLE_2) | instskip(NEXT) | instid1(SALU_CYCLE_3)
	s_fmamk_f32 s0, s6, 0x32a5705f, s0
	s_add_f32 s0, s16, s0
	s_delay_alu instid0(SALU_CYCLE_3) | instskip(SKIP_1) | instid1(TRANS32_DEP_1)
	v_s_exp_f32 s0, s0
	v_nop
	v_ldexp_f32 v6, s0, s12
	s_cselect_b32 s0, -1, 0
	s_cmp_ngt_f32 s6, 0x42b17218
	s_delay_alu instid0(VALU_DEP_1) | instskip(SKIP_2) | instid1(VALU_DEP_1)
	v_cndmask_b32_e64 v6, 0, v6, s0
	s_cselect_b32 s0, -1, 0
	s_cmp_ge_f32 s6, 0xc1a00000
	v_cndmask_b32_e64 v8, 0x7f800000, v6, s0
	s_cselect_b32 s0, -1, 0
	v_mov_b32_e32 v6, s13
	s_add_co_i32 s1, s1, -1
	s_add_co_i32 s4, s4, -16
	v_cndmask_b32_e64 v8, 0, v8, s0
	s_cmp_le_i32 s1, s7
	s_mov_b32 s0, s5
	s_wait_loadcnt 0x0
	s_delay_alu instid0(VALU_DEP_1) | instskip(NEXT) | instid1(VALU_DEP_1)
	v_pk_mul_f32 v[6:7], v[6:7], v[8:9] op_sel_hi:[1,0]
	v_pk_fma_f32 v[2:3], v[2:3], v[10:11], v[6:7] op_sel_hi:[1,0,1]
	s_cbranch_scc0 .LBB11_3
	s_branch .LBB11_5
.LBB11_4:
	s_wait_kmcnt 0x0
	v_mov_b32_e32 v2, s16
.LBB11_5:
	v_lshl_add_u64 v[0:1], v[4:5], 2, s[8:9]
	s_wait_loadcnt 0x0
	s_delay_alu instid0(VALU_DEP_2) | instskip(NEXT) | instid1(VALU_DEP_1)
	v_div_scale_f32 v4, null, v2, v2, v3
	v_rcp_f32_e32 v5, v4
	v_nop
	s_delay_alu instid0(TRANS32_DEP_1) | instskip(NEXT) | instid1(VALU_DEP_1)
	v_fma_f32 v6, -v4, v5, 1.0
	v_fmac_f32_e32 v5, v6, v5
	v_div_scale_f32 v6, vcc_lo, v3, v2, v3
	s_delay_alu instid0(VALU_DEP_1) | instskip(NEXT) | instid1(VALU_DEP_1)
	v_mul_f32_e32 v7, v6, v5
	v_fma_f32 v8, -v4, v7, v6
	s_delay_alu instid0(VALU_DEP_1) | instskip(NEXT) | instid1(VALU_DEP_1)
	v_fmac_f32_e32 v7, v8, v5
	v_fma_f32 v4, -v4, v7, v6
	s_delay_alu instid0(VALU_DEP_1) | instskip(NEXT) | instid1(VALU_DEP_1)
	v_div_fmas_f32 v4, v4, v5, v7
	v_div_fixup_f32 v2, v4, v2, v3
	global_store_b32 v[0:1], v2, off
.LBB11_6:
	s_endpgm
	.section	.rodata,"a",@progbits
	.p2align	6, 0x0
	.amdhsa_kernel _ZL33flash_attn_stream_k_fixup_uniformILi64ELi2ELi8EEvPfPK15HIP_vector_typeIfLj2EEiiiiiiS1_IjLj3EES5_S5_
		.amdhsa_group_segment_fixed_size 0
		.amdhsa_private_segment_fixed_size 0
		.amdhsa_kernarg_size 76
		.amdhsa_user_sgpr_count 2
		.amdhsa_user_sgpr_dispatch_ptr 0
		.amdhsa_user_sgpr_queue_ptr 0
		.amdhsa_user_sgpr_kernarg_segment_ptr 1
		.amdhsa_user_sgpr_dispatch_id 0
		.amdhsa_user_sgpr_kernarg_preload_length 0
		.amdhsa_user_sgpr_kernarg_preload_offset 0
		.amdhsa_user_sgpr_private_segment_size 0
		.amdhsa_wavefront_size32 1
		.amdhsa_uses_dynamic_stack 0
		.amdhsa_enable_private_segment 0
		.amdhsa_system_sgpr_workgroup_id_x 1
		.amdhsa_system_sgpr_workgroup_id_y 1
		.amdhsa_system_sgpr_workgroup_id_z 1
		.amdhsa_system_sgpr_workgroup_info 0
		.amdhsa_system_vgpr_workitem_id 0
		.amdhsa_next_free_vgpr 12
		.amdhsa_next_free_sgpr 21
		.amdhsa_named_barrier_count 0
		.amdhsa_reserve_vcc 1
		.amdhsa_float_round_mode_32 0
		.amdhsa_float_round_mode_16_64 0
		.amdhsa_float_denorm_mode_32 3
		.amdhsa_float_denorm_mode_16_64 3
		.amdhsa_fp16_overflow 0
		.amdhsa_memory_ordered 1
		.amdhsa_forward_progress 1
		.amdhsa_inst_pref_size 9
		.amdhsa_round_robin_scheduling 0
		.amdhsa_exception_fp_ieee_invalid_op 0
		.amdhsa_exception_fp_denorm_src 0
		.amdhsa_exception_fp_ieee_div_zero 0
		.amdhsa_exception_fp_ieee_overflow 0
		.amdhsa_exception_fp_ieee_underflow 0
		.amdhsa_exception_fp_ieee_inexact 0
		.amdhsa_exception_int_div_zero 0
	.end_amdhsa_kernel
	.section	.text._ZL33flash_attn_stream_k_fixup_uniformILi64ELi2ELi8EEvPfPK15HIP_vector_typeIfLj2EEiiiiiiS1_IjLj3EES5_S5_,"axG",@progbits,_ZL33flash_attn_stream_k_fixup_uniformILi64ELi2ELi8EEvPfPK15HIP_vector_typeIfLj2EEiiiiiiS1_IjLj3EES5_S5_,comdat
.Lfunc_end11:
	.size	_ZL33flash_attn_stream_k_fixup_uniformILi64ELi2ELi8EEvPfPK15HIP_vector_typeIfLj2EEiiiiiiS1_IjLj3EES5_S5_, .Lfunc_end11-_ZL33flash_attn_stream_k_fixup_uniformILi64ELi2ELi8EEvPfPK15HIP_vector_typeIfLj2EEiiiiiiS1_IjLj3EES5_S5_
                                        ; -- End function
	.set _ZL33flash_attn_stream_k_fixup_uniformILi64ELi2ELi8EEvPfPK15HIP_vector_typeIfLj2EEiiiiiiS1_IjLj3EES5_S5_.num_vgpr, 12
	.set _ZL33flash_attn_stream_k_fixup_uniformILi64ELi2ELi8EEvPfPK15HIP_vector_typeIfLj2EEiiiiiiS1_IjLj3EES5_S5_.num_agpr, 0
	.set _ZL33flash_attn_stream_k_fixup_uniformILi64ELi2ELi8EEvPfPK15HIP_vector_typeIfLj2EEiiiiiiS1_IjLj3EES5_S5_.numbered_sgpr, 21
	.set _ZL33flash_attn_stream_k_fixup_uniformILi64ELi2ELi8EEvPfPK15HIP_vector_typeIfLj2EEiiiiiiS1_IjLj3EES5_S5_.num_named_barrier, 0
	.set _ZL33flash_attn_stream_k_fixup_uniformILi64ELi2ELi8EEvPfPK15HIP_vector_typeIfLj2EEiiiiiiS1_IjLj3EES5_S5_.private_seg_size, 0
	.set _ZL33flash_attn_stream_k_fixup_uniformILi64ELi2ELi8EEvPfPK15HIP_vector_typeIfLj2EEiiiiiiS1_IjLj3EES5_S5_.uses_vcc, 1
	.set _ZL33flash_attn_stream_k_fixup_uniformILi64ELi2ELi8EEvPfPK15HIP_vector_typeIfLj2EEiiiiiiS1_IjLj3EES5_S5_.uses_flat_scratch, 0
	.set _ZL33flash_attn_stream_k_fixup_uniformILi64ELi2ELi8EEvPfPK15HIP_vector_typeIfLj2EEiiiiiiS1_IjLj3EES5_S5_.has_dyn_sized_stack, 0
	.set _ZL33flash_attn_stream_k_fixup_uniformILi64ELi2ELi8EEvPfPK15HIP_vector_typeIfLj2EEiiiiiiS1_IjLj3EES5_S5_.has_recursion, 0
	.set _ZL33flash_attn_stream_k_fixup_uniformILi64ELi2ELi8EEvPfPK15HIP_vector_typeIfLj2EEiiiiiiS1_IjLj3EES5_S5_.has_indirect_call, 0
	.section	.AMDGPU.csdata,"",@progbits
; Kernel info:
; codeLenInByte = 1092
; TotalNumSgprs: 23
; NumVgprs: 12
; ScratchSize: 0
; MemoryBound: 0
; FloatMode: 240
; IeeeMode: 1
; LDSByteSize: 0 bytes/workgroup (compile time only)
; SGPRBlocks: 0
; VGPRBlocks: 0
; NumSGPRsForWavesPerEU: 23
; NumVGPRsForWavesPerEU: 12
; NamedBarCnt: 0
; Occupancy: 16
; WaveLimiterHint : 0
; COMPUTE_PGM_RSRC2:SCRATCH_EN: 0
; COMPUTE_PGM_RSRC2:USER_SGPR: 2
; COMPUTE_PGM_RSRC2:TRAP_HANDLER: 0
; COMPUTE_PGM_RSRC2:TGID_X_EN: 1
; COMPUTE_PGM_RSRC2:TGID_Y_EN: 1
; COMPUTE_PGM_RSRC2:TGID_Z_EN: 1
; COMPUTE_PGM_RSRC2:TIDIG_COMP_CNT: 0
	.section	.text._ZL33flash_attn_stream_k_fixup_generalILi64ELi2ELi8EEvPfPK15HIP_vector_typeIfLj2EEiiiiS1_IjLj3EES5_S5_S5_,"axG",@progbits,_ZL33flash_attn_stream_k_fixup_generalILi64ELi2ELi8EEvPfPK15HIP_vector_typeIfLj2EEiiiiS1_IjLj3EES5_S5_S5_,comdat
	.globl	_ZL33flash_attn_stream_k_fixup_generalILi64ELi2ELi8EEvPfPK15HIP_vector_typeIfLj2EEiiiiS1_IjLj3EES5_S5_S5_ ; -- Begin function _ZL33flash_attn_stream_k_fixup_generalILi64ELi2ELi8EEvPfPK15HIP_vector_typeIfLj2EEiiiiS1_IjLj3EES5_S5_S5_
	.p2align	8
	.type	_ZL33flash_attn_stream_k_fixup_generalILi64ELi2ELi8EEvPfPK15HIP_vector_typeIfLj2EEiiiiS1_IjLj3EES5_S5_S5_,@function
_ZL33flash_attn_stream_k_fixup_generalILi64ELi2ELi8EEvPfPK15HIP_vector_typeIfLj2EEiiiiS1_IjLj3EES5_S5_S5_: ; @_ZL33flash_attn_stream_k_fixup_generalILi64ELi2ELi8EEvPfPK15HIP_vector_typeIfLj2EEiiiiS1_IjLj3EES5_S5_S5_
; %bb.0:
	s_clause 0x1
	s_load_b128 s[4:7], s[0:1], 0x10
	s_load_b32 s16, s[0:1], 0x50
	s_bfe_u32 s2, ttmp6, 0x4000c
	s_and_b32 s3, ttmp6, 15
	s_add_co_i32 s2, s2, 1
	s_getreg_b32 s15, hwreg(HW_REG_IB_STS2, 6, 4)
	s_mul_i32 s2, ttmp9, s2
	s_mov_b32 s17, 0
	s_add_co_i32 s3, s3, s2
	s_cmp_eq_u32 s15, 0
	s_cselect_b32 s2, ttmp9, s3
	s_delay_alu instid0(SALU_CYCLE_1) | instskip(SKIP_3) | instid1(SALU_CYCLE_1)
	s_ashr_i32 s3, s2, 31
	s_wait_kmcnt 0x0
	s_ashr_i32 s19, s7, 31
	s_mov_b32 s18, s7
	s_mul_u64 s[8:9], s[18:19], s[2:3]
	s_delay_alu instid0(SALU_CYCLE_1) | instskip(NEXT) | instid1(SALU_CYCLE_1)
	s_and_b64 s[10:11], s[8:9], 0xffffffff00000000
	s_cmp_lg_u64 s[10:11], 0
	s_cbranch_scc0 .LBB12_21
; %bb.1:
	s_add_nc_u64 s[10:11], s[16:17], 0
	s_mov_b32 s23, s17
	s_xor_b64 s[10:11], s[10:11], 0
	s_mov_b32 s27, s17
	s_cvt_f32_u32 s3, s10
	s_cvt_f32_u32 s7, s11
	s_sub_nc_u64 s[20:21], 0, s[10:11]
	s_delay_alu instid0(SALU_CYCLE_2) | instskip(NEXT) | instid1(SALU_CYCLE_3)
	s_fmamk_f32 s3, s7, 0x4f800000, s3
	v_s_rcp_f32 s3, s3
	s_delay_alu instid0(TRANS32_DEP_1) | instskip(NEXT) | instid1(SALU_CYCLE_3)
	s_mul_f32 s3, s3, 0x5f7ffffc
	s_mul_f32 s7, s3, 0x2f800000
	s_delay_alu instid0(SALU_CYCLE_3) | instskip(NEXT) | instid1(SALU_CYCLE_3)
	s_trunc_f32 s7, s7
	s_fmamk_f32 s3, s7, 0xcf800000, s3
	s_cvt_u32_f32 s13, s7
	s_delay_alu instid0(SALU_CYCLE_2) | instskip(NEXT) | instid1(SALU_CYCLE_3)
	s_cvt_u32_f32 s12, s3
	s_mul_u64 s[24:25], s[20:21], s[12:13]
	s_delay_alu instid0(SALU_CYCLE_1)
	s_mul_hi_u32 s29, s12, s25
	s_mul_i32 s28, s12, s25
	s_mul_hi_u32 s22, s12, s24
	s_mul_i32 s7, s13, s24
	s_add_nc_u64 s[22:23], s[22:23], s[28:29]
	s_mul_hi_u32 s3, s13, s24
	s_mul_hi_u32 s14, s13, s25
	s_add_co_u32 s7, s22, s7
	s_add_co_ci_u32 s26, s23, s3
	s_mul_i32 s24, s13, s25
	s_add_co_ci_u32 s25, s14, 0
	s_delay_alu instid0(SALU_CYCLE_1) | instskip(SKIP_3) | instid1(SALU_CYCLE_1)
	s_add_nc_u64 s[22:23], s[26:27], s[24:25]
	s_mov_b32 s25, s17
	s_add_co_u32 s12, s12, s22
	s_cselect_b32 s3, -1, 0
	s_cmp_lg_u32 s3, 0
	s_add_co_ci_u32 s13, s13, s23
	s_mov_b32 s23, s17
	s_mul_u64 s[20:21], s[20:21], s[12:13]
	s_delay_alu instid0(SALU_CYCLE_1)
	s_mul_hi_u32 s27, s12, s21
	s_mul_i32 s26, s12, s21
	s_mul_hi_u32 s22, s12, s20
	s_mul_i32 s7, s13, s20
	s_add_nc_u64 s[22:23], s[22:23], s[26:27]
	s_mul_hi_u32 s3, s13, s20
	s_mul_hi_u32 s14, s13, s21
	s_add_co_u32 s7, s22, s7
	s_add_co_ci_u32 s24, s23, s3
	s_mul_i32 s20, s13, s21
	s_add_co_ci_u32 s21, s14, 0
	s_mov_b32 s23, s17
	s_add_nc_u64 s[20:21], s[24:25], s[20:21]
	s_delay_alu instid0(SALU_CYCLE_1) | instskip(SKIP_1) | instid1(SALU_CYCLE_1)
	s_add_co_u32 s3, s12, s20
	s_cselect_b32 s7, -1, 0
	s_cmp_lg_u32 s7, 0
	s_add_co_ci_u32 s7, s13, s21
	s_ashr_i32 s12, s9, 31
	s_delay_alu instid0(SALU_CYCLE_1) | instskip(NEXT) | instid1(SALU_CYCLE_1)
	s_mov_b32 s13, s12
	s_add_nc_u64 s[20:21], s[8:9], s[12:13]
	s_delay_alu instid0(SALU_CYCLE_1) | instskip(NEXT) | instid1(SALU_CYCLE_1)
	s_xor_b64 s[20:21], s[20:21], s[12:13]
	s_mul_hi_u32 s27, s20, s7
	s_mul_i32 s26, s20, s7
	s_mul_hi_u32 s22, s20, s3
	s_mul_hi_u32 s14, s21, s3
	s_mul_i32 s3, s21, s3
	s_add_nc_u64 s[22:23], s[22:23], s[26:27]
	s_mul_hi_u32 s9, s21, s7
	s_add_co_u32 s3, s22, s3
	s_add_co_ci_u32 s24, s23, s14
	s_mul_i32 s26, s21, s7
	s_add_co_ci_u32 s27, s9, 0
	s_delay_alu instid0(SALU_CYCLE_1) | instskip(NEXT) | instid1(SALU_CYCLE_1)
	s_add_nc_u64 s[22:23], s[24:25], s[26:27]
	s_and_b64 s[24:25], s[22:23], 0xffffffff00000000
	s_delay_alu instid0(SALU_CYCLE_1) | instskip(NEXT) | instid1(SALU_CYCLE_1)
	s_or_b32 s24, s24, s22
	s_mul_u64 s[22:23], s[10:11], s[24:25]
	s_add_nc_u64 s[26:27], s[24:25], 1
	s_sub_co_u32 s3, s20, s22
	s_cselect_b32 s7, -1, 0
	s_sub_co_i32 s9, s21, s23
	s_cmp_lg_u32 s7, 0
	s_add_nc_u64 s[28:29], s[24:25], 2
	s_sub_co_ci_u32 s9, s9, s11
	s_sub_co_u32 s14, s3, s10
	s_cselect_b32 s20, -1, 0
	s_delay_alu instid0(SALU_CYCLE_1) | instskip(SKIP_1) | instid1(SALU_CYCLE_1)
	s_cmp_lg_u32 s20, 0
	s_sub_co_ci_u32 s9, s9, 0
	s_cmp_ge_u32 s9, s11
	s_cselect_b32 s20, -1, 0
	s_cmp_ge_u32 s14, s10
	s_cselect_b32 s14, -1, 0
	s_cmp_eq_u32 s9, s11
	s_cselect_b32 s9, s14, s20
	s_delay_alu instid0(SALU_CYCLE_1) | instskip(SKIP_4) | instid1(SALU_CYCLE_1)
	s_cmp_lg_u32 s9, 0
	s_cselect_b32 s9, s28, s26
	s_cselect_b32 s14, s29, s27
	s_cmp_lg_u32 s7, 0
	s_sub_co_ci_u32 s7, s21, s23
	s_cmp_ge_u32 s7, s11
	s_cselect_b32 s20, -1, 0
	s_cmp_ge_u32 s3, s10
	s_cselect_b32 s3, -1, 0
	s_cmp_eq_u32 s7, s11
	s_cselect_b32 s3, s3, s20
	s_delay_alu instid0(SALU_CYCLE_1) | instskip(SKIP_4) | instid1(SALU_CYCLE_1)
	s_cmp_lg_u32 s3, 0
	s_mov_b32 s3, s17
	s_cselect_b32 s11, s14, s25
	s_cselect_b32 s10, s9, s24
	s_xor_b64 s[12:13], s[12:13], 0
	s_xor_b64 s[10:11], s[10:11], s[12:13]
	s_delay_alu instid0(SALU_CYCLE_1)
	s_sub_nc_u64 s[20:21], s[10:11], s[12:13]
	s_and_not1_b32 vcc_lo, exec_lo, s3
	s_cbranch_vccnz .LBB12_3
.LBB12_2:
	v_cvt_f32_u32_e32 v1, s16
	s_sub_co_i32 s7, 0, s16
	s_mov_b32 s21, 0
	s_delay_alu instid0(VALU_DEP_1) | instskip(SKIP_1) | instid1(TRANS32_DEP_1)
	v_rcp_iflag_f32_e32 v1, v1
	v_nop
	v_mul_f32_e32 v1, 0x4f7ffffe, v1
	s_delay_alu instid0(VALU_DEP_1) | instskip(NEXT) | instid1(VALU_DEP_1)
	v_cvt_u32_f32_e32 v1, v1
	v_readfirstlane_b32 s3, v1
	s_mul_i32 s7, s7, s3
	s_delay_alu instid0(SALU_CYCLE_1) | instskip(NEXT) | instid1(SALU_CYCLE_1)
	s_mul_hi_u32 s7, s3, s7
	s_add_co_i32 s3, s3, s7
	s_delay_alu instid0(SALU_CYCLE_1) | instskip(NEXT) | instid1(SALU_CYCLE_1)
	s_mul_hi_u32 s3, s8, s3
	s_mul_i32 s7, s3, s16
	s_delay_alu instid0(SALU_CYCLE_1)
	s_sub_co_i32 s7, s8, s7
	s_add_co_i32 s8, s3, 1
	s_sub_co_i32 s9, s7, s16
	s_cmp_ge_u32 s7, s16
	s_cselect_b32 s3, s8, s3
	s_cselect_b32 s7, s9, s7
	s_add_co_i32 s8, s3, 1
	s_cmp_ge_u32 s7, s16
	s_cselect_b32 s20, s8, s3
.LBB12_3:
	s_add_co_i32 s8, s2, 1
	s_delay_alu instid0(SALU_CYCLE_1) | instskip(NEXT) | instid1(SALU_CYCLE_1)
	s_ashr_i32 s9, s8, 31
	s_mul_u64 s[8:9], s[18:19], s[8:9]
	s_delay_alu instid0(SALU_CYCLE_1) | instskip(NEXT) | instid1(SALU_CYCLE_1)
	s_and_b64 s[10:11], s[8:9], 0xffffffff00000000
	s_cmp_lg_u64 s[10:11], 0
	s_cbranch_scc0 .LBB12_22
; %bb.4:
	s_add_nc_u64 s[10:11], s[16:17], 0
	s_delay_alu instid0(SALU_CYCLE_1) | instskip(SKIP_4) | instid1(SALU_CYCLE_2)
	s_xor_b64 s[12:13], s[10:11], 0
	s_mov_b32 s11, 0
	s_cvt_f32_u32 s3, s12
	s_cvt_f32_u32 s7, s13
	s_sub_nc_u64 s[24:25], 0, s[12:13]
	s_fmamk_f32 s3, s7, 0x4f800000, s3
	s_delay_alu instid0(SALU_CYCLE_3) | instskip(NEXT) | instid1(TRANS32_DEP_1)
	v_s_rcp_f32 s3, s3
	s_mul_f32 s3, s3, 0x5f7ffffc
	s_delay_alu instid0(SALU_CYCLE_3) | instskip(NEXT) | instid1(SALU_CYCLE_3)
	s_mul_f32 s7, s3, 0x2f800000
	s_trunc_f32 s7, s7
	s_delay_alu instid0(SALU_CYCLE_3) | instskip(SKIP_1) | instid1(SALU_CYCLE_2)
	s_fmamk_f32 s3, s7, 0xcf800000, s3
	s_cvt_u32_f32 s23, s7
	s_cvt_u32_f32 s22, s3
	s_delay_alu instid0(SALU_CYCLE_3) | instskip(NEXT) | instid1(SALU_CYCLE_1)
	s_mul_u64 s[26:27], s[24:25], s[22:23]
	s_mul_hi_u32 s29, s22, s27
	s_mul_i32 s28, s22, s27
	s_mul_hi_u32 s10, s22, s26
	s_mul_i32 s7, s23, s26
	s_add_nc_u64 s[28:29], s[10:11], s[28:29]
	s_mul_hi_u32 s3, s23, s26
	s_mul_hi_u32 s14, s23, s27
	s_add_co_u32 s7, s28, s7
	s_add_co_ci_u32 s10, s29, s3
	s_mul_i32 s26, s23, s27
	s_add_co_ci_u32 s27, s14, 0
	s_delay_alu instid0(SALU_CYCLE_1) | instskip(NEXT) | instid1(SALU_CYCLE_1)
	s_add_nc_u64 s[26:27], s[10:11], s[26:27]
	s_add_co_u32 s22, s22, s26
	s_cselect_b32 s3, -1, 0
	s_delay_alu instid0(SALU_CYCLE_1) | instskip(SKIP_1) | instid1(SALU_CYCLE_1)
	s_cmp_lg_u32 s3, 0
	s_add_co_ci_u32 s23, s23, s27
	s_mul_u64 s[24:25], s[24:25], s[22:23]
	s_delay_alu instid0(SALU_CYCLE_1)
	s_mul_hi_u32 s27, s22, s25
	s_mul_i32 s26, s22, s25
	s_mul_hi_u32 s10, s22, s24
	s_mul_i32 s7, s23, s24
	s_add_nc_u64 s[26:27], s[10:11], s[26:27]
	s_mul_hi_u32 s3, s23, s24
	s_mul_hi_u32 s14, s23, s25
	s_add_co_u32 s7, s26, s7
	s_add_co_ci_u32 s10, s27, s3
	s_mul_i32 s24, s23, s25
	s_add_co_ci_u32 s25, s14, 0
	s_delay_alu instid0(SALU_CYCLE_1) | instskip(NEXT) | instid1(SALU_CYCLE_1)
	s_add_nc_u64 s[24:25], s[10:11], s[24:25]
	s_add_co_u32 s3, s22, s24
	s_cselect_b32 s7, -1, 0
	s_delay_alu instid0(SALU_CYCLE_1) | instskip(SKIP_2) | instid1(SALU_CYCLE_1)
	s_cmp_lg_u32 s7, 0
	s_add_co_ci_u32 s7, s23, s25
	s_ashr_i32 s22, s9, 31
	s_mov_b32 s23, s22
	s_delay_alu instid0(SALU_CYCLE_1) | instskip(NEXT) | instid1(SALU_CYCLE_1)
	s_add_nc_u64 s[24:25], s[8:9], s[22:23]
	s_xor_b64 s[24:25], s[24:25], s[22:23]
	s_delay_alu instid0(SALU_CYCLE_1)
	s_mul_hi_u32 s27, s24, s7
	s_mul_i32 s26, s24, s7
	s_mul_hi_u32 s10, s24, s3
	s_mul_hi_u32 s14, s25, s3
	s_mul_i32 s3, s25, s3
	s_add_nc_u64 s[26:27], s[10:11], s[26:27]
	s_mul_hi_u32 s9, s25, s7
	s_add_co_u32 s3, s26, s3
	s_add_co_ci_u32 s10, s27, s14
	s_mul_i32 s28, s25, s7
	s_add_co_ci_u32 s29, s9, 0
	s_delay_alu instid0(SALU_CYCLE_1) | instskip(NEXT) | instid1(SALU_CYCLE_1)
	s_add_nc_u64 s[26:27], s[10:11], s[28:29]
	s_and_b64 s[28:29], s[26:27], 0xffffffff00000000
	s_delay_alu instid0(SALU_CYCLE_1) | instskip(NEXT) | instid1(SALU_CYCLE_1)
	s_or_b32 s28, s28, s26
	s_mul_u64 s[26:27], s[12:13], s[28:29]
	s_add_nc_u64 s[30:31], s[28:29], 1
	s_sub_co_u32 s3, s24, s26
	s_cselect_b32 s7, -1, 0
	s_sub_co_i32 s9, s25, s27
	s_cmp_lg_u32 s7, 0
	s_add_nc_u64 s[34:35], s[28:29], 2
	s_sub_co_ci_u32 s9, s9, s13
	s_sub_co_u32 s10, s3, s12
	s_cselect_b32 s14, -1, 0
	s_delay_alu instid0(SALU_CYCLE_1) | instskip(SKIP_1) | instid1(SALU_CYCLE_1)
	s_cmp_lg_u32 s14, 0
	s_sub_co_ci_u32 s9, s9, 0
	s_cmp_ge_u32 s9, s13
	s_cselect_b32 s14, -1, 0
	s_cmp_ge_u32 s10, s12
	s_cselect_b32 s10, -1, 0
	s_cmp_eq_u32 s9, s13
	s_cselect_b32 s9, s10, s14
	s_delay_alu instid0(SALU_CYCLE_1) | instskip(SKIP_4) | instid1(SALU_CYCLE_1)
	s_cmp_lg_u32 s9, 0
	s_cselect_b32 s9, s34, s30
	s_cselect_b32 s10, s35, s31
	s_cmp_lg_u32 s7, 0
	s_sub_co_ci_u32 s7, s25, s27
	s_cmp_ge_u32 s7, s13
	s_cselect_b32 s14, -1, 0
	s_cmp_ge_u32 s3, s12
	s_cselect_b32 s3, -1, 0
	s_cmp_eq_u32 s7, s13
	s_cselect_b32 s3, s3, s14
	s_delay_alu instid0(SALU_CYCLE_1) | instskip(SKIP_3) | instid1(SALU_CYCLE_1)
	s_cmp_lg_u32 s3, 0
	s_cselect_b32 s13, s10, s29
	s_cselect_b32 s12, s9, s28
	s_xor_b64 s[22:23], s[22:23], 0
	s_xor_b64 s[12:13], s[12:13], s[22:23]
	s_delay_alu instid0(SALU_CYCLE_1)
	s_sub_nc_u64 s[24:25], s[12:13], s[22:23]
	s_load_b96 s[12:14], s[0:1], 0x44
	s_cbranch_execnz .LBB12_6
.LBB12_5:
	v_cvt_f32_u32_e32 v1, s16
	s_sub_co_i32 s7, 0, s16
	s_delay_alu instid0(VALU_DEP_1) | instskip(SKIP_1) | instid1(TRANS32_DEP_1)
	v_rcp_iflag_f32_e32 v1, v1
	v_nop
	v_mul_f32_e32 v1, 0x4f7ffffe, v1
	s_delay_alu instid0(VALU_DEP_1) | instskip(NEXT) | instid1(VALU_DEP_1)
	v_cvt_u32_f32_e32 v1, v1
	v_readfirstlane_b32 s3, v1
	s_mul_i32 s7, s7, s3
	s_delay_alu instid0(SALU_CYCLE_1) | instskip(NEXT) | instid1(SALU_CYCLE_1)
	s_mul_hi_u32 s7, s3, s7
	s_add_co_i32 s3, s3, s7
	s_delay_alu instid0(SALU_CYCLE_1) | instskip(NEXT) | instid1(SALU_CYCLE_1)
	s_mul_hi_u32 s3, s8, s3
	s_mul_i32 s7, s3, s16
	s_delay_alu instid0(SALU_CYCLE_1)
	s_sub_co_i32 s7, s8, s7
	s_add_co_i32 s8, s3, 1
	s_sub_co_i32 s9, s7, s16
	s_cmp_ge_u32 s7, s16
	s_cselect_b32 s3, s8, s3
	s_cselect_b32 s7, s9, s7
	s_add_co_i32 s8, s3, 1
	s_cmp_ge_u32 s7, s16
	s_cselect_b32 s24, s8, s3
.LBB12_6:
	s_delay_alu instid0(SALU_CYCLE_1)
	s_cmp_eq_u32 s20, s24
	s_mov_b64 s[8:9], 0xffffffff
	s_cselect_b32 s3, -1, 0
	s_and_b64 s[8:9], s[20:21], s[8:9]
	s_mov_b32 s23, 0
	s_wait_kmcnt 0x0
	s_mov_b32 s22, s12
	s_mov_b32 s25, s23
	s_mul_u64 s[10:11], s[8:9], s[22:23]
	s_delay_alu instid0(SALU_CYCLE_1) | instskip(SKIP_2) | instid1(SALU_CYCLE_1)
	s_add_co_i32 s7, s11, s20
	s_mul_u64 s[10:11], s[24:25], s[22:23]
	s_lshr_b32 s12, s7, s13
	s_mul_i32 s7, s12, s14
	s_delay_alu instid0(SALU_CYCLE_1) | instskip(SKIP_2) | instid1(SALU_CYCLE_1)
	s_cmp_eq_u32 s7, s20
	s_cselect_b32 s7, -1, 0
	s_add_co_i32 s10, s11, s24
	s_lshr_b32 s10, s10, s13
	s_delay_alu instid0(SALU_CYCLE_1)
	s_cmp_eq_u32 s12, s10
	s_mul_i32 s10, s10, s14
	s_cselect_b32 s11, -1, 0
	s_cmp_lg_u32 s10, s24
	s_cselect_b32 s10, -1, 0
	s_or_b32 s3, s3, s7
	s_and_b32 s10, s11, s10
	s_delay_alu instid0(SALU_CYCLE_1) | instskip(NEXT) | instid1(SALU_CYCLE_1)
	s_or_b32 s3, s3, s10
	s_and_b32 vcc_lo, exec_lo, s3
	s_cbranch_vccnz .LBB12_24
; %bb.7:
	s_load_b256 s[24:31], s[0:1], 0x20
	s_bfe_u32 s7, ttmp6, 0x40014
	s_bfe_u32 s33, ttmp6, 0x40010
	s_lshr_b32 s3, ttmp7, 16
	s_add_co_i32 s7, s7, 1
	s_and_b32 s21, ttmp7, 0xffff
	s_add_co_i32 s33, s33, 1
	s_bfe_u32 s10, ttmp6, 0x40008
	s_mul_i32 s7, s3, s7
	s_bfe_u32 s34, ttmp6, 0x40004
	s_mul_i32 s33, s21, s33
	s_mov_b32 s11, s23
	s_add_co_i32 s35, s10, s7
	s_add_co_i32 s34, s34, s33
	s_cmp_eq_u32 s15, 0
	s_cselect_b32 s7, s21, s34
	s_cselect_b32 s3, s3, s35
	s_wait_kmcnt 0x0
	s_mov_b32 s10, s24
	s_delay_alu instid0(SALU_CYCLE_1) | instskip(NEXT) | instid1(SALU_CYCLE_1)
	s_mul_u64 s[8:9], s[8:9], s[10:11]
	s_add_co_i32 s8, s9, s20
	s_load_b32 s9, s[0:1], 0x40
	s_lshr_b32 s8, s8, s25
	s_delay_alu instid0(SALU_CYCLE_1) | instskip(NEXT) | instid1(SALU_CYCLE_1)
	s_mul_i32 s10, s8, s26
	s_sub_co_i32 s10, s20, s10
	s_delay_alu instid0(SALU_CYCLE_1) | instskip(NEXT) | instid1(SALU_CYCLE_1)
	s_mul_hi_u32 s11, s10, s27
	s_add_co_i32 s11, s10, s11
	s_delay_alu instid0(SALU_CYCLE_1) | instskip(NEXT) | instid1(SALU_CYCLE_1)
	s_lshr_b32 s15, s11, s28
	s_mul_i32 s11, s15, s29
	s_delay_alu instid0(SALU_CYCLE_1) | instskip(NEXT) | instid1(SALU_CYCLE_1)
	s_sub_co_i32 s10, s10, s11
	s_mul_hi_u32 s11, s10, s30
	s_delay_alu instid0(SALU_CYCLE_1) | instskip(NEXT) | instid1(SALU_CYCLE_1)
	s_add_co_i32 s11, s10, s11
	s_lshr_b32 s26, s11, s31
	s_mov_b32 s11, s23
	s_wait_kmcnt 0x0
	s_mul_i32 s9, s26, s9
	s_delay_alu instid0(SALU_CYCLE_1) | instskip(NEXT) | instid1(SALU_CYCLE_1)
	s_sub_co_i32 s10, s10, s9
	s_mul_u64 s[24:25], s[10:11], s[22:23]
	s_lshl_b32 s24, s26, 3
	s_add_co_i32 s9, s10, s25
	s_delay_alu instid0(SALU_CYCLE_1) | instskip(NEXT) | instid1(SALU_CYCLE_1)
	s_lshr_b32 s21, s9, s13
	s_lshl_b32 s9, s21, 1
	s_delay_alu instid0(SALU_CYCLE_1) | instskip(NEXT) | instid1(SALU_CYCLE_1)
	s_add_co_i32 s9, s9, s7
	s_cmp_lt_i32 s9, s4
	s_cselect_b32 s9, -1, 0
	s_add_co_i32 s10, s24, s3
	s_delay_alu instid0(SALU_CYCLE_1) | instskip(SKIP_1) | instid1(SALU_CYCLE_1)
	s_cmp_lt_i32 s10, s6
	s_cselect_b32 s10, -1, 0
	s_and_b32 s9, s9, s10
	s_delay_alu instid0(SALU_CYCLE_1)
	s_and_not1_b32 vcc_lo, exec_lo, s9
	s_cbranch_vccnz .LBB12_24
; %bb.8:
	s_mul_i32 s4, s8, s4
	s_load_b128 s[8:11], s[0:1], 0x0
	s_wait_xcnt 0x0
	s_add_co_i32 s0, s4, s7
	s_mul_i32 s15, s15, s6
	s_mul_i32 s0, s0, s5
	s_mul_i32 s1, s5, s21
	s_add_co_i32 s0, s0, s3
	s_lshl_b32 s1, s1, 7
	s_add_co_i32 s0, s0, s15
	s_lshl_b32 s15, s7, 3
	s_add_co_i32 s0, s0, s24
	s_add_co_i32 s15, s15, s3
	s_lshl_b32 s0, s0, 6
	v_lshl_or_b32 v6, s15, 6, v0
	s_add_co_i32 s1, s1, s0
	v_cvt_f32_u32_e32 v4, s16
	v_or_b32_e32 v2, s1, v0
	s_add_nc_u64 s[0:1], s[16:17], 0
	s_lshl_b32 s24, s16, 6
	s_xor_b64 s[6:7], s[0:1], 0
	s_lshl_b32 s0, s2, 4
	s_cvt_f32_u32 s3, s6
	s_add_co_i32 s0, s15, s0
	s_cvt_f32_u32 s4, s7
	s_ashr_i32 s1, s0, 31
	v_rcp_iflag_f32_e32 v4, v4
	s_lshl_b64 s[0:1], s[0:1], 3
	s_fmamk_f32 s3, s4, 0x4f800000, s3
	s_wait_kmcnt 0x0
	s_add_nc_u64 s[0:1], s[10:11], s[0:1]
	s_mov_b32 s25, 0
	s_load_b64 s[28:29], s[0:1], 0x0
	v_s_rcp_f32 s3, s3
	s_wait_xcnt 0x0
	s_lshl_b64 s[0:1], s[24:25], 2
	s_add_co_i32 s36, s2, -1
	s_add_nc_u64 s[26:27], s[10:11], s[0:1]
	s_sub_nc_u64 s[34:35], 0, s[6:7]
	v_mul_f32_e32 v4, 0x4f7ffffe, v4
	s_delay_alu instid0(TRANS32_DEP_1) | instskip(NEXT) | instid1(VALU_DEP_1)
	s_mul_f32 s3, s3, 0x5f7ffffc
	v_cvt_u32_f32_e32 v7, v4
	s_delay_alu instid0(SALU_CYCLE_2) | instskip(NEXT) | instid1(SALU_CYCLE_3)
	s_mul_f32 s4, s3, 0x2f800000
	s_trunc_f32 s4, s4
	s_wait_kmcnt 0x0
	v_mov_b32_e32 v0, s29
	global_load_b32 v1, v2, s[8:9] scale_offset
	v_ashrrev_i32_e32 v3, 31, v2
	s_fmamk_f32 s0, s4, 0xcf800000, s3
	s_cvt_u32_f32 s31, s4
	s_wait_xcnt 0x0
	s_delay_alu instid0(VALU_DEP_1)
	v_lshl_add_u64 v[2:3], v[2:3], 2, s[8:9]
	s_cvt_u32_f32 s30, s0
	s_mov_b64 s[8:9], 0xffffffff
.LBB12_9:                               ; =>This Inner Loop Header: Depth=1
	s_ashr_i32 s37, s36, 31
                                        ; implicit-def: $sgpr40_sgpr41
	s_delay_alu instid0(SALU_CYCLE_1) | instskip(NEXT) | instid1(SALU_CYCLE_1)
	s_mul_u64 s[0:1], s[36:37], s[18:19]
	s_and_b64 s[2:3], s[0:1], 0xffffffff00000000
	s_delay_alu instid0(SALU_CYCLE_1)
	s_cmp_lg_u64 s[2:3], 0
	s_mov_b32 s2, -1
	s_cbranch_scc0 .LBB12_11
; %bb.10:                               ;   in Loop: Header=BB12_9 Depth=1
	s_mul_u64 s[2:3], s[34:35], s[30:31]
	s_delay_alu instid0(SALU_CYCLE_1)
	s_mul_hi_u32 s5, s30, s3
	s_mul_i32 s4, s30, s3
	s_mul_hi_u32 s24, s30, s2
	s_mul_hi_u32 s17, s31, s2
	s_add_nc_u64 s[4:5], s[24:25], s[4:5]
	s_mul_i32 s2, s31, s2
	s_mul_hi_u32 s21, s31, s3
	s_add_co_u32 s2, s4, s2
	s_add_co_ci_u32 s24, s5, s17
	s_add_co_ci_u32 s5, s21, 0
	s_mul_i32 s4, s31, s3
	s_delay_alu instid0(SALU_CYCLE_1) | instskip(NEXT) | instid1(SALU_CYCLE_1)
	s_add_nc_u64 s[2:3], s[24:25], s[4:5]
	s_add_co_u32 s2, s30, s2
	s_cselect_b32 s4, -1, 0
	s_delay_alu instid0(SALU_CYCLE_1) | instskip(SKIP_1) | instid1(SALU_CYCLE_1)
	s_cmp_lg_u32 s4, 0
	s_add_co_ci_u32 s3, s31, s3
	s_mul_u64 s[4:5], s[34:35], s[2:3]
	s_delay_alu instid0(SALU_CYCLE_1)
	s_mul_hi_u32 s39, s2, s5
	s_mul_i32 s38, s2, s5
	s_mul_hi_u32 s24, s2, s4
	s_mul_hi_u32 s17, s3, s4
	s_mul_i32 s4, s3, s4
	s_add_nc_u64 s[38:39], s[24:25], s[38:39]
	s_mul_hi_u32 s21, s3, s5
	s_add_co_u32 s4, s38, s4
	s_add_co_ci_u32 s24, s39, s17
	s_mul_i32 s4, s3, s5
	s_add_co_ci_u32 s5, s21, 0
	s_delay_alu instid0(SALU_CYCLE_1) | instskip(NEXT) | instid1(SALU_CYCLE_1)
	s_add_nc_u64 s[4:5], s[24:25], s[4:5]
	s_add_co_u32 s17, s2, s4
	s_cselect_b32 s2, -1, 0
	s_delay_alu instid0(SALU_CYCLE_1) | instskip(SKIP_2) | instid1(SALU_CYCLE_1)
	s_cmp_lg_u32 s2, 0
	s_add_co_ci_u32 s21, s3, s5
	s_ashr_i32 s2, s1, 31
	s_mov_b32 s3, s2
	s_delay_alu instid0(SALU_CYCLE_1) | instskip(NEXT) | instid1(SALU_CYCLE_1)
	s_add_nc_u64 s[4:5], s[0:1], s[2:3]
	s_xor_b64 s[4:5], s[4:5], s[2:3]
	s_delay_alu instid0(SALU_CYCLE_1)
	s_mul_hi_u32 s39, s4, s21
	s_mul_i32 s38, s4, s21
	s_mul_hi_u32 s24, s4, s17
	s_mul_hi_u32 s29, s5, s17
	s_mul_i32 s17, s5, s17
	s_add_nc_u64 s[38:39], s[24:25], s[38:39]
	s_mul_hi_u32 s1, s5, s21
	s_add_co_u32 s17, s38, s17
	s_add_co_ci_u32 s24, s39, s29
	s_mul_i32 s40, s5, s21
	s_add_co_ci_u32 s41, s1, 0
	s_delay_alu instid0(SALU_CYCLE_1) | instskip(NEXT) | instid1(SALU_CYCLE_1)
	s_add_nc_u64 s[38:39], s[24:25], s[40:41]
	s_and_b64 s[40:41], s[38:39], 0xffffffff00000000
	s_delay_alu instid0(SALU_CYCLE_1) | instskip(NEXT) | instid1(SALU_CYCLE_1)
	s_or_b32 s40, s40, s38
	s_mul_u64 s[38:39], s[6:7], s[40:41]
	s_add_nc_u64 s[42:43], s[40:41], 1
	s_sub_co_u32 s1, s4, s38
	s_cselect_b32 s4, -1, 0
	s_sub_co_i32 s17, s5, s39
	s_cmp_lg_u32 s4, 0
	s_add_nc_u64 s[44:45], s[40:41], 2
	s_sub_co_ci_u32 s17, s17, s7
	s_sub_co_u32 s21, s1, s6
	s_cselect_b32 s24, -1, 0
	s_delay_alu instid0(SALU_CYCLE_1) | instskip(SKIP_1) | instid1(SALU_CYCLE_1)
	s_cmp_lg_u32 s24, 0
	s_sub_co_ci_u32 s17, s17, 0
	s_cmp_ge_u32 s17, s7
	s_cselect_b32 s24, -1, 0
	s_cmp_ge_u32 s21, s6
	s_cselect_b32 s21, -1, 0
	s_cmp_eq_u32 s17, s7
	s_cselect_b32 s17, s21, s24
	s_delay_alu instid0(SALU_CYCLE_1) | instskip(SKIP_4) | instid1(SALU_CYCLE_1)
	s_cmp_lg_u32 s17, 0
	s_cselect_b32 s17, s44, s42
	s_cselect_b32 s21, s45, s43
	s_cmp_lg_u32 s4, 0
	s_sub_co_ci_u32 s4, s5, s39
	s_cmp_ge_u32 s4, s7
	s_cselect_b32 s5, -1, 0
	s_cmp_ge_u32 s1, s6
	s_cselect_b32 s1, -1, 0
	s_cmp_eq_u32 s4, s7
	s_cselect_b32 s1, s1, s5
	s_delay_alu instid0(SALU_CYCLE_1) | instskip(SKIP_3) | instid1(SALU_CYCLE_1)
	s_cmp_lg_u32 s1, 0
	s_cselect_b32 s5, s21, s41
	s_cselect_b32 s4, s17, s40
	s_xor_b64 s[2:3], s[2:3], 0
	s_xor_b64 s[4:5], s[4:5], s[2:3]
	s_delay_alu instid0(SALU_CYCLE_1)
	s_sub_nc_u64 s[40:41], s[4:5], s[2:3]
	s_mov_b32 s2, 0
.LBB12_11:                              ;   in Loop: Header=BB12_9 Depth=1
	s_delay_alu instid0(SALU_CYCLE_1)
	s_and_not1_b32 vcc_lo, exec_lo, s2
	s_cbranch_vccnz .LBB12_13
; %bb.12:                               ;   in Loop: Header=BB12_9 Depth=1
	v_readfirstlane_b32 s1, v7
	s_sub_co_i32 s2, 0, s16
	s_delay_alu instid0(SALU_CYCLE_1) | instskip(NEXT) | instid1(SALU_CYCLE_1)
	s_mul_i32 s2, s2, s1
	s_mul_hi_u32 s2, s1, s2
	s_delay_alu instid0(SALU_CYCLE_1) | instskip(NEXT) | instid1(SALU_CYCLE_1)
	s_add_co_i32 s1, s1, s2
	s_mul_hi_u32 s1, s0, s1
	s_delay_alu instid0(SALU_CYCLE_1) | instskip(NEXT) | instid1(SALU_CYCLE_1)
	s_mul_i32 s2, s1, s16
	s_sub_co_i32 s0, s0, s2
	s_add_co_i32 s2, s1, 1
	s_sub_co_i32 s3, s0, s16
	s_cmp_ge_u32 s0, s16
	s_cselect_b32 s1, s2, s1
	s_cselect_b32 s0, s3, s0
	s_add_co_i32 s2, s1, 1
	s_cmp_ge_u32 s0, s16
	s_cselect_b32 s24, s2, s1
	s_delay_alu instid0(SALU_CYCLE_1)
	s_mov_b64 s[40:41], s[24:25]
.LBB12_13:                              ;   in Loop: Header=BB12_9 Depth=1
	s_delay_alu instid0(SALU_CYCLE_1)
	s_cmp_lg_u32 s20, s40
	s_mov_b32 s0, -1
                                        ; implicit-def: $vgpr4_vgpr5
                                        ; implicit-def: $sgpr24
                                        ; implicit-def: $sgpr17
                                        ; implicit-def: $sgpr21
                                        ; implicit-def: $sgpr29
	s_cbranch_scc0 .LBB12_18
; %bb.14:                               ;   in Loop: Header=BB12_9 Depth=1
	s_add_co_i32 s0, s36, s16
	v_max_num_f32_e64 v4, s28, s28
	s_lshl_b32 s0, s0, 4
	s_mov_b32 s29, s20
	s_add_co_i32 s0, s0, s15
	s_load_b64 s[38:39], s[10:11], s0 offset:0x0 scale_offset
	s_wait_xcnt 0x0
	v_readfirstlane_b32 s0, v4
	s_wait_kmcnt 0x0
	v_max_num_f32_e64 v5, s38, s38
	s_delay_alu instid0(VALU_DEP_1) | instskip(SKIP_1) | instid1(SALU_CYCLE_3)
	v_readfirstlane_b32 s1, v5
	s_max_num_f32 s17, s0, s1
	s_sub_f32 s33, s28, s17
	s_sub_f32 s37, s38, s17
	s_delay_alu instid0(SALU_CYCLE_2)
	s_cmp_nlt_f32 s33, 0xc2ce8ed0
	s_cselect_b32 s1, -1, 0
	s_cmp_ngt_f32 s33, 0x42b17218
	s_cselect_b32 s2, -1, 0
	s_cmp_ge_f32 s33, 0xc1a00000
	s_cselect_b32 s0, -1, 0
	s_cmp_nlt_f32 s37, 0xc2ce8ed0
	s_cselect_b32 s3, -1, 0
	s_cmp_ngt_f32 s37, 0x42b17218
	s_cselect_b32 s4, -1, 0
	s_cmp_ge_f32 s37, 0xc1a00000
	s_cselect_b32 s5, -1, 0
	s_and_b64 s[42:43], s[40:41], s[8:9]
	s_delay_alu instid0(SALU_CYCLE_1) | instskip(NEXT) | instid1(SALU_CYCLE_1)
	s_mul_u64 s[42:43], s[42:43], s[22:23]
	s_add_co_i32 s21, s43, s40
	s_delay_alu instid0(SALU_CYCLE_1) | instskip(NEXT) | instid1(SALU_CYCLE_1)
	s_lshr_b32 s21, s21, s13
	s_mul_i32 s24, s21, s14
	s_delay_alu instid0(SALU_CYCLE_1) | instskip(SKIP_3) | instid1(SALU_CYCLE_1)
	s_cmp_eq_u32 s24, s40
	s_cselect_b32 s24, -1, 0
	s_cmp_lt_u32 s21, s12
	s_cselect_b32 s21, -1, 0
	s_or_b32 s21, s21, s24
	s_mov_b32 s24, -1
	s_and_b32 vcc_lo, exec_lo, s21
	s_mov_b32 s21, s36
	s_cbranch_vccnz .LBB12_16
; %bb.15:                               ;   in Loop: Header=BB12_9 Depth=1
	s_add_co_i32 s21, s36, -1
	s_mov_b32 s24, 0
	s_mov_b32 s29, s40
.LBB12_16:                              ;   in Loop: Header=BB12_9 Depth=1
	v_lshl_add_u32 v4, s36, 10, v6
	s_mul_f32 s40, s33, 0x3fb8aa3b
	s_mul_f32 s38, s37, 0x3fb8aa3b
	s_delay_alu instid0(SALU_CYCLE_2)
	s_xor_b32 s42, s40, 0x80000000
	global_load_b32 v5, v4, s[26:27] scale_offset
	s_fmamk_f32 s42, s33, 0x3fb8aa3b, s42
	s_rndne_f32 s44, s40
	s_xor_b32 s41, s38, 0x80000000
	s_rndne_f32 s43, s38
	s_fmamk_f32 s33, s33, 0x32a5705f, s42
	s_sub_f32 s40, s40, s44
	s_fmamk_f32 s41, s37, 0x3fb8aa3b, s41
	s_sub_f32 s38, s38, s43
	s_delay_alu instid0(SALU_CYCLE_1) | instskip(NEXT) | instid1(SALU_CYCLE_1)
	s_add_f32 s33, s40, s33
	s_fmamk_f32 s37, s37, 0x32a5705f, s41
	s_cvt_i32_f32 s40, s44
	s_delay_alu instid0(SALU_CYCLE_1) | instskip(NEXT) | instid1(SALU_CYCLE_1)
	v_s_exp_f32 s33, s33
	s_add_f32 s37, s38, s37
	s_cvt_i32_f32 s38, s43
	s_delay_alu instid0(SALU_CYCLE_2) | instskip(NEXT) | instid1(TRANS32_DEP_2)
	v_s_exp_f32 s37, s37
	v_ldexp_f32 v8, s33, s40
	s_wait_xcnt 0x0
	s_delay_alu instid0(TRANS32_DEP_1) | instskip(NEXT) | instid1(VALU_DEP_2)
	v_ldexp_f32 v4, s37, s38
	v_cndmask_b32_e64 v8, 0, v8, s1
	s_delay_alu instid0(VALU_DEP_1) | instskip(NEXT) | instid1(VALU_DEP_1)
	v_cndmask_b32_e64 v9, 0x7f800000, v8, s2
	v_dual_cndmask_b32 v4, 0, v4, s3 :: v_dual_cndmask_b32 v10, 0, v9, s0
	s_delay_alu instid0(VALU_DEP_1) | instskip(NEXT) | instid1(VALU_DEP_1)
	v_cndmask_b32_e64 v4, 0x7f800000, v4, s4
	v_dual_cndmask_b32 v8, 0, v4, s5 :: v_dual_mov_b32 v4, s39
	s_wait_loadcnt 0x0
	s_delay_alu instid0(VALU_DEP_1) | instskip(NEXT) | instid1(VALU_DEP_1)
	v_pk_mul_f32 v[4:5], v[4:5], v[8:9] op_sel_hi:[1,0]
	v_pk_fma_f32 v[4:5], v[0:1], v[10:11], v[4:5] op_sel_hi:[1,0,1]
	s_cbranch_execz .LBB12_19
.LBB12_17:                              ;   in Loop: Header=BB12_9 Depth=1
	s_and_not1_b32 vcc_lo, exec_lo, s24
	s_cbranch_vccnz .LBB12_20
	s_branch .LBB12_23
.LBB12_18:                              ;   in Loop: Header=BB12_9 Depth=1
	s_and_not1_b32 vcc_lo, exec_lo, s0
	s_cbranch_vccnz .LBB12_17
.LBB12_19:                              ;   in Loop: Header=BB12_9 Depth=1
	s_wait_loadcnt 0x0
	v_mov_b64_e32 v[4:5], v[0:1]
	s_add_co_i32 s21, s36, -1
	s_mov_b32 s29, s20
	s_mov_b32 s17, s28
	s_cbranch_execz .LBB12_23
.LBB12_20:                              ;   in Loop: Header=BB12_9 Depth=1
	s_wait_loadcnt 0x0
	s_delay_alu instid0(VALU_DEP_1)
	v_mov_b64_e32 v[0:1], v[4:5]
	s_mov_b32 s20, s29
	s_mov_b32 s36, s21
	;; [unrolled: 1-line block ×3, first 2 shown]
	s_branch .LBB12_9
.LBB12_21:
                                        ; implicit-def: $sgpr20_sgpr21
	s_branch .LBB12_2
.LBB12_22:
                                        ; implicit-def: $sgpr24_sgpr25
	s_load_b96 s[12:14], s[0:1], 0x44
	s_branch .LBB12_5
.LBB12_23:
	s_delay_alu instid0(VALU_DEP_1) | instskip(SKIP_1) | instid1(VALU_DEP_1)
	v_div_scale_f32 v0, null, v4, v4, v5
	s_wait_loadcnt 0x0
	v_rcp_f32_e32 v1, v0
	v_nop
	s_delay_alu instid0(TRANS32_DEP_1) | instskip(NEXT) | instid1(VALU_DEP_1)
	v_fma_f32 v6, -v0, v1, 1.0
	v_fmac_f32_e32 v1, v6, v1
	v_div_scale_f32 v6, vcc_lo, v5, v4, v5
	s_delay_alu instid0(VALU_DEP_1) | instskip(NEXT) | instid1(VALU_DEP_1)
	v_mul_f32_e32 v7, v6, v1
	v_fma_f32 v8, -v0, v7, v6
	s_delay_alu instid0(VALU_DEP_1) | instskip(NEXT) | instid1(VALU_DEP_1)
	v_fmac_f32_e32 v7, v8, v1
	v_fma_f32 v0, -v0, v7, v6
	s_delay_alu instid0(VALU_DEP_1) | instskip(NEXT) | instid1(VALU_DEP_1)
	v_div_fmas_f32 v0, v0, v1, v7
	v_div_fixup_f32 v0, v0, v4, v5
	global_store_b32 v[2:3], v0, off
.LBB12_24:
	s_endpgm
	.section	.rodata,"a",@progbits
	.p2align	6, 0x0
	.amdhsa_kernel _ZL33flash_attn_stream_k_fixup_generalILi64ELi2ELi8EEvPfPK15HIP_vector_typeIfLj2EEiiiiS1_IjLj3EES5_S5_S5_
		.amdhsa_group_segment_fixed_size 0
		.amdhsa_private_segment_fixed_size 0
		.amdhsa_kernarg_size 336
		.amdhsa_user_sgpr_count 2
		.amdhsa_user_sgpr_dispatch_ptr 0
		.amdhsa_user_sgpr_queue_ptr 0
		.amdhsa_user_sgpr_kernarg_segment_ptr 1
		.amdhsa_user_sgpr_dispatch_id 0
		.amdhsa_user_sgpr_kernarg_preload_length 0
		.amdhsa_user_sgpr_kernarg_preload_offset 0
		.amdhsa_user_sgpr_private_segment_size 0
		.amdhsa_wavefront_size32 1
		.amdhsa_uses_dynamic_stack 0
		.amdhsa_enable_private_segment 0
		.amdhsa_system_sgpr_workgroup_id_x 1
		.amdhsa_system_sgpr_workgroup_id_y 1
		.amdhsa_system_sgpr_workgroup_id_z 1
		.amdhsa_system_sgpr_workgroup_info 0
		.amdhsa_system_vgpr_workitem_id 0
		.amdhsa_next_free_vgpr 12
		.amdhsa_next_free_sgpr 46
		.amdhsa_named_barrier_count 0
		.amdhsa_reserve_vcc 1
		.amdhsa_float_round_mode_32 0
		.amdhsa_float_round_mode_16_64 0
		.amdhsa_float_denorm_mode_32 3
		.amdhsa_float_denorm_mode_16_64 3
		.amdhsa_fp16_overflow 0
		.amdhsa_memory_ordered 1
		.amdhsa_forward_progress 1
		.amdhsa_inst_pref_size 27
		.amdhsa_round_robin_scheduling 0
		.amdhsa_exception_fp_ieee_invalid_op 0
		.amdhsa_exception_fp_denorm_src 0
		.amdhsa_exception_fp_ieee_div_zero 0
		.amdhsa_exception_fp_ieee_overflow 0
		.amdhsa_exception_fp_ieee_underflow 0
		.amdhsa_exception_fp_ieee_inexact 0
		.amdhsa_exception_int_div_zero 0
	.end_amdhsa_kernel
	.section	.text._ZL33flash_attn_stream_k_fixup_generalILi64ELi2ELi8EEvPfPK15HIP_vector_typeIfLj2EEiiiiS1_IjLj3EES5_S5_S5_,"axG",@progbits,_ZL33flash_attn_stream_k_fixup_generalILi64ELi2ELi8EEvPfPK15HIP_vector_typeIfLj2EEiiiiS1_IjLj3EES5_S5_S5_,comdat
.Lfunc_end12:
	.size	_ZL33flash_attn_stream_k_fixup_generalILi64ELi2ELi8EEvPfPK15HIP_vector_typeIfLj2EEiiiiS1_IjLj3EES5_S5_S5_, .Lfunc_end12-_ZL33flash_attn_stream_k_fixup_generalILi64ELi2ELi8EEvPfPK15HIP_vector_typeIfLj2EEiiiiS1_IjLj3EES5_S5_S5_
                                        ; -- End function
	.set _ZL33flash_attn_stream_k_fixup_generalILi64ELi2ELi8EEvPfPK15HIP_vector_typeIfLj2EEiiiiS1_IjLj3EES5_S5_S5_.num_vgpr, 12
	.set _ZL33flash_attn_stream_k_fixup_generalILi64ELi2ELi8EEvPfPK15HIP_vector_typeIfLj2EEiiiiS1_IjLj3EES5_S5_S5_.num_agpr, 0
	.set _ZL33flash_attn_stream_k_fixup_generalILi64ELi2ELi8EEvPfPK15HIP_vector_typeIfLj2EEiiiiS1_IjLj3EES5_S5_S5_.numbered_sgpr, 46
	.set _ZL33flash_attn_stream_k_fixup_generalILi64ELi2ELi8EEvPfPK15HIP_vector_typeIfLj2EEiiiiS1_IjLj3EES5_S5_S5_.num_named_barrier, 0
	.set _ZL33flash_attn_stream_k_fixup_generalILi64ELi2ELi8EEvPfPK15HIP_vector_typeIfLj2EEiiiiS1_IjLj3EES5_S5_S5_.private_seg_size, 0
	.set _ZL33flash_attn_stream_k_fixup_generalILi64ELi2ELi8EEvPfPK15HIP_vector_typeIfLj2EEiiiiS1_IjLj3EES5_S5_S5_.uses_vcc, 1
	.set _ZL33flash_attn_stream_k_fixup_generalILi64ELi2ELi8EEvPfPK15HIP_vector_typeIfLj2EEiiiiS1_IjLj3EES5_S5_S5_.uses_flat_scratch, 0
	.set _ZL33flash_attn_stream_k_fixup_generalILi64ELi2ELi8EEvPfPK15HIP_vector_typeIfLj2EEiiiiS1_IjLj3EES5_S5_S5_.has_dyn_sized_stack, 0
	.set _ZL33flash_attn_stream_k_fixup_generalILi64ELi2ELi8EEvPfPK15HIP_vector_typeIfLj2EEiiiiS1_IjLj3EES5_S5_S5_.has_recursion, 0
	.set _ZL33flash_attn_stream_k_fixup_generalILi64ELi2ELi8EEvPfPK15HIP_vector_typeIfLj2EEiiiiS1_IjLj3EES5_S5_S5_.has_indirect_call, 0
	.section	.AMDGPU.csdata,"",@progbits
; Kernel info:
; codeLenInByte = 3360
; TotalNumSgprs: 48
; NumVgprs: 12
; ScratchSize: 0
; MemoryBound: 0
; FloatMode: 240
; IeeeMode: 1
; LDSByteSize: 0 bytes/workgroup (compile time only)
; SGPRBlocks: 0
; VGPRBlocks: 0
; NumSGPRsForWavesPerEU: 48
; NumVGPRsForWavesPerEU: 12
; NamedBarCnt: 0
; Occupancy: 16
; WaveLimiterHint : 0
; COMPUTE_PGM_RSRC2:SCRATCH_EN: 0
; COMPUTE_PGM_RSRC2:USER_SGPR: 2
; COMPUTE_PGM_RSRC2:TRAP_HANDLER: 0
; COMPUTE_PGM_RSRC2:TGID_X_EN: 1
; COMPUTE_PGM_RSRC2:TGID_Y_EN: 1
; COMPUTE_PGM_RSRC2:TGID_Z_EN: 1
; COMPUTE_PGM_RSRC2:TIDIG_COMP_CNT: 0
	.section	.text._ZL15flash_attn_tileILi64ELi64ELi1ELi8ELb0EEvPKcS1_S1_S1_S1_PKiPfP15HIP_vector_typeIfLj2EEffffjfiS5_IjLj3EEiiiiiiiiiiiliiliiiiil,"axG",@progbits,_ZL15flash_attn_tileILi64ELi64ELi1ELi8ELb0EEvPKcS1_S1_S1_S1_PKiPfP15HIP_vector_typeIfLj2EEffffjfiS5_IjLj3EEiiiiiiiiiiiliiliiiiil,comdat
	.globl	_ZL15flash_attn_tileILi64ELi64ELi1ELi8ELb0EEvPKcS1_S1_S1_S1_PKiPfP15HIP_vector_typeIfLj2EEffffjfiS5_IjLj3EEiiiiiiiiiiiliiliiiiil ; -- Begin function _ZL15flash_attn_tileILi64ELi64ELi1ELi8ELb0EEvPKcS1_S1_S1_S1_PKiPfP15HIP_vector_typeIfLj2EEffffjfiS5_IjLj3EEiiiiiiiiiiiliiliiiiil
	.p2align	8
	.type	_ZL15flash_attn_tileILi64ELi64ELi1ELi8ELb0EEvPKcS1_S1_S1_S1_PKiPfP15HIP_vector_typeIfLj2EEffffjfiS5_IjLj3EEiiiiiiiiiiiliiliiiiil,@function
_ZL15flash_attn_tileILi64ELi64ELi1ELi8ELb0EEvPKcS1_S1_S1_S1_PKiPfP15HIP_vector_typeIfLj2EEffffjfiS5_IjLj3EEiiiiiiiiiiiliiliiiiil: ; @_ZL15flash_attn_tileILi64ELi64ELi1ELi8ELb0EEvPKcS1_S1_S1_S1_PKiPfP15HIP_vector_typeIfLj2EEffffjfiS5_IjLj3EEiiiiiiiiiiiliiliiiiil
; %bb.0:
	s_clause 0x1
	s_load_b128 s[20:23], s[0:1], 0x5c
	s_load_b64 s[28:29], s[0:1], 0x80
	s_bfe_u32 s5, ttmp6, 0x40014
	s_lshr_b32 s4, ttmp7, 16
	s_add_co_i32 s5, s5, 1
	s_bfe_u32 s6, ttmp6, 0x40008
	s_mul_i32 s5, s4, s5
	s_getreg_b32 s25, hwreg(HW_REG_IB_STS2, 6, 4)
	s_add_co_i32 s6, s6, s5
	s_load_b64 s[36:37], s[0:1], 0xb8
	s_mov_b32 s35, 0
	s_mov_b64 s[30:31], 0
	s_wait_kmcnt 0x0
	s_ashr_i32 s2, s23, 31
	s_delay_alu instid0(SALU_CYCLE_1) | instskip(NEXT) | instid1(SALU_CYCLE_1)
	s_lshr_b32 s2, s2, 29
	s_add_co_i32 s2, s23, s2
	s_delay_alu instid0(SALU_CYCLE_1) | instskip(NEXT) | instid1(SALU_CYCLE_1)
	s_ashr_i32 s2, s2, 3
	s_cvt_f32_u32 s3, s2
	s_sub_co_i32 s7, 0, s2
	s_delay_alu instid0(SALU_CYCLE_2) | instskip(SKIP_1) | instid1(TRANS32_DEP_1)
	v_rcp_iflag_f32_e32 v1, s3
	v_nop
	v_readfirstlane_b32 s3, v1
	s_mul_f32 s3, s3, 0x4f7ffffe
	s_delay_alu instid0(SALU_CYCLE_3) | instskip(NEXT) | instid1(SALU_CYCLE_3)
	s_cvt_u32_f32 s3, s3
	s_mul_i32 s7, s7, s3
	s_delay_alu instid0(SALU_CYCLE_1) | instskip(NEXT) | instid1(SALU_CYCLE_1)
	s_mul_hi_u32 s7, s3, s7
	s_add_co_i32 s3, s3, s7
	s_cmp_eq_u32 s25, 0
	s_cselect_b32 s4, s4, s6
	s_delay_alu instid0(SALU_CYCLE_1) | instskip(NEXT) | instid1(SALU_CYCLE_1)
	s_mul_hi_u32 s3, s4, s3
	s_mul_i32 s5, s3, s2
	s_add_co_i32 s6, s3, 1
	s_sub_co_i32 s5, s4, s5
	s_delay_alu instid0(SALU_CYCLE_1)
	s_sub_co_i32 s7, s5, s2
	s_cmp_ge_u32 s5, s2
	s_cselect_b32 s3, s6, s3
	s_cselect_b32 s5, s7, s5
	s_add_co_i32 s6, s3, 1
	s_cmp_ge_u32 s5, s2
	s_cselect_b32 s2, s6, s3
	s_abs_i32 s3, s29
	s_lshl_b32 s4, s4, 3
	s_cvt_f32_u32 s5, s3
	s_sub_co_i32 s6, 0, s3
	s_mul_i32 s7, s2, s23
	s_abs_i32 s8, s23
	v_rcp_iflag_f32_e32 v1, s5
	s_sub_co_i32 s33, s4, s7
	v_nop
	s_delay_alu instid0(TRANS32_DEP_1) | instskip(SKIP_1) | instid1(SALU_CYCLE_3)
	v_readfirstlane_b32 s5, v1
	s_mul_f32 s5, s5, 0x4f7ffffe
	s_cvt_u32_f32 s5, s5
	s_delay_alu instid0(SALU_CYCLE_3) | instskip(NEXT) | instid1(SALU_CYCLE_1)
	s_mul_i32 s6, s6, s5
	s_mul_hi_u32 s6, s5, s6
	s_delay_alu instid0(SALU_CYCLE_1) | instskip(NEXT) | instid1(SALU_CYCLE_1)
	s_add_co_i32 s5, s5, s6
	s_mul_hi_u32 s4, s8, s5
	s_xor_b32 s5, s23, s29
	s_mul_i32 s6, s4, s3
	s_ashr_i32 s24, s5, 31
	s_sub_co_i32 s5, s8, s6
	s_add_co_i32 s6, s4, 1
	s_sub_co_i32 s7, s5, s3
	s_cmp_ge_u32 s5, s3
	s_cselect_b32 s4, s6, s4
	s_cselect_b32 s5, s7, s5
	s_add_co_i32 s6, s4, 1
	s_cmp_ge_u32 s5, s3
	s_cselect_b32 s3, s6, s4
	s_load_b512 s[4:19], s[0:1], 0x0
	s_xor_b32 s3, s3, s24
	s_delay_alu instid0(SALU_CYCLE_1) | instskip(NEXT) | instid1(SALU_CYCLE_1)
	s_sub_co_i32 s3, s3, s24
	s_abs_i32 s38, s3
	s_delay_alu instid0(SALU_CYCLE_1) | instskip(NEXT) | instid1(SALU_CYCLE_3)
	s_cvt_f32_u32 s24, s38
	v_rcp_iflag_f32_e32 v1, s24
	v_nop
	s_delay_alu instid0(TRANS32_DEP_1)
	v_readfirstlane_b32 s24, v1
	s_wait_kmcnt 0x0
	s_cmp_eq_u64 s[10:11], 0
	s_cbranch_scc1 .LBB13_2
; %bb.1:
	s_abs_i32 s29, s36
	s_abs_i32 s30, s2
	s_cvt_f32_u32 s26, s29
	s_sub_co_i32 s27, 0, s29
	s_delay_alu instid0(SALU_CYCLE_2) | instskip(SKIP_1) | instid1(TRANS32_DEP_1)
	v_rcp_iflag_f32_e32 v1, s26
	v_nop
	v_readfirstlane_b32 s26, v1
	s_mul_f32 s26, s26, 0x4f7ffffe
	s_delay_alu instid0(SALU_CYCLE_3) | instskip(NEXT) | instid1(SALU_CYCLE_3)
	s_cvt_u32_f32 s26, s26
	s_mul_i32 s27, s27, s26
	s_delay_alu instid0(SALU_CYCLE_1) | instskip(NEXT) | instid1(SALU_CYCLE_1)
	s_mul_hi_u32 s27, s26, s27
	s_add_co_i32 s26, s26, s27
	s_delay_alu instid0(SALU_CYCLE_1) | instskip(SKIP_2) | instid1(SALU_CYCLE_1)
	s_mul_hi_u32 s31, s30, s26
	s_load_b64 s[26:27], s[0:1], 0xc8
	s_mul_i32 s31, s31, s29
	s_sub_co_i32 s30, s30, s31
	s_ashr_i32 s31, s2, 31
	s_sub_co_i32 s34, s30, s29
	s_cmp_ge_u32 s30, s29
	s_cselect_b32 s30, s34, s30
	s_delay_alu instid0(SALU_CYCLE_1) | instskip(SKIP_2) | instid1(SALU_CYCLE_1)
	s_sub_co_i32 s34, s30, s29
	s_cmp_ge_u32 s30, s29
	s_cselect_b32 s29, s34, s30
	s_xor_b32 s29, s29, s31
	s_delay_alu instid0(SALU_CYCLE_1) | instskip(NEXT) | instid1(SALU_CYCLE_1)
	s_sub_co_i32 s30, s29, s31
	s_ashr_i32 s31, s30, 31
	s_wait_kmcnt 0x0
	s_mul_u64 s[26:27], s[26:27], s[30:31]
	s_delay_alu instid0(SALU_CYCLE_1)
	s_add_nc_u64 s[30:31], s[10:11], s[26:27]
.LBB13_2:
	s_bfe_u32 s10, ttmp6, 0x4000c
	v_dual_lshrrev_b32 v1, 10, v0 :: v_dual_mov_b32 v3, 0
	s_add_co_i32 s10, s10, 1
	s_and_b32 s11, ttmp6, 15
	s_mul_i32 s10, ttmp9, s10
	s_delay_alu instid0(VALU_DEP_1) | instskip(SKIP_4) | instid1(SALU_CYCLE_1)
	v_bfe_u32 v1, v1, 2, 8
	s_add_co_i32 s11, s11, s10
	s_cmp_eq_u32 s25, 0
	s_load_b96 s[40:42], s[0:1], 0x70
	s_cselect_b32 s10, ttmp9, s11
	v_dual_mov_b32 v25, v3 :: v_dual_add_nc_u32 v62, s10, v1
	v_dual_mov_b32 v7, v3 :: v_dual_mov_b32 v11, v3
	s_delay_alu instid0(VALU_DEP_2) | instskip(NEXT) | instid1(VALU_DEP_1)
	v_mul_hi_u32 v1, s20, v62
	v_add_nc_u32_e32 v1, v62, v1
	s_wait_kmcnt 0x0
	s_mul_i32 s20, s33, s41
	s_ashr_i32 s27, s41, 31
	s_mov_b32 s26, s41
	s_ashr_i32 s41, s40, 31
	v_lshrrev_b32_e32 v1, s21, v1
	s_lshr_b64 s[40:41], s[40:41], 2
	s_lshr_b64 s[26:27], s[26:27], 2
	s_ashr_i32 s21, s20, 31
	s_delay_alu instid0(VALU_DEP_1) | instskip(NEXT) | instid1(VALU_DEP_1)
	v_mul_lo_u32 v1, v1, s22
	v_sub_nc_u32_e32 v2, v62, v1
	v_bfe_u32 v1, v0, 10, 10
	s_delay_alu instid0(VALU_DEP_1) | instskip(NEXT) | instid1(VALU_DEP_3)
	v_lshlrev_b32_e32 v12, 1, v1
	v_mul_u64_e32 v[4:5], s[40:41], v[2:3]
	s_delay_alu instid0(VALU_DEP_2) | instskip(SKIP_1) | instid1(VALU_DEP_2)
	v_and_b32_e32 v24, 6, v12
	v_bitop3_b32 v6, v12, 7, 1 bitop3:0xc8
	v_mul_u64_e32 v[8:9], s[26:27], v[24:25]
	s_delay_alu instid0(VALU_DEP_2)
	v_mul_u64_e32 v[6:7], s[26:27], v[6:7]
	s_mul_i32 s26, s2, s42
	v_and_b32_e32 v25, 0x3ff, v0
	s_ashr_i32 s27, s26, 31
	v_lshlrev_b32_e32 v0, 8, v1
	s_add_nc_u64 s[4:5], s[4:5], s[26:27]
	s_cmp_eq_u64 s[14:15], 0
	s_add_nc_u64 s[4:5], s[4:5], s[20:21]
	v_lshlrev_b32_e32 v10, 3, v25
	v_lshl_or_b32 v3, v25, 2, 0x5000
	v_lshl_add_u64 v[4:5], v[4:5], 2, s[4:5]
	s_load_b32 s4, s[0:1], 0x40
	s_delay_alu instid0(VALU_DEP_1) | instskip(NEXT) | instid1(VALU_DEP_1)
	v_add_nc_u64_e32 v[4:5], v[4:5], v[10:11]
	v_lshl_add_u64 v[8:9], v[8:9], 2, v[4:5]
	v_lshl_add_u64 v[4:5], v[6:7], 2, v[4:5]
	s_clause 0x1
	global_load_b64 v[6:7], v[8:9], off
	global_load_b64 v[10:11], v[4:5], off
	s_wait_xcnt 0x1
	v_or_b32_e32 v8, 1, v12
	s_wait_loadcnt 0x1
	s_wait_kmcnt 0x0
	v_fma_mixlo_f16 v4, s4, v7, 0
	v_fma_mixlo_f16 v5, s4, v6, 0
	s_wait_loadcnt 0x0
	v_fma_mixlo_f16 v6, s4, v11, 0
	v_fma_mixlo_f16 v7, s4, v10, 0
	v_lshlrev_b32_e32 v4, 16, v4
	v_and_b32_e32 v5, 0xffff, v5
	s_delay_alu instid0(VALU_DEP_4) | instskip(NEXT) | instid1(VALU_DEP_4)
	v_lshlrev_b32_e32 v6, 16, v6
	v_and_b32_e32 v7, 0xffff, v7
	v_add_nc_u32_e32 v9, v3, v0
	v_lshl_add_u32 v3, v8, 7, v3
	v_or_b32_e32 v4, v4, v5
	s_delay_alu instid0(VALU_DEP_4)
	v_or_b32_e32 v5, v6, v7
	ds_store_b32 v9, v4
	ds_store_b32 v3, v5
	s_wait_dscnt 0x0
	s_barrier_signal -1
	s_barrier_wait -1
	s_cbranch_scc1 .LBB13_4
; %bb.3:
	s_load_b32 s4, s[0:1], 0xd0
	s_wait_kmcnt 0x0
	s_mul_i32 s4, s4, s2
	s_delay_alu instid0(SALU_CYCLE_1)
	s_add_co_i32 s4, s4, s10
	s_load_b32 s28, s[14:15], s4 offset:0x0 scale_offset
.LBB13_4:
	s_wait_xcnt 0x0
	s_bfe_u32 s4, ttmp6, 0x40010
	s_and_b32 s5, ttmp7, 0xffff
	s_add_co_i32 s4, s4, 1
	s_bfe_u32 s10, ttmp6, 0x40004
	s_mul_i32 s4, s5, s4
	v_mbcnt_lo_u32_b32 v63, -1, 0
	s_add_co_i32 s10, s10, s4
	s_cmp_eq_u32 s25, 0
	s_cselect_b32 s29, s5, s10
	s_mov_b32 s5, 0
	s_lshl_b32 s4, s29, 7
	s_wait_kmcnt 0x0
	s_cmp_lt_i32 s4, s28
	s_cbranch_scc1 .LBB13_7
; %bb.5:
	v_mbcnt_lo_u32_b32 v3, -1, 0
	s_delay_alu instid0(VALU_DEP_1)
	v_dual_mov_b32 v65, 32 :: v_dual_bitop2_b32 v71, 16, v3 bitop3:0x14
	v_xor_b32_e32 v70, 8, v3
	v_xor_b32_e32 v69, 4, v3
	;; [unrolled: 1-line block ×4, first 2 shown]
	s_and_not1_b32 vcc_lo, exec_lo, s5
	s_cbranch_vccz .LBB13_8
; %bb.6:
	v_dual_mov_b32 v53, 0 :: v_dual_mov_b32 v101, 0
	v_dual_mov_b32 v5, 0xfeffffff :: v_dual_mov_b32 v4, 0xfeffffff
	s_delay_alu instid0(VALU_DEP_2)
	v_dual_lshlrev_b32 v8, 1, v25 :: v_dual_mov_b32 v52, v53
	v_mov_b32_e32 v100, 0
	s_branch .LBB13_11
.LBB13_7:
                                        ; implicit-def: $vgpr3
                                        ; implicit-def: $vgpr65
                                        ; implicit-def: $vgpr71
                                        ; implicit-def: $vgpr70
                                        ; implicit-def: $vgpr69
                                        ; implicit-def: $vgpr68
                                        ; implicit-def: $vgpr67
.LBB13_8:
	s_mul_f32 s5, s24, 0x4f7ffffe
	s_clause 0x1
	s_load_b128 s[24:27], s[0:1], 0x98
	s_load_b64 s[14:15], s[0:1], 0x8c
	s_sub_co_i32 s10, 0, s38
	s_ashr_i32 s36, s3, 31
	s_cvt_u32_f32 s20, s5
	s_abs_i32 s34, s33
	s_mov_b32 s11, s35
	s_ashr_i32 s21, s33, 31
	s_mul_i32 s10, s10, s20
	s_ashr_i32 s5, s37, 1
	s_mul_hi_u32 s3, s20, s10
	v_mad_u32 v75, v2, s5, v25
	s_add_co_i32 s10, s20, s3
	s_ashr_i32 s3, s2, 31
	s_mul_u64 s[10:11], s[34:35], s[10:11]
	s_xor_b32 s35, s21, s36
	s_mul_i32 s10, s11, s38
	s_add_co_i32 s36, s11, 1
	s_sub_co_i32 s34, s34, s10
	s_load_b64 s[20:21], s[0:1], 0xa8
	s_wait_kmcnt 0x0
	s_ashr_i32 s10, s26, 2
	s_ashr_i32 s14, s14, 2
	s_sub_co_i32 s26, s34, s38
	s_cmp_ge_u32 s34, s38
	s_mul_u64 s[24:25], s[24:25], s[2:3]
	s_cselect_b32 s11, s36, s11
	s_cselect_b32 s26, s26, s34
	s_add_co_i32 s34, s11, 1
	s_cmp_ge_u32 s26, s38
	v_lshl_add_u32 v76, v1, 9, 0x4800
	s_cselect_b32 s11, s34, s11
	s_lshl_b32 s26, s14, 4
	v_lshrrev_b32_e32 v3, 3, v25
	s_xor_b32 s11, s11, s35
	s_add_nc_u64 s[6:7], s[6:7], s[24:25]
	s_sub_co_i32 s11, s11, s35
	v_mul_u32_u24_e32 v73, 0x90, v25
	v_lshl_add_u32 v3, v1, 2, v3
	s_mul_i32 s34, s11, s15
	s_mul_u64 s[20:21], s[20:21], s[2:3]
	s_lshl_b32 s3, s10, 4
	s_mul_i32 s24, s11, s27
	v_mul_lo_u32 v26, s14, v3
	v_mul_lo_u32 v34, s10, v3
	v_xor_b32_e32 v70, 8, v63
	v_xor_b32_e32 v69, 4, v63
	;; [unrolled: 1-line block ×4, first 2 shown]
	s_ashr_i32 s35, s34, 31
	s_add_nc_u64 s[8:9], s[8:9], s[20:21]
	s_ashr_i32 s25, s24, 31
	s_add_nc_u64 s[6:7], s[6:7], s[34:35]
	s_add_nc_u64 s[8:9], s[8:9], s[24:25]
	v_dual_add_nc_u32 v28, s26, v26 :: v_dual_lshlrev_b32 v64, 2, v25
	v_add_nc_u32_e32 v42, s3, v34
	s_ashr_i32 s15, s14, 31
	s_ashr_i32 s11, s10, 31
	s_delay_alu instid0(VALU_DEP_2)
	v_add_nc_u32_e32 v30, s26, v28
	v_and_b32_e32 v6, 28, v64
	v_ashrrev_i32_e32 v29, 31, v28
	v_mov_b32_e32 v5, 0xfeffffff
	v_dual_add_nc_u32 v84, v76, v64 :: v_dual_bitop2_b32 v71, 16, v63 bitop3:0x14
	v_add_nc_u32_e32 v32, s26, v30
	v_lshlrev_b32_e32 v4, 2, v6
	v_ashrrev_i32_e32 v27, 31, v26
	v_lshlrev_b32_e32 v40, 2, v6
	v_add_nc_u32_e32 v85, 0x400, v64
	v_dual_mov_b32 v41, 0 :: v_dual_add_nc_u32 v36, s26, v32
	v_lshl_or_b32 v74, v3, 7, v4
	v_mad_u32_u24 v66, 0x90, v3, v4
	v_ashrrev_i32_e32 v33, 31, v32
	s_delay_alu instid0(VALU_DEP_4) | instskip(SKIP_2) | instid1(VALU_DEP_3)
	v_dual_add_nc_u32 v38, s26, v36 :: v_dual_ashrrev_i32 v37, 31, v36
	v_dual_mov_b32 v53, v41 :: v_dual_add_nc_u32 v72, 0x5000, v0
	v_dual_mov_b32 v52, v41 :: v_dual_add_nc_u32 v77, 0x800, v74
	v_add_nc_u32_e32 v44, s26, v38
	v_add_nc_u32_e32 v46, s3, v42
	v_ashrrev_i32_e32 v31, 31, v30
	v_dual_mov_b32 v65, 32 :: v_dual_add_nc_u32 v78, 0x1000, v74
	s_delay_alu instid0(VALU_DEP_3) | instskip(SKIP_3) | instid1(VALU_DEP_3)
	v_dual_ashrrev_i32 v45, 31, v44 :: v_dual_add_nc_u32 v50, s3, v46
	v_dual_ashrrev_i32 v47, 31, v46 :: v_dual_add_nc_u32 v48, s26, v44
	v_ashrrev_i32_e32 v39, 31, v38
	v_dual_mov_b32 v100, v41 :: v_dual_add_nc_u32 v79, 0x1800, v74
	v_dual_add_nc_u32 v54, s3, v50 :: v_dual_ashrrev_i32 v49, 31, v48
	v_dual_mov_b32 v4, 0xfeffffff :: v_dual_ashrrev_i32 v51, 31, v50
	v_dual_mov_b32 v101, v41 :: v_dual_add_nc_u32 v80, 0x2000, v74
	s_delay_alu instid0(VALU_DEP_3)
	v_add_nc_u32_e32 v56, s3, v54
	v_add_nc_u32_e32 v81, 0x2800, v74
	;; [unrolled: 1-line block ×5, first 2 shown]
	v_dual_add_nc_u32 v58, s3, v56 :: v_dual_ashrrev_i32 v55, 31, v54
	v_dual_ashrrev_i32 v35, 31, v34 :: v_dual_ashrrev_i32 v57, 31, v56
	v_add_nc_u32_e32 v87, 0xc00, v64
	s_delay_alu instid0(VALU_DEP_3) | instskip(SKIP_3) | instid1(VALU_DEP_4)
	v_dual_add_nc_u32 v60, s3, v58 :: v_dual_ashrrev_i32 v59, 31, v58
	v_ashrrev_i32_e32 v43, 31, v42
	v_add_nc_u32_e32 v88, 0x1000, v64
	v_add_nc_u32_e32 v89, 0x1400, v64
	v_ashrrev_i32_e32 v61, 31, v60
	v_add_nc_u32_e32 v90, 0x1800, v64
	v_add_nc_u32_e32 v91, 0x1c00, v64
	;; [unrolled: 1-line block ×10, first 2 shown]
	s_add_nc_u64 s[20:21], s[0:1], 0xd0
.LBB13_9:                               ; =>This Inner Loop Header: Depth=1
	s_ashr_i32 s5, s4, 31
	v_dual_mov_b32 v102, v5 :: v_dual_mov_b32 v103, v4
	s_mul_u64 s[24:25], s[4:5], s[14:15]
	v_dual_mov_b32 v105, 0 :: v_dual_add_nc_u32 v4, 0x900, v66
	s_lshl_b64 s[24:25], s[24:25], 2
	v_cmp_gt_i32_e32 vcc_lo, 32, v71
	s_add_nc_u64 s[24:25], s[6:7], s[24:25]
	v_mov_b32_e32 v104, 0
	v_lshl_add_u64 v[0:1], v[26:27], 2, s[24:25]
	s_delay_alu instid0(VALU_DEP_1) | instskip(SKIP_4) | instid1(VALU_DEP_1)
	v_add_nc_u64_e32 v[0:1], v[0:1], v[40:41]
	global_load_b128 v[0:3], v[0:1], off
	s_wait_loadcnt 0x0
	ds_store_b128 v66, v[0:3]
	v_lshl_add_u64 v[0:1], v[28:29], 2, s[24:25]
	v_add_nc_u64_e32 v[0:1], v[0:1], v[40:41]
	global_load_b128 v[0:3], v[0:1], off
	s_wait_loadcnt 0x0
	ds_store_b128 v4, v[0:3]
	v_lshl_add_u64 v[0:1], v[30:31], 2, s[24:25]
	v_add_nc_u32_e32 v4, 0x1200, v66
	s_delay_alu instid0(VALU_DEP_2)
	v_add_nc_u64_e32 v[0:1], v[0:1], v[40:41]
	global_load_b128 v[0:3], v[0:1], off
	s_wait_loadcnt 0x0
	ds_store_b128 v4, v[0:3]
	v_lshl_add_u64 v[0:1], v[32:33], 2, s[24:25]
	v_add_nc_u32_e32 v4, 0x1b00, v66
	s_delay_alu instid0(VALU_DEP_2)
	;; [unrolled: 7-line block ×5, first 2 shown]
	v_add_nc_u64_e32 v[0:1], v[0:1], v[40:41]
	global_load_b128 v[0:3], v[0:1], off
	s_wait_loadcnt 0x0
	ds_store_b128 v4, v[0:3]
	v_lshl_add_u64 v[0:1], v[48:49], 2, s[24:25]
	v_add_nc_u32_e32 v4, 0x3f00, v66
	s_mul_u64 s[24:25], s[4:5], s[10:11]
	s_delay_alu instid0(SALU_CYCLE_1) | instskip(NEXT) | instid1(VALU_DEP_2)
	s_lshl_b64 s[24:25], s[24:25], 2
	v_add_nc_u64_e32 v[0:1], v[0:1], v[40:41]
	s_add_nc_u64 s[24:25], s[8:9], s[24:25]
	global_load_b128 v[0:3], v[0:1], off
	s_wait_loadcnt 0x0
	ds_store_b128 v4, v[0:3]
	s_wait_dscnt 0x0
	s_barrier_signal -1
	s_barrier_wait -1
	ds_load_b128 v[20:23], v73
	ds_load_b128 v[16:19], v73 offset:4608
	ds_load_b128 v[12:15], v73 offset:9216
	;; [unrolled: 1-line block ×3, first 2 shown]
	ds_load_b128 v[8:11], v72
	ds_load_b128 v[4:7], v72 offset:128
	s_wait_dscnt 0x1
	;;#ASMSTART
	v_dot2_f32_f16 v104, v20, v8, v104
	;;#ASMEND
	;;#ASMSTART
	v_dot2_f32_f16 v104, v21, v9, v104
	;;#ASMEND
	;; [unrolled: 3-line block ×4, first 2 shown]
	s_wait_dscnt 0x0
	;;#ASMSTART
	v_dot2_f32_f16 v105, v20, v4, v105
	;;#ASMEND
	;;#ASMSTART
	v_dot2_f32_f16 v105, v21, v5, v105
	;;#ASMEND
	;;#ASMSTART
	v_dot2_f32_f16 v105, v22, v6, v105
	;;#ASMEND
	v_mov_b32_e32 v21, 0
	;;#ASMSTART
	v_dot2_f32_f16 v105, v23, v7, v105
	;;#ASMEND
	;;#ASMSTART
	v_dot2_f32_f16 v21, v16, v8, v21
	;;#ASMEND
	;;#ASMSTART
	v_dot2_f32_f16 v21, v17, v9, v21
	;;#ASMEND
	;;#ASMSTART
	v_dot2_f32_f16 v21, v18, v10, v21
	;;#ASMEND
	v_mov_b32_e32 v20, 0
	;;#ASMSTART
	v_dot2_f32_f16 v21, v19, v11, v21
	;;#ASMEND
	;; [unrolled: 13-line block ×6, first 2 shown]
	;;#ASMSTART
	v_dot2_f32_f16 v8, v0, v4, v8
	;;#ASMEND
	;;#ASMSTART
	v_dot2_f32_f16 v8, v1, v5, v8
	;;#ASMEND
	;; [unrolled: 3-line block ×4, first 2 shown]
	ds_load_b128 v[0:3], v73 offset:16
	ds_load_b128 v[4:7], v73 offset:4624
	;; [unrolled: 1-line block ×6, first 2 shown]
	s_wait_dscnt 0x1
	;;#ASMSTART
	v_dot2_f32_f16 v104, v0, v114, v104
	;;#ASMEND
	;;#ASMSTART
	v_dot2_f32_f16 v104, v1, v115, v104
	;;#ASMEND
	;; [unrolled: 3-line block ×4, first 2 shown]
	s_wait_dscnt 0x0
	;;#ASMSTART
	v_dot2_f32_f16 v105, v0, v118, v105
	;;#ASMEND
	;;#ASMSTART
	v_dot2_f32_f16 v105, v1, v119, v105
	;;#ASMEND
	;; [unrolled: 3-line block ×28, first 2 shown]
	ds_load_b128 v[0:3], v73 offset:32
	ds_load_b128 v[4:7], v73 offset:4640
	;; [unrolled: 1-line block ×6, first 2 shown]
	s_wait_dscnt 0x1
	;;#ASMSTART
	v_dot2_f32_f16 v104, v0, v114, v104
	;;#ASMEND
	;;#ASMSTART
	v_dot2_f32_f16 v104, v1, v115, v104
	;;#ASMEND
	;; [unrolled: 3-line block ×4, first 2 shown]
	s_wait_dscnt 0x0
	;;#ASMSTART
	v_dot2_f32_f16 v105, v0, v118, v105
	;;#ASMEND
	;;#ASMSTART
	v_dot2_f32_f16 v105, v1, v119, v105
	;;#ASMEND
	;; [unrolled: 3-line block ×28, first 2 shown]
	ds_load_b128 v[0:3], v73 offset:48
	ds_load_b128 v[4:7], v73 offset:4656
	;; [unrolled: 1-line block ×6, first 2 shown]
	s_wait_dscnt 0x1
	;;#ASMSTART
	v_dot2_f32_f16 v104, v0, v114, v104
	;;#ASMEND
	;;#ASMSTART
	v_dot2_f32_f16 v104, v1, v115, v104
	;;#ASMEND
	;; [unrolled: 3-line block ×4, first 2 shown]
	s_wait_dscnt 0x0
	;;#ASMSTART
	v_dot2_f32_f16 v105, v0, v118, v105
	;;#ASMEND
	;;#ASMSTART
	v_dot2_f32_f16 v105, v1, v119, v105
	;;#ASMEND
	;; [unrolled: 3-line block ×28, first 2 shown]
	ds_load_b128 v[0:3], v73 offset:64
	ds_load_b128 v[4:7], v73 offset:4672
	;; [unrolled: 1-line block ×6, first 2 shown]
	s_wait_dscnt 0x1
	;;#ASMSTART
	v_dot2_f32_f16 v104, v0, v114, v104
	;;#ASMEND
	;;#ASMSTART
	v_dot2_f32_f16 v104, v1, v115, v104
	;;#ASMEND
	;;#ASMSTART
	v_dot2_f32_f16 v104, v2, v116, v104
	;;#ASMEND
	;;#ASMSTART
	v_dot2_f32_f16 v104, v3, v117, v104
	;;#ASMEND
	s_wait_dscnt 0x0
	;;#ASMSTART
	v_dot2_f32_f16 v105, v0, v118, v105
	;;#ASMEND
	;;#ASMSTART
	v_dot2_f32_f16 v105, v1, v119, v105
	;;#ASMEND
	;; [unrolled: 3-line block ×28, first 2 shown]
	ds_load_b128 v[0:3], v73 offset:80
	ds_load_b128 v[4:7], v73 offset:4688
	;; [unrolled: 1-line block ×6, first 2 shown]
	s_wait_dscnt 0x1
	;;#ASMSTART
	v_dot2_f32_f16 v104, v0, v114, v104
	;;#ASMEND
	;;#ASMSTART
	v_dot2_f32_f16 v104, v1, v115, v104
	;;#ASMEND
	;; [unrolled: 3-line block ×4, first 2 shown]
	s_wait_dscnt 0x0
	;;#ASMSTART
	v_dot2_f32_f16 v105, v0, v118, v105
	;;#ASMEND
	;;#ASMSTART
	v_dot2_f32_f16 v105, v1, v119, v105
	;;#ASMEND
	;; [unrolled: 3-line block ×28, first 2 shown]
	ds_load_b128 v[0:3], v73 offset:96
	ds_load_b128 v[4:7], v73 offset:4704
	;; [unrolled: 1-line block ×6, first 2 shown]
	s_wait_dscnt 0x1
	;;#ASMSTART
	v_dot2_f32_f16 v104, v0, v114, v104
	;;#ASMEND
	;;#ASMSTART
	v_dot2_f32_f16 v104, v1, v115, v104
	;;#ASMEND
	;; [unrolled: 3-line block ×4, first 2 shown]
	s_wait_dscnt 0x0
	;;#ASMSTART
	v_dot2_f32_f16 v105, v0, v118, v105
	;;#ASMEND
	;;#ASMSTART
	v_dot2_f32_f16 v105, v1, v119, v105
	;;#ASMEND
	;; [unrolled: 3-line block ×28, first 2 shown]
	ds_load_b128 v[0:3], v73 offset:112
	ds_load_b128 v[4:7], v73 offset:4720
	ds_load_b128 v[106:109], v73 offset:9328
	ds_load_b128 v[110:113], v73 offset:13936
	ds_load_b128 v[114:117], v72 offset:112
	ds_load_b128 v[118:121], v72 offset:240
	s_wait_dscnt 0x1
	;;#ASMSTART
	v_dot2_f32_f16 v104, v0, v114, v104
	;;#ASMEND
	;;#ASMSTART
	v_dot2_f32_f16 v104, v1, v115, v104
	;;#ASMEND
	;; [unrolled: 3-line block ×4, first 2 shown]
	s_wait_dscnt 0x0
	;;#ASMSTART
	v_dot2_f32_f16 v105, v0, v118, v105
	;;#ASMEND
	;;#ASMSTART
	v_dot2_f32_f16 v105, v1, v119, v105
	;;#ASMEND
	v_cndmask_b32_e32 v1, v63, v71, vcc_lo
	v_cmp_gt_i32_e32 vcc_lo, 32, v70
	;;#ASMSTART
	v_dot2_f32_f16 v105, v2, v120, v105
	;;#ASMEND
	;;#ASMSTART
	v_dot2_f32_f16 v105, v3, v121, v105
	;;#ASMEND
	;; [unrolled: 3-line block ×3, first 2 shown]
	v_dual_cndmask_b32 v2, v63, v70 :: v_dual_lshlrev_b32 v1, 2, v1
	v_cmp_gt_i32_e32 vcc_lo, 32, v69
	;;#ASMSTART
	v_dot2_f32_f16 v21, v5, v115, v21
	;;#ASMEND
	;;#ASMSTART
	v_dot2_f32_f16 v21, v6, v116, v21
	;;#ASMEND
	;; [unrolled: 3-line block ×4, first 2 shown]
	v_cndmask_b32_e32 v3, v63, v69, vcc_lo
	v_cmp_gt_i32_e32 vcc_lo, 32, v68
	;;#ASMSTART
	v_dot2_f32_f16 v20, v5, v119, v20
	;;#ASMEND
	;;#ASMSTART
	v_dot2_f32_f16 v20, v6, v120, v20
	;;#ASMEND
	;; [unrolled: 3-line block ×6, first 2 shown]
	v_cndmask_b32_e32 v4, v63, v68, vcc_lo
	v_cmp_gt_i32_e32 vcc_lo, 32, v67
	;;#ASMSTART
	v_dot2_f32_f16 v17, v109, v117, v17
	;;#ASMEND
	;;#ASMSTART
	v_dot2_f32_f16 v16, v106, v118, v16
	;;#ASMEND
	;; [unrolled: 3-line block ×7, first 2 shown]
	v_dual_add_nc_u32 v0, s4, v75 :: v_dual_lshlrev_b32 v5, 2, v4
	v_cndmask_b32_e32 v4, v63, v67, vcc_lo
	;;#ASMSTART
	v_dot2_f32_f16 v12, v112, v116, v12
	;;#ASMEND
	;;#ASMSTART
	v_dot2_f32_f16 v12, v113, v117, v12
	;;#ASMEND
	;; [unrolled: 3-line block ×6, first 2 shown]
	v_lshlrev_b32_e32 v6, 2, v4
	s_clause 0x1
	global_load_u16 v4, v0, s[30:31] scale_offset
	global_load_u16 v10, v0, s[30:31] offset:64 scale_offset
	v_dual_lshlrev_b32 v2, 2, v2 :: v_dual_lshlrev_b32 v3, 2, v3
	s_wait_loadcnt 0x1
	v_cvt_f32_f16_e32 v7, v4
	s_wait_loadcnt 0x0
	v_cvt_f32_f16_e32 v10, v10
	s_delay_alu instid0(VALU_DEP_1) | instskip(NEXT) | instid1(VALU_DEP_1)
	v_dual_add_f32 v9, v104, v7 :: v_dual_add_f32 v11, v21, v10
	v_dual_add_f32 v4, 0x40051340, v9 :: v_dual_add_f32 v13, 0x40051340, v11
	s_delay_alu instid0(VALU_DEP_1)
	v_max3_num_f32 v4, v103, v4, v13
	s_clause 0x1
	global_load_u16 v13, v0, s[30:31] offset:128 scale_offset
	global_load_u16 v0, v0, s[30:31] offset:192 scale_offset
	s_wait_loadcnt 0x0
	s_barrier_signal -1
	s_barrier_wait -1
	v_cvt_f32_f16_e32 v13, v13
	s_wait_xcnt 0x0
	v_cvt_f32_f16_e32 v0, v0
	s_delay_alu instid0(VALU_DEP_1) | instskip(SKIP_1) | instid1(VALU_DEP_2)
	v_dual_add_f32 v14, v17, v13 :: v_dual_add_f32 v12, v12, v0
	v_add_f32_e32 v13, v16, v13
	v_dual_add_f32 v16, v8, v0 :: v_dual_add_f32 v15, 0x40051340, v14
	s_delay_alu instid0(VALU_DEP_3) | instskip(NEXT) | instid1(VALU_DEP_2)
	v_add_f32_e32 v17, 0x40051340, v12
	v_add_f32_e32 v0, 0x40051340, v16
	s_delay_alu instid0(VALU_DEP_2) | instskip(SKIP_4) | instid1(VALU_DEP_1)
	v_max3_num_f32 v4, v4, v15, v17
	v_dual_add_f32 v17, v20, v10 :: v_dual_add_f32 v7, v105, v7
	ds_bpermute_b32 v15, v1, v4
	s_wait_dscnt 0x0
	v_dual_add_f32 v10, 0x40051340, v17 :: v_dual_max_num_f32 v15, v15, v15
	v_max_num_f32_e32 v4, v4, v15
	ds_bpermute_b32 v15, v2, v4
	s_wait_dscnt 0x0
	v_max_num_f32_e32 v15, v15, v15
	s_delay_alu instid0(VALU_DEP_1) | instskip(SKIP_3) | instid1(VALU_DEP_1)
	v_max_num_f32_e32 v4, v4, v15
	ds_bpermute_b32 v15, v3, v4
	s_wait_dscnt 0x0
	v_max_num_f32_e32 v15, v15, v15
	v_max_num_f32_e32 v4, v4, v15
	ds_bpermute_b32 v15, v5, v4
	s_wait_dscnt 0x0
	v_max_num_f32_e32 v15, v15, v15
	s_delay_alu instid0(VALU_DEP_1) | instskip(SKIP_3) | instid1(VALU_DEP_1)
	v_max_num_f32_e32 v4, v4, v15
	ds_bpermute_b32 v15, v6, v4
	s_wait_dscnt 0x0
	v_max_num_f32_e32 v15, v15, v15
	v_max_num_f32_e32 v4, v4, v15
	v_add_f32_e32 v15, 0x40051340, v7
	s_delay_alu instid0(VALU_DEP_1) | instskip(SKIP_1) | instid1(VALU_DEP_1)
	v_max3_num_f32 v10, v102, v15, v10
	v_add_f32_e32 v15, 0x40051340, v13
	v_max3_num_f32 v0, v10, v15, v0
	ds_bpermute_b32 v1, v1, v0
	s_wait_dscnt 0x0
	v_max_num_f32_e32 v1, v1, v1
	s_delay_alu instid0(VALU_DEP_1) | instskip(SKIP_3) | instid1(VALU_DEP_1)
	v_max_num_f32_e32 v0, v0, v1
	ds_bpermute_b32 v1, v2, v0
	s_wait_dscnt 0x0
	v_max_num_f32_e32 v1, v1, v1
	v_max_num_f32_e32 v0, v0, v1
	ds_bpermute_b32 v1, v3, v0
	s_wait_dscnt 0x0
	v_max_num_f32_e32 v1, v1, v1
	s_delay_alu instid0(VALU_DEP_1) | instskip(SKIP_3) | instid1(VALU_DEP_1)
	v_max_num_f32_e32 v0, v0, v1
	ds_bpermute_b32 v1, v5, v0
	s_wait_dscnt 0x0
	v_max_num_f32_e32 v1, v1, v1
	v_max_num_f32_e32 v0, v0, v1
	ds_bpermute_b32 v1, v6, v0
	s_wait_dscnt 0x0
	v_max_num_f32_e32 v1, v1, v1
	s_delay_alu instid0(VALU_DEP_1) | instskip(SKIP_1) | instid1(VALU_DEP_1)
	v_dual_max_num_f32 v5, v0, v1 :: v_dual_sub_f32 v1, v103, v4
	v_sub_f32_e32 v0, v9, v4
	v_mul_f32_e32 v2, 0x3fb8aa3b, v0
	s_delay_alu instid0(VALU_DEP_1) | instskip(SKIP_1) | instid1(VALU_DEP_1)
	v_fma_f32 v3, 0x3fb8aa3b, v0, -v2
	v_rndne_f32_e32 v6, v2
	v_sub_f32_e32 v2, v2, v6
	v_cmp_ngt_f32_e32 vcc_lo, 0xc2ce8ed0, v0
	s_delay_alu instid0(VALU_DEP_4) | instskip(NEXT) | instid1(VALU_DEP_1)
	v_fmac_f32_e32 v3, 0x32a5705f, v0
	v_add_f32_e32 v2, v2, v3
	v_cvt_i32_f32_e32 v3, v6
	s_delay_alu instid0(VALU_DEP_2) | instskip(SKIP_1) | instid1(TRANS32_DEP_1)
	v_exp_f32_e32 v2, v2
	v_nop
	v_ldexp_f32 v2, v2, v3
	s_delay_alu instid0(VALU_DEP_1) | instskip(SKIP_1) | instid1(VALU_DEP_2)
	v_cndmask_b32_e32 v2, 0, v2, vcc_lo
	v_cmp_nlt_f32_e32 vcc_lo, 0x42b17218, v0
	v_cndmask_b32_e32 v0, 0x7f800000, v2, vcc_lo
	v_dual_sub_f32 v2, v11, v4 :: v_dual_sub_f32 v11, v102, v5
	s_delay_alu instid0(VALU_DEP_1) | instskip(SKIP_1) | instid1(VALU_DEP_2)
	v_mul_f32_e32 v3, 0x3fb8aa3b, v2
	v_cmp_ngt_f32_e32 vcc_lo, 0xc2ce8ed0, v2
	v_fma_f32 v6, 0x3fb8aa3b, v2, -v3
	v_rndne_f32_e32 v8, v3
	s_delay_alu instid0(VALU_DEP_1) | instskip(NEXT) | instid1(VALU_DEP_1)
	v_dual_fmac_f32 v6, 0x32a5705f, v2 :: v_dual_sub_f32 v3, v3, v8
	v_add_f32_e32 v3, v3, v6
	v_cvt_i32_f32_e32 v6, v8
	s_delay_alu instid0(VALU_DEP_2) | instskip(SKIP_1) | instid1(TRANS32_DEP_1)
	v_exp_f32_e32 v3, v3
	v_nop
	v_ldexp_f32 v3, v3, v6
	s_delay_alu instid0(VALU_DEP_1) | instskip(SKIP_1) | instid1(VALU_DEP_2)
	v_cndmask_b32_e32 v3, 0, v3, vcc_lo
	v_cmp_nlt_f32_e32 vcc_lo, 0x42b17218, v2
	v_dual_cndmask_b32 v2, 0x7f800000, v3 :: v_dual_sub_f32 v3, v14, v4
	s_delay_alu instid0(VALU_DEP_1) | instskip(SKIP_1) | instid1(VALU_DEP_2)
	v_mul_f32_e32 v6, 0x3fb8aa3b, v3
	v_cmp_ngt_f32_e32 vcc_lo, 0xc2ce8ed0, v3
	v_fma_f32 v8, 0x3fb8aa3b, v3, -v6
	v_rndne_f32_e32 v9, v6
	s_delay_alu instid0(VALU_DEP_2) | instskip(NEXT) | instid1(VALU_DEP_2)
	v_fmac_f32_e32 v8, 0x32a5705f, v3
	v_sub_f32_e32 v6, v6, v9
	s_delay_alu instid0(VALU_DEP_1) | instskip(SKIP_1) | instid1(VALU_DEP_2)
	v_add_f32_e32 v6, v6, v8
	v_cvt_i32_f32_e32 v8, v9
	v_exp_f32_e32 v6, v6
	v_nop
	s_delay_alu instid0(TRANS32_DEP_1) | instskip(NEXT) | instid1(VALU_DEP_1)
	v_ldexp_f32 v6, v6, v8
	v_cndmask_b32_e32 v6, 0, v6, vcc_lo
	v_cmp_nlt_f32_e32 vcc_lo, 0x42b17218, v3
	v_sub_f32_e32 v3, v12, v4
	s_delay_alu instid0(VALU_DEP_1) | instskip(NEXT) | instid1(VALU_DEP_1)
	v_mul_f32_e32 v8, 0x3fb8aa3b, v3
	v_fma_f32 v9, 0x3fb8aa3b, v3, -v8
	v_rndne_f32_e32 v10, v8
	s_delay_alu instid0(VALU_DEP_1) | instskip(NEXT) | instid1(VALU_DEP_1)
	v_dual_fmac_f32 v9, 0x32a5705f, v3 :: v_dual_sub_f32 v8, v8, v10
	v_add_f32_e32 v8, v8, v9
	v_cvt_i32_f32_e32 v9, v10
	v_cndmask_b32_e32 v6, 0x7f800000, v6, vcc_lo
	v_cmp_ngt_f32_e32 vcc_lo, 0xc2ce8ed0, v3
	s_delay_alu instid0(VALU_DEP_4) | instskip(SKIP_1) | instid1(TRANS32_DEP_1)
	v_exp_f32_e32 v8, v8
	v_nop
	v_ldexp_f32 v8, v8, v9
	s_delay_alu instid0(VALU_DEP_1) | instskip(SKIP_2) | instid1(VALU_DEP_3)
	v_cndmask_b32_e32 v8, 0, v8, vcc_lo
	v_cmp_nlt_f32_e32 vcc_lo, 0x42b17218, v3
	v_mul_f32_e32 v3, 0x3fb8aa3b, v1
	v_cndmask_b32_e32 v8, 0x7f800000, v8, vcc_lo
	s_delay_alu instid0(VALU_DEP_2) | instskip(SKIP_2) | instid1(VALU_DEP_3)
	v_fma_f32 v9, 0x3fb8aa3b, v1, -v3
	v_rndne_f32_e32 v10, v3
	v_cmp_ngt_f32_e32 vcc_lo, 0xc2ce8ed0, v1
	v_fmac_f32_e32 v9, 0x32a5705f, v1
	s_delay_alu instid0(VALU_DEP_3) | instskip(NEXT) | instid1(VALU_DEP_1)
	v_sub_f32_e32 v3, v3, v10
	v_add_f32_e32 v3, v3, v9
	v_cvt_i32_f32_e32 v9, v10
	s_delay_alu instid0(VALU_DEP_2) | instskip(SKIP_1) | instid1(TRANS32_DEP_1)
	v_exp_f32_e32 v3, v3
	v_nop
	v_ldexp_f32 v3, v3, v9
	s_delay_alu instid0(VALU_DEP_1) | instskip(SKIP_1) | instid1(VALU_DEP_2)
	v_cndmask_b32_e32 v3, 0, v3, vcc_lo
	v_cmp_nlt_f32_e32 vcc_lo, 0x42b17218, v1
	v_cndmask_b32_e32 v10, 0x7f800000, v3, vcc_lo
	s_delay_alu instid0(VALU_DEP_1) | instskip(NEXT) | instid1(VALU_DEP_1)
	v_cvt_f16_f32_e32 v1, v10
	v_and_b32_e32 v1, 0xffff, v1
	s_delay_alu instid0(VALU_DEP_1) | instskip(SKIP_1) | instid1(VALU_DEP_1)
	v_mul_u32_u24_e32 v18, 0x10001, v1
	v_sub_f32_e32 v1, v7, v5
	v_mul_f32_e32 v3, 0x3fb8aa3b, v1
	v_cmp_ngt_f32_e32 vcc_lo, 0xc2ce8ed0, v1
	s_delay_alu instid0(VALU_DEP_2) | instskip(SKIP_1) | instid1(VALU_DEP_2)
	v_fma_f32 v7, 0x3fb8aa3b, v1, -v3
	v_rndne_f32_e32 v9, v3
	v_fmac_f32_e32 v7, 0x32a5705f, v1
	s_delay_alu instid0(VALU_DEP_2) | instskip(NEXT) | instid1(VALU_DEP_1)
	v_sub_f32_e32 v3, v3, v9
	v_add_f32_e32 v3, v3, v7
	v_cvt_i32_f32_e32 v7, v9
	s_delay_alu instid0(VALU_DEP_2) | instskip(SKIP_1) | instid1(TRANS32_DEP_1)
	v_exp_f32_e32 v3, v3
	v_nop
	v_ldexp_f32 v3, v3, v7
	s_delay_alu instid0(VALU_DEP_1) | instskip(SKIP_1) | instid1(VALU_DEP_2)
	v_cndmask_b32_e32 v3, 0, v3, vcc_lo
	v_cmp_nlt_f32_e32 vcc_lo, 0x42b17218, v1
	v_cndmask_b32_e32 v1, 0x7f800000, v3, vcc_lo
	v_sub_f32_e32 v3, v17, v5
	s_delay_alu instid0(VALU_DEP_1) | instskip(SKIP_1) | instid1(VALU_DEP_2)
	v_mul_f32_e32 v7, 0x3fb8aa3b, v3
	v_cmp_ngt_f32_e32 vcc_lo, 0xc2ce8ed0, v3
	v_fma_f32 v9, 0x3fb8aa3b, v3, -v7
	v_rndne_f32_e32 v12, v7
	s_delay_alu instid0(VALU_DEP_2) | instskip(NEXT) | instid1(VALU_DEP_2)
	v_fmac_f32_e32 v9, 0x32a5705f, v3
	v_sub_f32_e32 v7, v7, v12
	s_delay_alu instid0(VALU_DEP_1) | instskip(SKIP_1) | instid1(VALU_DEP_2)
	v_add_f32_e32 v7, v7, v9
	v_cvt_i32_f32_e32 v9, v12
	v_exp_f32_e32 v7, v7
	v_nop
	s_delay_alu instid0(TRANS32_DEP_1) | instskip(NEXT) | instid1(VALU_DEP_1)
	v_ldexp_f32 v7, v7, v9
	v_cndmask_b32_e32 v7, 0, v7, vcc_lo
	v_cmp_nlt_f32_e32 vcc_lo, 0x42b17218, v3
	s_delay_alu instid0(VALU_DEP_2) | instskip(SKIP_1) | instid1(VALU_DEP_1)
	v_cndmask_b32_e32 v3, 0x7f800000, v7, vcc_lo
	v_sub_f32_e32 v7, v13, v5
	v_mul_f32_e32 v9, 0x3fb8aa3b, v7
	v_cmp_ngt_f32_e32 vcc_lo, 0xc2ce8ed0, v7
	s_delay_alu instid0(VALU_DEP_2) | instskip(SKIP_1) | instid1(VALU_DEP_1)
	v_fma_f32 v12, 0x3fb8aa3b, v7, -v9
	v_rndne_f32_e32 v13, v9
	v_dual_fmac_f32 v12, 0x32a5705f, v7 :: v_dual_sub_f32 v9, v9, v13
	s_delay_alu instid0(VALU_DEP_1) | instskip(SKIP_1) | instid1(VALU_DEP_2)
	v_add_f32_e32 v9, v9, v12
	v_cvt_i32_f32_e32 v12, v13
	v_exp_f32_e32 v9, v9
	v_nop
	s_delay_alu instid0(TRANS32_DEP_1) | instskip(NEXT) | instid1(VALU_DEP_1)
	v_ldexp_f32 v9, v9, v12
	v_cndmask_b32_e32 v9, 0, v9, vcc_lo
	v_cmp_nlt_f32_e32 vcc_lo, 0x42b17218, v7
	s_delay_alu instid0(VALU_DEP_2) | instskip(SKIP_2) | instid1(VALU_DEP_2)
	v_cndmask_b32_e32 v7, 0x7f800000, v9, vcc_lo
	v_sub_f32_e32 v9, v16, v5
	v_lshl_add_u64 v[16:17], v[60:61], 2, s[24:25]
	v_mul_f32_e32 v12, 0x3fb8aa3b, v9
	v_cmp_ngt_f32_e32 vcc_lo, 0xc2ce8ed0, v9
	s_delay_alu instid0(VALU_DEP_3) | instskip(NEXT) | instid1(VALU_DEP_3)
	v_add_nc_u64_e32 v[16:17], v[16:17], v[40:41]
	v_fma_f32 v13, 0x3fb8aa3b, v9, -v12
	v_rndne_f32_e32 v14, v12
	s_delay_alu instid0(VALU_DEP_1) | instskip(NEXT) | instid1(VALU_DEP_1)
	v_dual_fmac_f32 v13, 0x32a5705f, v9 :: v_dual_sub_f32 v12, v12, v14
	v_add_f32_e32 v12, v12, v13
	v_cvt_i32_f32_e32 v13, v14
	s_delay_alu instid0(VALU_DEP_2) | instskip(SKIP_1) | instid1(TRANS32_DEP_1)
	v_exp_f32_e32 v12, v12
	v_nop
	v_ldexp_f32 v12, v12, v13
	s_delay_alu instid0(VALU_DEP_1) | instskip(SKIP_1) | instid1(VALU_DEP_2)
	v_cndmask_b32_e32 v12, 0, v12, vcc_lo
	v_cmp_nlt_f32_e32 vcc_lo, 0x42b17218, v9
	v_cndmask_b32_e32 v9, 0x7f800000, v12, vcc_lo
	v_mul_f32_e32 v12, 0x3fb8aa3b, v11
	v_cmp_ngt_f32_e32 vcc_lo, 0xc2ce8ed0, v11
	s_delay_alu instid0(VALU_DEP_2) | instskip(SKIP_1) | instid1(VALU_DEP_1)
	v_fma_f32 v13, 0x3fb8aa3b, v11, -v12
	v_rndne_f32_e32 v14, v12
	v_dual_fmac_f32 v13, 0x32a5705f, v11 :: v_dual_sub_f32 v12, v12, v14
	s_delay_alu instid0(VALU_DEP_1) | instskip(SKIP_1) | instid1(VALU_DEP_2)
	v_add_f32_e32 v12, v12, v13
	v_cvt_i32_f32_e32 v13, v14
	v_exp_f32_e32 v12, v12
	v_nop
	s_delay_alu instid0(TRANS32_DEP_1) | instskip(NEXT) | instid1(VALU_DEP_1)
	v_ldexp_f32 v12, v12, v13
	v_cndmask_b32_e32 v12, 0, v12, vcc_lo
	v_cmp_nlt_f32_e32 vcc_lo, 0x42b17218, v11
	s_delay_alu instid0(VALU_DEP_2) | instskip(SKIP_4) | instid1(VALU_DEP_4)
	v_cndmask_b32_e32 v11, 0x7f800000, v12, vcc_lo
	v_pk_add_f32 v[12:13], v[0:1], v[2:3]
	v_cvt_pk_f16_f32 v0, v0, v1
	v_cvt_pk_f16_f32 v1, v2, v3
	v_lshl_add_u64 v[2:3], v[42:43], 2, s[24:25]
	v_pk_add_f32 v[12:13], v[6:7], v[12:13]
	ds_store_2addr_b32 v84, v0, v1 offset1:32
	v_cvt_pk_f16_f32 v0, v6, v7
	v_cvt_pk_f16_f32 v1, v8, v9
	v_add_nc_u64_e32 v[2:3], v[2:3], v[40:41]
	v_pk_add_f32 v[12:13], v[8:9], v[12:13]
	v_lshl_add_u64 v[6:7], v[46:47], 2, s[24:25]
	ds_store_2addr_b32 v84, v0, v1 offset0:64 offset1:96
	v_lshl_add_u64 v[0:1], v[34:35], 2, s[24:25]
	v_pk_fma_f32 v[52:53], v[52:53], v[10:11], v[12:13]
	v_add_nc_u64_e32 v[12:13], v[6:7], v[40:41]
	v_lshl_add_u64 v[6:7], v[50:51], 2, s[24:25]
	v_cvt_f16_f32_e32 v10, v11
	v_add_nc_u64_e32 v[0:1], v[0:1], v[40:41]
	s_delay_alu instid0(VALU_DEP_3) | instskip(SKIP_1) | instid1(VALU_DEP_4)
	v_add_nc_u64_e32 v[14:15], v[6:7], v[40:41]
	v_lshl_add_u64 v[6:7], v[54:55], 2, s[24:25]
	v_and_b32_e32 v10, 0xffff, v10
	s_clause 0x1
	global_load_b128 v[20:23], v[0:1], off
	global_load_b128 v[0:3], v[2:3], off
	v_add_nc_u64_e32 v[8:9], v[6:7], v[40:41]
	v_lshl_add_u64 v[6:7], v[56:57], 2, s[24:25]
	v_mul_u32_u24_e32 v19, 0x10001, v10
	s_delay_alu instid0(VALU_DEP_2) | instskip(SKIP_1) | instid1(VALU_DEP_1)
	v_add_nc_u64_e32 v[10:11], v[6:7], v[40:41]
	v_lshl_add_u64 v[6:7], v[58:59], 2, s[24:25]
	v_add_nc_u64_e32 v[6:7], v[6:7], v[40:41]
	s_wait_loadcnt 0x1
	ds_store_b128 v74, v[20:23]
	s_wait_loadcnt 0x0
	ds_store_b128 v77, v[0:3]
	global_load_b128 v[0:3], v[12:13], off
	s_wait_loadcnt 0x0
	ds_store_b128 v78, v[0:3]
	global_load_b128 v[0:3], v[14:15], off
	;; [unrolled: 3-line block ×6, first 2 shown]
	s_wait_loadcnt 0x0
	ds_store_b128 v83, v[0:3]
	s_wait_dscnt 0x0
	s_barrier_signal -1
	s_barrier_wait -1
	ds_load_2addr_b32 v[6:7], v64 offset1:32
	ds_load_b128 v[0:3], v76
	s_wait_dscnt 0x0
	v_lshrrev_b32_e32 v8, 16, v0
	v_and_b32_e32 v0, 0xffff, v0
	s_delay_alu instid0(VALU_DEP_2) | instskip(NEXT) | instid1(VALU_DEP_2)
	v_mul_u32_u24_e32 v8, 0x10001, v8
	v_mul_u32_u24_e32 v0, 0x10001, v0
	s_delay_alu instid0(VALU_DEP_1) | instskip(NEXT) | instid1(VALU_DEP_3)
	v_pk_mul_f16 v0, v6, v0
	v_pk_mul_f16 v6, v6, v8
	v_lshrrev_b32_e32 v8, 16, v1
	v_and_b32_e32 v1, 0xffff, v1
	s_delay_alu instid0(VALU_DEP_4) | instskip(NEXT) | instid1(VALU_DEP_4)
	v_pk_fma_f16 v0, v101, v18, v0
	v_pk_fma_f16 v6, v100, v19, v6
	s_delay_alu instid0(VALU_DEP_4) | instskip(NEXT) | instid1(VALU_DEP_4)
	v_mul_u32_u24_e32 v8, 0x10001, v8
	v_mul_u32_u24_e32 v1, 0x10001, v1
	s_delay_alu instid0(VALU_DEP_2) | instskip(NEXT) | instid1(VALU_DEP_2)
	v_pk_fma_f16 v6, v7, v8, v6
	v_pk_fma_f16 v9, v7, v1, v0
	ds_load_2addr_b32 v[0:1], v64 offset0:64 offset1:96
	v_lshrrev_b32_e32 v7, 16, v2
	v_and_b32_e32 v2, 0xffff, v2
	s_delay_alu instid0(VALU_DEP_2) | instskip(NEXT) | instid1(VALU_DEP_2)
	v_mul_u32_u24_e32 v7, 0x10001, v7
	v_mul_u32_u24_e32 v2, 0x10001, v2
	s_wait_dscnt 0x0
	s_delay_alu instid0(VALU_DEP_1) | instskip(NEXT) | instid1(VALU_DEP_3)
	v_pk_fma_f16 v2, v0, v2, v9
	v_pk_fma_f16 v0, v0, v7, v6
	v_lshrrev_b32_e32 v6, 16, v3
	v_and_b32_e32 v3, 0xffff, v3
	s_delay_alu instid0(VALU_DEP_2) | instskip(NEXT) | instid1(VALU_DEP_2)
	v_mul_u32_u24_e32 v6, 0x10001, v6
	v_mul_u32_u24_e32 v3, 0x10001, v3
	s_delay_alu instid0(VALU_DEP_2) | instskip(NEXT) | instid1(VALU_DEP_2)
	v_pk_fma_f16 v9, v1, v6, v0
	v_pk_fma_f16 v8, v1, v3, v2
	ds_load_2addr_b32 v[6:7], v64 offset0:128 offset1:160
	ds_load_b128 v[0:3], v76 offset:16
	s_wait_dscnt 0x0
	v_lshrrev_b32_e32 v10, 16, v0
	v_and_b32_e32 v0, 0xffff, v0
	s_delay_alu instid0(VALU_DEP_2) | instskip(NEXT) | instid1(VALU_DEP_2)
	v_mul_u32_u24_e32 v10, 0x10001, v10
	v_mul_u32_u24_e32 v0, 0x10001, v0
	s_delay_alu instid0(VALU_DEP_1) | instskip(SKIP_3) | instid1(VALU_DEP_3)
	v_pk_fma_f16 v0, v6, v0, v8
	v_lshrrev_b32_e32 v8, 16, v1
	v_and_b32_e32 v1, 0xffff, v1
	v_pk_fma_f16 v6, v6, v10, v9
	v_mul_u32_u24_e32 v8, 0x10001, v8
	s_delay_alu instid0(VALU_DEP_3) | instskip(NEXT) | instid1(VALU_DEP_2)
	v_mul_u32_u24_e32 v1, 0x10001, v1
	v_pk_fma_f16 v6, v7, v8, v6
	s_delay_alu instid0(VALU_DEP_2) | instskip(SKIP_3) | instid1(VALU_DEP_2)
	v_pk_fma_f16 v9, v7, v1, v0
	ds_load_2addr_b32 v[0:1], v64 offset0:192 offset1:224
	v_lshrrev_b32_e32 v7, 16, v2
	v_and_b32_e32 v2, 0xffff, v2
	v_mul_u32_u24_e32 v7, 0x10001, v7
	s_delay_alu instid0(VALU_DEP_2) | instskip(SKIP_1) | instid1(VALU_DEP_1)
	v_mul_u32_u24_e32 v2, 0x10001, v2
	s_wait_dscnt 0x0
	v_pk_fma_f16 v2, v0, v2, v9
	s_delay_alu instid0(VALU_DEP_3) | instskip(SKIP_2) | instid1(VALU_DEP_2)
	v_pk_fma_f16 v0, v0, v7, v6
	v_lshrrev_b32_e32 v6, 16, v3
	v_and_b32_e32 v3, 0xffff, v3
	v_mul_u32_u24_e32 v6, 0x10001, v6
	s_delay_alu instid0(VALU_DEP_2) | instskip(NEXT) | instid1(VALU_DEP_2)
	v_mul_u32_u24_e32 v3, 0x10001, v3
	v_pk_fma_f16 v9, v1, v6, v0
	s_delay_alu instid0(VALU_DEP_2)
	v_pk_fma_f16 v8, v1, v3, v2
	ds_load_2addr_b32 v[6:7], v85 offset1:32
	ds_load_b128 v[0:3], v76 offset:32
	s_wait_dscnt 0x0
	v_lshrrev_b32_e32 v10, 16, v0
	v_and_b32_e32 v0, 0xffff, v0
	s_delay_alu instid0(VALU_DEP_2) | instskip(NEXT) | instid1(VALU_DEP_2)
	v_mul_u32_u24_e32 v10, 0x10001, v10
	v_mul_u32_u24_e32 v0, 0x10001, v0
	s_delay_alu instid0(VALU_DEP_1) | instskip(SKIP_3) | instid1(VALU_DEP_3)
	v_pk_fma_f16 v0, v6, v0, v8
	v_lshrrev_b32_e32 v8, 16, v1
	v_and_b32_e32 v1, 0xffff, v1
	v_pk_fma_f16 v6, v6, v10, v9
	v_mul_u32_u24_e32 v8, 0x10001, v8
	s_delay_alu instid0(VALU_DEP_3) | instskip(NEXT) | instid1(VALU_DEP_2)
	v_mul_u32_u24_e32 v1, 0x10001, v1
	v_pk_fma_f16 v6, v7, v8, v6
	s_delay_alu instid0(VALU_DEP_2) | instskip(SKIP_3) | instid1(VALU_DEP_2)
	v_pk_fma_f16 v9, v7, v1, v0
	ds_load_2addr_b32 v[0:1], v85 offset0:64 offset1:96
	v_lshrrev_b32_e32 v7, 16, v2
	v_and_b32_e32 v2, 0xffff, v2
	v_mul_u32_u24_e32 v7, 0x10001, v7
	s_delay_alu instid0(VALU_DEP_2) | instskip(SKIP_1) | instid1(VALU_DEP_1)
	v_mul_u32_u24_e32 v2, 0x10001, v2
	s_wait_dscnt 0x0
	v_pk_fma_f16 v2, v0, v2, v9
	s_delay_alu instid0(VALU_DEP_3) | instskip(SKIP_2) | instid1(VALU_DEP_2)
	v_pk_fma_f16 v0, v0, v7, v6
	v_lshrrev_b32_e32 v6, 16, v3
	v_and_b32_e32 v3, 0xffff, v3
	v_mul_u32_u24_e32 v6, 0x10001, v6
	s_delay_alu instid0(VALU_DEP_2) | instskip(NEXT) | instid1(VALU_DEP_2)
	v_mul_u32_u24_e32 v3, 0x10001, v3
	v_pk_fma_f16 v9, v1, v6, v0
	s_delay_alu instid0(VALU_DEP_2)
	v_pk_fma_f16 v8, v1, v3, v2
	ds_load_2addr_b32 v[6:7], v85 offset0:128 offset1:160
	ds_load_b128 v[0:3], v76 offset:48
	s_wait_dscnt 0x0
	v_lshrrev_b32_e32 v10, 16, v0
	v_and_b32_e32 v0, 0xffff, v0
	s_delay_alu instid0(VALU_DEP_1) | instskip(NEXT) | instid1(VALU_DEP_1)
	v_mul_u32_u24_e32 v0, 0x10001, v0
	v_pk_fma_f16 v0, v6, v0, v8
	v_lshrrev_b32_e32 v8, 16, v1
	v_and_b32_e32 v1, 0xffff, v1
	v_mul_u32_u24_e32 v10, 0x10001, v10
	s_delay_alu instid0(VALU_DEP_3) | instskip(NEXT) | instid1(VALU_DEP_3)
	v_mul_u32_u24_e32 v8, 0x10001, v8
	v_mul_u32_u24_e32 v1, 0x10001, v1
	s_delay_alu instid0(VALU_DEP_3) | instskip(NEXT) | instid1(VALU_DEP_2)
	v_pk_fma_f16 v6, v6, v10, v9
	v_pk_fma_f16 v9, v7, v1, v0
	ds_load_2addr_b32 v[0:1], v85 offset0:192 offset1:224
	v_pk_fma_f16 v6, v7, v8, v6
	v_lshrrev_b32_e32 v7, 16, v2
	v_and_b32_e32 v2, 0xffff, v2
	s_delay_alu instid0(VALU_DEP_2) | instskip(NEXT) | instid1(VALU_DEP_2)
	v_mul_u32_u24_e32 v7, 0x10001, v7
	v_mul_u32_u24_e32 v2, 0x10001, v2
	s_wait_dscnt 0x0
	s_delay_alu instid0(VALU_DEP_1) | instskip(NEXT) | instid1(VALU_DEP_3)
	v_pk_fma_f16 v2, v0, v2, v9
	v_pk_fma_f16 v0, v0, v7, v6
	v_lshrrev_b32_e32 v6, 16, v3
	v_and_b32_e32 v3, 0xffff, v3
	s_delay_alu instid0(VALU_DEP_2) | instskip(NEXT) | instid1(VALU_DEP_2)
	v_mul_u32_u24_e32 v6, 0x10001, v6
	v_mul_u32_u24_e32 v3, 0x10001, v3
	s_delay_alu instid0(VALU_DEP_2) | instskip(NEXT) | instid1(VALU_DEP_2)
	v_pk_fma_f16 v9, v1, v6, v0
	v_pk_fma_f16 v8, v1, v3, v2
	ds_load_2addr_b32 v[6:7], v86 offset1:32
	ds_load_b128 v[0:3], v76 offset:64
	s_wait_dscnt 0x0
	v_lshrrev_b32_e32 v10, 16, v0
	v_and_b32_e32 v0, 0xffff, v0
	s_delay_alu instid0(VALU_DEP_1) | instskip(NEXT) | instid1(VALU_DEP_1)
	v_mul_u32_u24_e32 v0, 0x10001, v0
	v_pk_fma_f16 v0, v6, v0, v8
	v_lshrrev_b32_e32 v8, 16, v1
	v_and_b32_e32 v1, 0xffff, v1
	v_mul_u32_u24_e32 v10, 0x10001, v10
	s_delay_alu instid0(VALU_DEP_3) | instskip(NEXT) | instid1(VALU_DEP_3)
	v_mul_u32_u24_e32 v8, 0x10001, v8
	v_mul_u32_u24_e32 v1, 0x10001, v1
	s_delay_alu instid0(VALU_DEP_3) | instskip(NEXT) | instid1(VALU_DEP_2)
	v_pk_fma_f16 v6, v6, v10, v9
	v_pk_fma_f16 v9, v7, v1, v0
	ds_load_2addr_b32 v[0:1], v86 offset0:64 offset1:96
	v_pk_fma_f16 v6, v7, v8, v6
	v_lshrrev_b32_e32 v7, 16, v2
	v_and_b32_e32 v2, 0xffff, v2
	s_delay_alu instid0(VALU_DEP_2) | instskip(NEXT) | instid1(VALU_DEP_2)
	v_mul_u32_u24_e32 v7, 0x10001, v7
	v_mul_u32_u24_e32 v2, 0x10001, v2
	s_wait_dscnt 0x0
	s_delay_alu instid0(VALU_DEP_1) | instskip(NEXT) | instid1(VALU_DEP_3)
	v_pk_fma_f16 v2, v0, v2, v9
	v_pk_fma_f16 v0, v0, v7, v6
	v_lshrrev_b32_e32 v6, 16, v3
	v_and_b32_e32 v3, 0xffff, v3
	s_delay_alu instid0(VALU_DEP_2) | instskip(NEXT) | instid1(VALU_DEP_2)
	v_mul_u32_u24_e32 v6, 0x10001, v6
	v_mul_u32_u24_e32 v3, 0x10001, v3
	s_delay_alu instid0(VALU_DEP_2) | instskip(NEXT) | instid1(VALU_DEP_2)
	v_pk_fma_f16 v9, v1, v6, v0
	v_pk_fma_f16 v8, v1, v3, v2
	ds_load_2addr_b32 v[6:7], v86 offset0:128 offset1:160
	ds_load_b128 v[0:3], v76 offset:80
	s_wait_dscnt 0x0
	v_lshrrev_b32_e32 v10, 16, v0
	v_and_b32_e32 v0, 0xffff, v0
	s_delay_alu instid0(VALU_DEP_1) | instskip(NEXT) | instid1(VALU_DEP_1)
	v_mul_u32_u24_e32 v0, 0x10001, v0
	v_pk_fma_f16 v0, v6, v0, v8
	v_lshrrev_b32_e32 v8, 16, v1
	v_and_b32_e32 v1, 0xffff, v1
	v_mul_u32_u24_e32 v10, 0x10001, v10
	s_delay_alu instid0(VALU_DEP_3) | instskip(NEXT) | instid1(VALU_DEP_3)
	v_mul_u32_u24_e32 v8, 0x10001, v8
	v_mul_u32_u24_e32 v1, 0x10001, v1
	s_delay_alu instid0(VALU_DEP_3) | instskip(NEXT) | instid1(VALU_DEP_2)
	v_pk_fma_f16 v6, v6, v10, v9
	v_pk_fma_f16 v9, v7, v1, v0
	ds_load_2addr_b32 v[0:1], v86 offset0:192 offset1:224
	v_pk_fma_f16 v6, v7, v8, v6
	v_lshrrev_b32_e32 v7, 16, v2
	v_and_b32_e32 v2, 0xffff, v2
	s_delay_alu instid0(VALU_DEP_2) | instskip(NEXT) | instid1(VALU_DEP_2)
	v_mul_u32_u24_e32 v7, 0x10001, v7
	v_mul_u32_u24_e32 v2, 0x10001, v2
	s_wait_dscnt 0x0
	s_delay_alu instid0(VALU_DEP_1) | instskip(NEXT) | instid1(VALU_DEP_3)
	v_pk_fma_f16 v2, v0, v2, v9
	v_pk_fma_f16 v0, v0, v7, v6
	v_lshrrev_b32_e32 v6, 16, v3
	v_and_b32_e32 v3, 0xffff, v3
	s_delay_alu instid0(VALU_DEP_2) | instskip(NEXT) | instid1(VALU_DEP_2)
	v_mul_u32_u24_e32 v6, 0x10001, v6
	v_mul_u32_u24_e32 v3, 0x10001, v3
	s_delay_alu instid0(VALU_DEP_2) | instskip(NEXT) | instid1(VALU_DEP_2)
	v_pk_fma_f16 v9, v1, v6, v0
	v_pk_fma_f16 v8, v1, v3, v2
	ds_load_2addr_b32 v[6:7], v87 offset1:32
	ds_load_b128 v[0:3], v76 offset:96
	s_wait_dscnt 0x0
	v_lshrrev_b32_e32 v10, 16, v0
	v_and_b32_e32 v0, 0xffff, v0
	s_delay_alu instid0(VALU_DEP_1) | instskip(NEXT) | instid1(VALU_DEP_1)
	v_mul_u32_u24_e32 v0, 0x10001, v0
	v_pk_fma_f16 v0, v6, v0, v8
	v_lshrrev_b32_e32 v8, 16, v1
	v_and_b32_e32 v1, 0xffff, v1
	v_mul_u32_u24_e32 v10, 0x10001, v10
	s_delay_alu instid0(VALU_DEP_3) | instskip(NEXT) | instid1(VALU_DEP_3)
	v_mul_u32_u24_e32 v8, 0x10001, v8
	v_mul_u32_u24_e32 v1, 0x10001, v1
	s_delay_alu instid0(VALU_DEP_3) | instskip(NEXT) | instid1(VALU_DEP_2)
	v_pk_fma_f16 v6, v6, v10, v9
	v_pk_fma_f16 v9, v7, v1, v0
	ds_load_2addr_b32 v[0:1], v87 offset0:64 offset1:96
	v_pk_fma_f16 v6, v7, v8, v6
	v_lshrrev_b32_e32 v7, 16, v2
	v_and_b32_e32 v2, 0xffff, v2
	s_delay_alu instid0(VALU_DEP_2) | instskip(NEXT) | instid1(VALU_DEP_2)
	v_mul_u32_u24_e32 v7, 0x10001, v7
	v_mul_u32_u24_e32 v2, 0x10001, v2
	s_wait_dscnt 0x0
	s_delay_alu instid0(VALU_DEP_1) | instskip(NEXT) | instid1(VALU_DEP_3)
	v_pk_fma_f16 v2, v0, v2, v9
	v_pk_fma_f16 v0, v0, v7, v6
	v_lshrrev_b32_e32 v6, 16, v3
	v_and_b32_e32 v3, 0xffff, v3
	s_delay_alu instid0(VALU_DEP_2) | instskip(NEXT) | instid1(VALU_DEP_2)
	v_mul_u32_u24_e32 v6, 0x10001, v6
	v_mul_u32_u24_e32 v3, 0x10001, v3
	s_delay_alu instid0(VALU_DEP_2) | instskip(NEXT) | instid1(VALU_DEP_2)
	v_pk_fma_f16 v9, v1, v6, v0
	v_pk_fma_f16 v8, v1, v3, v2
	ds_load_2addr_b32 v[6:7], v87 offset0:128 offset1:160
	ds_load_b128 v[0:3], v76 offset:112
	s_wait_dscnt 0x0
	v_lshrrev_b32_e32 v10, 16, v0
	v_and_b32_e32 v0, 0xffff, v0
	s_delay_alu instid0(VALU_DEP_1) | instskip(NEXT) | instid1(VALU_DEP_1)
	v_mul_u32_u24_e32 v0, 0x10001, v0
	v_pk_fma_f16 v0, v6, v0, v8
	v_lshrrev_b32_e32 v8, 16, v1
	v_and_b32_e32 v1, 0xffff, v1
	v_mul_u32_u24_e32 v10, 0x10001, v10
	s_delay_alu instid0(VALU_DEP_3) | instskip(NEXT) | instid1(VALU_DEP_3)
	v_mul_u32_u24_e32 v8, 0x10001, v8
	v_mul_u32_u24_e32 v1, 0x10001, v1
	s_delay_alu instid0(VALU_DEP_3) | instskip(NEXT) | instid1(VALU_DEP_2)
	v_pk_fma_f16 v6, v6, v10, v9
	v_pk_fma_f16 v9, v7, v1, v0
	ds_load_2addr_b32 v[0:1], v87 offset0:192 offset1:224
	v_pk_fma_f16 v6, v7, v8, v6
	v_lshrrev_b32_e32 v7, 16, v2
	v_and_b32_e32 v2, 0xffff, v2
	s_delay_alu instid0(VALU_DEP_2) | instskip(NEXT) | instid1(VALU_DEP_2)
	v_mul_u32_u24_e32 v7, 0x10001, v7
	v_mul_u32_u24_e32 v2, 0x10001, v2
	s_wait_dscnt 0x0
	s_delay_alu instid0(VALU_DEP_1) | instskip(NEXT) | instid1(VALU_DEP_3)
	v_pk_fma_f16 v2, v0, v2, v9
	v_pk_fma_f16 v0, v0, v7, v6
	v_lshrrev_b32_e32 v6, 16, v3
	v_and_b32_e32 v3, 0xffff, v3
	s_delay_alu instid0(VALU_DEP_2) | instskip(NEXT) | instid1(VALU_DEP_2)
	v_mul_u32_u24_e32 v6, 0x10001, v6
	v_mul_u32_u24_e32 v3, 0x10001, v3
	s_delay_alu instid0(VALU_DEP_2) | instskip(NEXT) | instid1(VALU_DEP_2)
	v_pk_fma_f16 v9, v1, v6, v0
	v_pk_fma_f16 v8, v1, v3, v2
	ds_load_2addr_b32 v[6:7], v88 offset1:32
	ds_load_b128 v[0:3], v76 offset:128
	s_wait_dscnt 0x0
	v_lshrrev_b32_e32 v10, 16, v0
	v_and_b32_e32 v0, 0xffff, v0
	s_delay_alu instid0(VALU_DEP_1) | instskip(NEXT) | instid1(VALU_DEP_1)
	v_mul_u32_u24_e32 v0, 0x10001, v0
	v_pk_fma_f16 v0, v6, v0, v8
	v_lshrrev_b32_e32 v8, 16, v1
	v_and_b32_e32 v1, 0xffff, v1
	v_mul_u32_u24_e32 v10, 0x10001, v10
	s_delay_alu instid0(VALU_DEP_3) | instskip(NEXT) | instid1(VALU_DEP_3)
	v_mul_u32_u24_e32 v8, 0x10001, v8
	v_mul_u32_u24_e32 v1, 0x10001, v1
	s_delay_alu instid0(VALU_DEP_3) | instskip(NEXT) | instid1(VALU_DEP_2)
	v_pk_fma_f16 v6, v6, v10, v9
	v_pk_fma_f16 v9, v7, v1, v0
	ds_load_2addr_b32 v[0:1], v88 offset0:64 offset1:96
	v_pk_fma_f16 v6, v7, v8, v6
	v_lshrrev_b32_e32 v7, 16, v2
	v_and_b32_e32 v2, 0xffff, v2
	s_delay_alu instid0(VALU_DEP_2) | instskip(NEXT) | instid1(VALU_DEP_2)
	v_mul_u32_u24_e32 v7, 0x10001, v7
	v_mul_u32_u24_e32 v2, 0x10001, v2
	s_wait_dscnt 0x0
	s_delay_alu instid0(VALU_DEP_1) | instskip(NEXT) | instid1(VALU_DEP_3)
	v_pk_fma_f16 v2, v0, v2, v9
	v_pk_fma_f16 v0, v0, v7, v6
	v_lshrrev_b32_e32 v6, 16, v3
	v_and_b32_e32 v3, 0xffff, v3
	s_delay_alu instid0(VALU_DEP_2) | instskip(NEXT) | instid1(VALU_DEP_2)
	v_mul_u32_u24_e32 v6, 0x10001, v6
	v_mul_u32_u24_e32 v3, 0x10001, v3
	s_delay_alu instid0(VALU_DEP_2) | instskip(NEXT) | instid1(VALU_DEP_2)
	v_pk_fma_f16 v9, v1, v6, v0
	v_pk_fma_f16 v8, v1, v3, v2
	ds_load_2addr_b32 v[6:7], v88 offset0:128 offset1:160
	ds_load_b128 v[0:3], v76 offset:144
	s_wait_dscnt 0x0
	v_lshrrev_b32_e32 v10, 16, v0
	v_and_b32_e32 v0, 0xffff, v0
	s_delay_alu instid0(VALU_DEP_1) | instskip(NEXT) | instid1(VALU_DEP_1)
	v_mul_u32_u24_e32 v0, 0x10001, v0
	v_pk_fma_f16 v0, v6, v0, v8
	v_lshrrev_b32_e32 v8, 16, v1
	v_and_b32_e32 v1, 0xffff, v1
	v_mul_u32_u24_e32 v10, 0x10001, v10
	s_delay_alu instid0(VALU_DEP_3) | instskip(NEXT) | instid1(VALU_DEP_3)
	v_mul_u32_u24_e32 v8, 0x10001, v8
	v_mul_u32_u24_e32 v1, 0x10001, v1
	s_delay_alu instid0(VALU_DEP_3) | instskip(NEXT) | instid1(VALU_DEP_2)
	v_pk_fma_f16 v6, v6, v10, v9
	v_pk_fma_f16 v9, v7, v1, v0
	ds_load_2addr_b32 v[0:1], v88 offset0:192 offset1:224
	v_pk_fma_f16 v6, v7, v8, v6
	v_lshrrev_b32_e32 v7, 16, v2
	v_and_b32_e32 v2, 0xffff, v2
	s_delay_alu instid0(VALU_DEP_2) | instskip(NEXT) | instid1(VALU_DEP_2)
	v_mul_u32_u24_e32 v7, 0x10001, v7
	v_mul_u32_u24_e32 v2, 0x10001, v2
	s_wait_dscnt 0x0
	s_delay_alu instid0(VALU_DEP_1) | instskip(NEXT) | instid1(VALU_DEP_3)
	v_pk_fma_f16 v2, v0, v2, v9
	v_pk_fma_f16 v0, v0, v7, v6
	v_lshrrev_b32_e32 v6, 16, v3
	v_and_b32_e32 v3, 0xffff, v3
	s_delay_alu instid0(VALU_DEP_2) | instskip(NEXT) | instid1(VALU_DEP_2)
	v_mul_u32_u24_e32 v6, 0x10001, v6
	v_mul_u32_u24_e32 v3, 0x10001, v3
	s_delay_alu instid0(VALU_DEP_2) | instskip(NEXT) | instid1(VALU_DEP_2)
	v_pk_fma_f16 v9, v1, v6, v0
	v_pk_fma_f16 v8, v1, v3, v2
	ds_load_2addr_b32 v[6:7], v89 offset1:32
	ds_load_b128 v[0:3], v76 offset:160
	s_wait_dscnt 0x0
	v_lshrrev_b32_e32 v10, 16, v0
	v_and_b32_e32 v0, 0xffff, v0
	s_delay_alu instid0(VALU_DEP_1) | instskip(NEXT) | instid1(VALU_DEP_1)
	v_mul_u32_u24_e32 v0, 0x10001, v0
	v_pk_fma_f16 v0, v6, v0, v8
	v_lshrrev_b32_e32 v8, 16, v1
	v_and_b32_e32 v1, 0xffff, v1
	v_mul_u32_u24_e32 v10, 0x10001, v10
	s_delay_alu instid0(VALU_DEP_3) | instskip(NEXT) | instid1(VALU_DEP_3)
	v_mul_u32_u24_e32 v8, 0x10001, v8
	v_mul_u32_u24_e32 v1, 0x10001, v1
	s_delay_alu instid0(VALU_DEP_3) | instskip(NEXT) | instid1(VALU_DEP_2)
	v_pk_fma_f16 v6, v6, v10, v9
	v_pk_fma_f16 v9, v7, v1, v0
	ds_load_2addr_b32 v[0:1], v89 offset0:64 offset1:96
	v_pk_fma_f16 v6, v7, v8, v6
	v_lshrrev_b32_e32 v7, 16, v2
	v_and_b32_e32 v2, 0xffff, v2
	s_delay_alu instid0(VALU_DEP_2) | instskip(NEXT) | instid1(VALU_DEP_2)
	v_mul_u32_u24_e32 v7, 0x10001, v7
	v_mul_u32_u24_e32 v2, 0x10001, v2
	s_wait_dscnt 0x0
	s_delay_alu instid0(VALU_DEP_1) | instskip(NEXT) | instid1(VALU_DEP_3)
	v_pk_fma_f16 v2, v0, v2, v9
	v_pk_fma_f16 v0, v0, v7, v6
	v_lshrrev_b32_e32 v6, 16, v3
	v_and_b32_e32 v3, 0xffff, v3
	s_delay_alu instid0(VALU_DEP_2) | instskip(NEXT) | instid1(VALU_DEP_2)
	v_mul_u32_u24_e32 v6, 0x10001, v6
	v_mul_u32_u24_e32 v3, 0x10001, v3
	s_delay_alu instid0(VALU_DEP_2) | instskip(NEXT) | instid1(VALU_DEP_2)
	v_pk_fma_f16 v9, v1, v6, v0
	v_pk_fma_f16 v8, v1, v3, v2
	ds_load_2addr_b32 v[6:7], v89 offset0:128 offset1:160
	ds_load_b128 v[0:3], v76 offset:176
	s_wait_dscnt 0x0
	v_lshrrev_b32_e32 v10, 16, v0
	v_and_b32_e32 v0, 0xffff, v0
	s_delay_alu instid0(VALU_DEP_1) | instskip(NEXT) | instid1(VALU_DEP_1)
	v_mul_u32_u24_e32 v0, 0x10001, v0
	v_pk_fma_f16 v0, v6, v0, v8
	v_lshrrev_b32_e32 v8, 16, v1
	v_and_b32_e32 v1, 0xffff, v1
	v_mul_u32_u24_e32 v10, 0x10001, v10
	s_delay_alu instid0(VALU_DEP_3) | instskip(NEXT) | instid1(VALU_DEP_3)
	v_mul_u32_u24_e32 v8, 0x10001, v8
	v_mul_u32_u24_e32 v1, 0x10001, v1
	s_delay_alu instid0(VALU_DEP_3) | instskip(NEXT) | instid1(VALU_DEP_2)
	v_pk_fma_f16 v6, v6, v10, v9
	v_pk_fma_f16 v9, v7, v1, v0
	ds_load_2addr_b32 v[0:1], v89 offset0:192 offset1:224
	v_pk_fma_f16 v6, v7, v8, v6
	v_lshrrev_b32_e32 v7, 16, v2
	v_and_b32_e32 v2, 0xffff, v2
	s_delay_alu instid0(VALU_DEP_2) | instskip(NEXT) | instid1(VALU_DEP_2)
	v_mul_u32_u24_e32 v7, 0x10001, v7
	v_mul_u32_u24_e32 v2, 0x10001, v2
	s_wait_dscnt 0x0
	s_delay_alu instid0(VALU_DEP_1) | instskip(NEXT) | instid1(VALU_DEP_3)
	v_pk_fma_f16 v2, v0, v2, v9
	v_pk_fma_f16 v0, v0, v7, v6
	v_lshrrev_b32_e32 v6, 16, v3
	v_and_b32_e32 v3, 0xffff, v3
	s_delay_alu instid0(VALU_DEP_2) | instskip(NEXT) | instid1(VALU_DEP_2)
	v_mul_u32_u24_e32 v6, 0x10001, v6
	v_mul_u32_u24_e32 v3, 0x10001, v3
	s_delay_alu instid0(VALU_DEP_2) | instskip(NEXT) | instid1(VALU_DEP_2)
	v_pk_fma_f16 v9, v1, v6, v0
	v_pk_fma_f16 v8, v1, v3, v2
	ds_load_2addr_b32 v[6:7], v90 offset1:32
	ds_load_b128 v[0:3], v76 offset:192
	s_wait_dscnt 0x0
	v_lshrrev_b32_e32 v10, 16, v0
	v_and_b32_e32 v0, 0xffff, v0
	s_delay_alu instid0(VALU_DEP_1) | instskip(NEXT) | instid1(VALU_DEP_1)
	v_mul_u32_u24_e32 v0, 0x10001, v0
	v_pk_fma_f16 v0, v6, v0, v8
	v_lshrrev_b32_e32 v8, 16, v1
	v_and_b32_e32 v1, 0xffff, v1
	v_mul_u32_u24_e32 v10, 0x10001, v10
	s_delay_alu instid0(VALU_DEP_3) | instskip(NEXT) | instid1(VALU_DEP_3)
	v_mul_u32_u24_e32 v8, 0x10001, v8
	v_mul_u32_u24_e32 v1, 0x10001, v1
	s_delay_alu instid0(VALU_DEP_3) | instskip(NEXT) | instid1(VALU_DEP_2)
	v_pk_fma_f16 v6, v6, v10, v9
	v_pk_fma_f16 v9, v7, v1, v0
	ds_load_2addr_b32 v[0:1], v90 offset0:64 offset1:96
	v_pk_fma_f16 v6, v7, v8, v6
	v_lshrrev_b32_e32 v7, 16, v2
	v_and_b32_e32 v2, 0xffff, v2
	s_delay_alu instid0(VALU_DEP_2) | instskip(NEXT) | instid1(VALU_DEP_2)
	v_mul_u32_u24_e32 v7, 0x10001, v7
	v_mul_u32_u24_e32 v2, 0x10001, v2
	s_wait_dscnt 0x0
	s_delay_alu instid0(VALU_DEP_1) | instskip(NEXT) | instid1(VALU_DEP_3)
	v_pk_fma_f16 v2, v0, v2, v9
	v_pk_fma_f16 v0, v0, v7, v6
	v_lshrrev_b32_e32 v6, 16, v3
	v_and_b32_e32 v3, 0xffff, v3
	s_delay_alu instid0(VALU_DEP_2) | instskip(NEXT) | instid1(VALU_DEP_2)
	v_mul_u32_u24_e32 v6, 0x10001, v6
	v_mul_u32_u24_e32 v3, 0x10001, v3
	s_delay_alu instid0(VALU_DEP_2) | instskip(NEXT) | instid1(VALU_DEP_2)
	v_pk_fma_f16 v9, v1, v6, v0
	v_pk_fma_f16 v8, v1, v3, v2
	ds_load_2addr_b32 v[6:7], v90 offset0:128 offset1:160
	ds_load_b128 v[0:3], v76 offset:208
	s_wait_dscnt 0x0
	v_lshrrev_b32_e32 v10, 16, v0
	v_and_b32_e32 v0, 0xffff, v0
	s_delay_alu instid0(VALU_DEP_1) | instskip(NEXT) | instid1(VALU_DEP_1)
	v_mul_u32_u24_e32 v0, 0x10001, v0
	v_pk_fma_f16 v0, v6, v0, v8
	v_lshrrev_b32_e32 v8, 16, v1
	v_and_b32_e32 v1, 0xffff, v1
	v_mul_u32_u24_e32 v10, 0x10001, v10
	s_delay_alu instid0(VALU_DEP_3) | instskip(NEXT) | instid1(VALU_DEP_3)
	v_mul_u32_u24_e32 v8, 0x10001, v8
	v_mul_u32_u24_e32 v1, 0x10001, v1
	s_delay_alu instid0(VALU_DEP_3) | instskip(NEXT) | instid1(VALU_DEP_2)
	v_pk_fma_f16 v6, v6, v10, v9
	v_pk_fma_f16 v9, v7, v1, v0
	ds_load_2addr_b32 v[0:1], v90 offset0:192 offset1:224
	v_pk_fma_f16 v6, v7, v8, v6
	v_lshrrev_b32_e32 v7, 16, v2
	v_and_b32_e32 v2, 0xffff, v2
	s_delay_alu instid0(VALU_DEP_2) | instskip(NEXT) | instid1(VALU_DEP_2)
	v_mul_u32_u24_e32 v7, 0x10001, v7
	v_mul_u32_u24_e32 v2, 0x10001, v2
	s_wait_dscnt 0x0
	s_delay_alu instid0(VALU_DEP_1) | instskip(NEXT) | instid1(VALU_DEP_3)
	v_pk_fma_f16 v2, v0, v2, v9
	v_pk_fma_f16 v0, v0, v7, v6
	v_lshrrev_b32_e32 v6, 16, v3
	v_and_b32_e32 v3, 0xffff, v3
	s_delay_alu instid0(VALU_DEP_2) | instskip(NEXT) | instid1(VALU_DEP_2)
	v_mul_u32_u24_e32 v6, 0x10001, v6
	v_mul_u32_u24_e32 v3, 0x10001, v3
	s_delay_alu instid0(VALU_DEP_2) | instskip(NEXT) | instid1(VALU_DEP_2)
	v_pk_fma_f16 v9, v1, v6, v0
	v_pk_fma_f16 v8, v1, v3, v2
	ds_load_2addr_b32 v[6:7], v91 offset1:32
	ds_load_b128 v[0:3], v76 offset:224
	s_wait_dscnt 0x0
	v_lshrrev_b32_e32 v10, 16, v0
	v_and_b32_e32 v0, 0xffff, v0
	s_delay_alu instid0(VALU_DEP_1) | instskip(NEXT) | instid1(VALU_DEP_1)
	v_mul_u32_u24_e32 v0, 0x10001, v0
	v_pk_fma_f16 v0, v6, v0, v8
	v_lshrrev_b32_e32 v8, 16, v1
	v_and_b32_e32 v1, 0xffff, v1
	v_mul_u32_u24_e32 v10, 0x10001, v10
	s_delay_alu instid0(VALU_DEP_3) | instskip(NEXT) | instid1(VALU_DEP_3)
	v_mul_u32_u24_e32 v8, 0x10001, v8
	v_mul_u32_u24_e32 v1, 0x10001, v1
	s_delay_alu instid0(VALU_DEP_3) | instskip(NEXT) | instid1(VALU_DEP_2)
	v_pk_fma_f16 v6, v6, v10, v9
	v_pk_fma_f16 v9, v7, v1, v0
	ds_load_2addr_b32 v[0:1], v91 offset0:64 offset1:96
	v_pk_fma_f16 v6, v7, v8, v6
	v_lshrrev_b32_e32 v7, 16, v2
	v_and_b32_e32 v2, 0xffff, v2
	s_delay_alu instid0(VALU_DEP_2) | instskip(NEXT) | instid1(VALU_DEP_2)
	v_mul_u32_u24_e32 v7, 0x10001, v7
	v_mul_u32_u24_e32 v2, 0x10001, v2
	s_wait_dscnt 0x0
	s_delay_alu instid0(VALU_DEP_1) | instskip(NEXT) | instid1(VALU_DEP_3)
	v_pk_fma_f16 v2, v0, v2, v9
	v_pk_fma_f16 v0, v0, v7, v6
	v_lshrrev_b32_e32 v6, 16, v3
	v_and_b32_e32 v3, 0xffff, v3
	s_delay_alu instid0(VALU_DEP_2) | instskip(NEXT) | instid1(VALU_DEP_2)
	v_mul_u32_u24_e32 v6, 0x10001, v6
	v_mul_u32_u24_e32 v3, 0x10001, v3
	s_delay_alu instid0(VALU_DEP_2) | instskip(NEXT) | instid1(VALU_DEP_2)
	v_pk_fma_f16 v9, v1, v6, v0
	v_pk_fma_f16 v8, v1, v3, v2
	ds_load_2addr_b32 v[6:7], v91 offset0:128 offset1:160
	ds_load_b128 v[0:3], v76 offset:240
	s_wait_dscnt 0x0
	v_lshrrev_b32_e32 v10, 16, v0
	v_and_b32_e32 v0, 0xffff, v0
	s_delay_alu instid0(VALU_DEP_1) | instskip(NEXT) | instid1(VALU_DEP_1)
	v_mul_u32_u24_e32 v0, 0x10001, v0
	v_pk_fma_f16 v0, v6, v0, v8
	v_lshrrev_b32_e32 v8, 16, v1
	v_and_b32_e32 v1, 0xffff, v1
	v_mul_u32_u24_e32 v10, 0x10001, v10
	s_delay_alu instid0(VALU_DEP_3) | instskip(NEXT) | instid1(VALU_DEP_3)
	v_mul_u32_u24_e32 v8, 0x10001, v8
	v_mul_u32_u24_e32 v1, 0x10001, v1
	s_delay_alu instid0(VALU_DEP_3) | instskip(NEXT) | instid1(VALU_DEP_2)
	v_pk_fma_f16 v6, v6, v10, v9
	v_pk_fma_f16 v9, v7, v1, v0
	ds_load_2addr_b32 v[0:1], v91 offset0:192 offset1:224
	v_pk_fma_f16 v6, v7, v8, v6
	v_lshrrev_b32_e32 v7, 16, v2
	v_and_b32_e32 v2, 0xffff, v2
	s_delay_alu instid0(VALU_DEP_2) | instskip(NEXT) | instid1(VALU_DEP_2)
	v_mul_u32_u24_e32 v7, 0x10001, v7
	v_mul_u32_u24_e32 v2, 0x10001, v2
	s_wait_dscnt 0x0
	s_delay_alu instid0(VALU_DEP_1) | instskip(NEXT) | instid1(VALU_DEP_3)
	v_pk_fma_f16 v2, v0, v2, v9
	v_pk_fma_f16 v0, v0, v7, v6
	v_lshrrev_b32_e32 v6, 16, v3
	v_and_b32_e32 v3, 0xffff, v3
	s_delay_alu instid0(VALU_DEP_2) | instskip(NEXT) | instid1(VALU_DEP_2)
	v_mul_u32_u24_e32 v6, 0x10001, v6
	v_mul_u32_u24_e32 v3, 0x10001, v3
	s_delay_alu instid0(VALU_DEP_2) | instskip(NEXT) | instid1(VALU_DEP_2)
	v_pk_fma_f16 v9, v1, v6, v0
	v_pk_fma_f16 v8, v1, v3, v2
	ds_load_2addr_b32 v[6:7], v92 offset1:32
	ds_load_b128 v[0:3], v76 offset:256
	s_wait_dscnt 0x0
	v_lshrrev_b32_e32 v10, 16, v0
	v_and_b32_e32 v0, 0xffff, v0
	s_delay_alu instid0(VALU_DEP_1) | instskip(NEXT) | instid1(VALU_DEP_1)
	v_mul_u32_u24_e32 v0, 0x10001, v0
	v_pk_fma_f16 v0, v6, v0, v8
	v_lshrrev_b32_e32 v8, 16, v1
	v_and_b32_e32 v1, 0xffff, v1
	v_mul_u32_u24_e32 v10, 0x10001, v10
	s_delay_alu instid0(VALU_DEP_3) | instskip(NEXT) | instid1(VALU_DEP_3)
	v_mul_u32_u24_e32 v8, 0x10001, v8
	v_mul_u32_u24_e32 v1, 0x10001, v1
	s_delay_alu instid0(VALU_DEP_3) | instskip(NEXT) | instid1(VALU_DEP_2)
	v_pk_fma_f16 v6, v6, v10, v9
	v_pk_fma_f16 v9, v7, v1, v0
	ds_load_2addr_b32 v[0:1], v92 offset0:64 offset1:96
	v_pk_fma_f16 v6, v7, v8, v6
	v_lshrrev_b32_e32 v7, 16, v2
	v_and_b32_e32 v2, 0xffff, v2
	s_delay_alu instid0(VALU_DEP_2) | instskip(NEXT) | instid1(VALU_DEP_2)
	v_mul_u32_u24_e32 v7, 0x10001, v7
	v_mul_u32_u24_e32 v2, 0x10001, v2
	s_wait_dscnt 0x0
	s_delay_alu instid0(VALU_DEP_1) | instskip(NEXT) | instid1(VALU_DEP_3)
	v_pk_fma_f16 v2, v0, v2, v9
	v_pk_fma_f16 v0, v0, v7, v6
	v_lshrrev_b32_e32 v6, 16, v3
	v_and_b32_e32 v3, 0xffff, v3
	s_delay_alu instid0(VALU_DEP_2) | instskip(NEXT) | instid1(VALU_DEP_2)
	v_mul_u32_u24_e32 v6, 0x10001, v6
	v_mul_u32_u24_e32 v3, 0x10001, v3
	s_delay_alu instid0(VALU_DEP_2) | instskip(NEXT) | instid1(VALU_DEP_2)
	v_pk_fma_f16 v9, v1, v6, v0
	v_pk_fma_f16 v8, v1, v3, v2
	ds_load_2addr_b32 v[6:7], v92 offset0:128 offset1:160
	ds_load_b128 v[0:3], v76 offset:272
	s_wait_dscnt 0x0
	v_lshrrev_b32_e32 v10, 16, v0
	v_and_b32_e32 v0, 0xffff, v0
	s_delay_alu instid0(VALU_DEP_1) | instskip(NEXT) | instid1(VALU_DEP_1)
	v_mul_u32_u24_e32 v0, 0x10001, v0
	v_pk_fma_f16 v0, v6, v0, v8
	v_lshrrev_b32_e32 v8, 16, v1
	v_and_b32_e32 v1, 0xffff, v1
	v_mul_u32_u24_e32 v10, 0x10001, v10
	s_delay_alu instid0(VALU_DEP_3) | instskip(NEXT) | instid1(VALU_DEP_3)
	v_mul_u32_u24_e32 v8, 0x10001, v8
	v_mul_u32_u24_e32 v1, 0x10001, v1
	s_delay_alu instid0(VALU_DEP_3) | instskip(NEXT) | instid1(VALU_DEP_2)
	v_pk_fma_f16 v6, v6, v10, v9
	v_pk_fma_f16 v9, v7, v1, v0
	ds_load_2addr_b32 v[0:1], v92 offset0:192 offset1:224
	v_pk_fma_f16 v6, v7, v8, v6
	v_lshrrev_b32_e32 v7, 16, v2
	v_and_b32_e32 v2, 0xffff, v2
	s_delay_alu instid0(VALU_DEP_2) | instskip(NEXT) | instid1(VALU_DEP_2)
	v_mul_u32_u24_e32 v7, 0x10001, v7
	v_mul_u32_u24_e32 v2, 0x10001, v2
	s_wait_dscnt 0x0
	s_delay_alu instid0(VALU_DEP_1) | instskip(NEXT) | instid1(VALU_DEP_3)
	v_pk_fma_f16 v2, v0, v2, v9
	v_pk_fma_f16 v0, v0, v7, v6
	v_lshrrev_b32_e32 v6, 16, v3
	v_and_b32_e32 v3, 0xffff, v3
	s_delay_alu instid0(VALU_DEP_2) | instskip(NEXT) | instid1(VALU_DEP_2)
	v_mul_u32_u24_e32 v6, 0x10001, v6
	v_mul_u32_u24_e32 v3, 0x10001, v3
	s_delay_alu instid0(VALU_DEP_2) | instskip(NEXT) | instid1(VALU_DEP_2)
	v_pk_fma_f16 v9, v1, v6, v0
	v_pk_fma_f16 v8, v1, v3, v2
	ds_load_2addr_b32 v[6:7], v93 offset1:32
	ds_load_b128 v[0:3], v76 offset:288
	s_wait_dscnt 0x0
	v_lshrrev_b32_e32 v10, 16, v0
	v_and_b32_e32 v0, 0xffff, v0
	s_delay_alu instid0(VALU_DEP_1) | instskip(NEXT) | instid1(VALU_DEP_1)
	v_mul_u32_u24_e32 v0, 0x10001, v0
	v_pk_fma_f16 v0, v6, v0, v8
	v_lshrrev_b32_e32 v8, 16, v1
	v_and_b32_e32 v1, 0xffff, v1
	v_mul_u32_u24_e32 v10, 0x10001, v10
	s_delay_alu instid0(VALU_DEP_3) | instskip(NEXT) | instid1(VALU_DEP_3)
	v_mul_u32_u24_e32 v8, 0x10001, v8
	v_mul_u32_u24_e32 v1, 0x10001, v1
	s_delay_alu instid0(VALU_DEP_3) | instskip(NEXT) | instid1(VALU_DEP_2)
	v_pk_fma_f16 v6, v6, v10, v9
	v_pk_fma_f16 v9, v7, v1, v0
	ds_load_2addr_b32 v[0:1], v93 offset0:64 offset1:96
	v_pk_fma_f16 v6, v7, v8, v6
	v_lshrrev_b32_e32 v7, 16, v2
	v_and_b32_e32 v2, 0xffff, v2
	s_delay_alu instid0(VALU_DEP_2) | instskip(NEXT) | instid1(VALU_DEP_2)
	v_mul_u32_u24_e32 v7, 0x10001, v7
	v_mul_u32_u24_e32 v2, 0x10001, v2
	s_wait_dscnt 0x0
	s_delay_alu instid0(VALU_DEP_1) | instskip(NEXT) | instid1(VALU_DEP_3)
	v_pk_fma_f16 v2, v0, v2, v9
	v_pk_fma_f16 v0, v0, v7, v6
	v_lshrrev_b32_e32 v6, 16, v3
	v_and_b32_e32 v3, 0xffff, v3
	s_delay_alu instid0(VALU_DEP_2) | instskip(NEXT) | instid1(VALU_DEP_2)
	v_mul_u32_u24_e32 v6, 0x10001, v6
	v_mul_u32_u24_e32 v3, 0x10001, v3
	s_delay_alu instid0(VALU_DEP_2) | instskip(NEXT) | instid1(VALU_DEP_2)
	v_pk_fma_f16 v9, v1, v6, v0
	v_pk_fma_f16 v8, v1, v3, v2
	ds_load_2addr_b32 v[6:7], v93 offset0:128 offset1:160
	ds_load_b128 v[0:3], v76 offset:304
	s_wait_dscnt 0x0
	v_lshrrev_b32_e32 v10, 16, v0
	v_and_b32_e32 v0, 0xffff, v0
	s_delay_alu instid0(VALU_DEP_1) | instskip(NEXT) | instid1(VALU_DEP_1)
	v_mul_u32_u24_e32 v0, 0x10001, v0
	v_pk_fma_f16 v0, v6, v0, v8
	v_lshrrev_b32_e32 v8, 16, v1
	v_and_b32_e32 v1, 0xffff, v1
	v_mul_u32_u24_e32 v10, 0x10001, v10
	s_delay_alu instid0(VALU_DEP_3) | instskip(NEXT) | instid1(VALU_DEP_3)
	v_mul_u32_u24_e32 v8, 0x10001, v8
	v_mul_u32_u24_e32 v1, 0x10001, v1
	s_delay_alu instid0(VALU_DEP_3) | instskip(NEXT) | instid1(VALU_DEP_2)
	v_pk_fma_f16 v6, v6, v10, v9
	v_pk_fma_f16 v9, v7, v1, v0
	ds_load_2addr_b32 v[0:1], v93 offset0:192 offset1:224
	v_pk_fma_f16 v6, v7, v8, v6
	v_lshrrev_b32_e32 v7, 16, v2
	v_and_b32_e32 v2, 0xffff, v2
	s_delay_alu instid0(VALU_DEP_2) | instskip(NEXT) | instid1(VALU_DEP_2)
	v_mul_u32_u24_e32 v7, 0x10001, v7
	v_mul_u32_u24_e32 v2, 0x10001, v2
	s_wait_dscnt 0x0
	s_delay_alu instid0(VALU_DEP_1) | instskip(NEXT) | instid1(VALU_DEP_3)
	v_pk_fma_f16 v2, v0, v2, v9
	v_pk_fma_f16 v0, v0, v7, v6
	v_lshrrev_b32_e32 v6, 16, v3
	v_and_b32_e32 v3, 0xffff, v3
	s_delay_alu instid0(VALU_DEP_2) | instskip(NEXT) | instid1(VALU_DEP_2)
	v_mul_u32_u24_e32 v6, 0x10001, v6
	v_mul_u32_u24_e32 v3, 0x10001, v3
	s_delay_alu instid0(VALU_DEP_2) | instskip(NEXT) | instid1(VALU_DEP_2)
	v_pk_fma_f16 v9, v1, v6, v0
	v_pk_fma_f16 v8, v1, v3, v2
	ds_load_2addr_b32 v[6:7], v94 offset1:32
	ds_load_b128 v[0:3], v76 offset:320
	s_wait_dscnt 0x0
	v_lshrrev_b32_e32 v10, 16, v0
	v_and_b32_e32 v0, 0xffff, v0
	s_delay_alu instid0(VALU_DEP_1) | instskip(NEXT) | instid1(VALU_DEP_1)
	v_mul_u32_u24_e32 v0, 0x10001, v0
	v_pk_fma_f16 v0, v6, v0, v8
	v_lshrrev_b32_e32 v8, 16, v1
	v_and_b32_e32 v1, 0xffff, v1
	v_mul_u32_u24_e32 v10, 0x10001, v10
	s_delay_alu instid0(VALU_DEP_3) | instskip(NEXT) | instid1(VALU_DEP_3)
	v_mul_u32_u24_e32 v8, 0x10001, v8
	v_mul_u32_u24_e32 v1, 0x10001, v1
	s_delay_alu instid0(VALU_DEP_3) | instskip(NEXT) | instid1(VALU_DEP_2)
	v_pk_fma_f16 v6, v6, v10, v9
	v_pk_fma_f16 v9, v7, v1, v0
	ds_load_2addr_b32 v[0:1], v94 offset0:64 offset1:96
	v_pk_fma_f16 v6, v7, v8, v6
	v_lshrrev_b32_e32 v7, 16, v2
	v_and_b32_e32 v2, 0xffff, v2
	s_delay_alu instid0(VALU_DEP_2) | instskip(NEXT) | instid1(VALU_DEP_2)
	v_mul_u32_u24_e32 v7, 0x10001, v7
	v_mul_u32_u24_e32 v2, 0x10001, v2
	s_wait_dscnt 0x0
	s_delay_alu instid0(VALU_DEP_1) | instskip(NEXT) | instid1(VALU_DEP_3)
	v_pk_fma_f16 v2, v0, v2, v9
	v_pk_fma_f16 v0, v0, v7, v6
	v_lshrrev_b32_e32 v6, 16, v3
	v_and_b32_e32 v3, 0xffff, v3
	s_delay_alu instid0(VALU_DEP_2) | instskip(NEXT) | instid1(VALU_DEP_2)
	v_mul_u32_u24_e32 v6, 0x10001, v6
	v_mul_u32_u24_e32 v3, 0x10001, v3
	s_delay_alu instid0(VALU_DEP_2) | instskip(NEXT) | instid1(VALU_DEP_2)
	v_pk_fma_f16 v9, v1, v6, v0
	v_pk_fma_f16 v8, v1, v3, v2
	ds_load_2addr_b32 v[6:7], v94 offset0:128 offset1:160
	ds_load_b128 v[0:3], v76 offset:336
	s_wait_dscnt 0x0
	v_lshrrev_b32_e32 v10, 16, v0
	v_and_b32_e32 v0, 0xffff, v0
	s_delay_alu instid0(VALU_DEP_1) | instskip(NEXT) | instid1(VALU_DEP_1)
	v_mul_u32_u24_e32 v0, 0x10001, v0
	v_pk_fma_f16 v0, v6, v0, v8
	v_lshrrev_b32_e32 v8, 16, v1
	v_and_b32_e32 v1, 0xffff, v1
	v_mul_u32_u24_e32 v10, 0x10001, v10
	s_delay_alu instid0(VALU_DEP_3) | instskip(NEXT) | instid1(VALU_DEP_3)
	v_mul_u32_u24_e32 v8, 0x10001, v8
	v_mul_u32_u24_e32 v1, 0x10001, v1
	s_delay_alu instid0(VALU_DEP_3) | instskip(NEXT) | instid1(VALU_DEP_2)
	v_pk_fma_f16 v6, v6, v10, v9
	v_pk_fma_f16 v9, v7, v1, v0
	ds_load_2addr_b32 v[0:1], v94 offset0:192 offset1:224
	v_pk_fma_f16 v6, v7, v8, v6
	v_lshrrev_b32_e32 v7, 16, v2
	v_and_b32_e32 v2, 0xffff, v2
	s_delay_alu instid0(VALU_DEP_2) | instskip(NEXT) | instid1(VALU_DEP_2)
	v_mul_u32_u24_e32 v7, 0x10001, v7
	v_mul_u32_u24_e32 v2, 0x10001, v2
	s_wait_dscnt 0x0
	s_delay_alu instid0(VALU_DEP_1) | instskip(NEXT) | instid1(VALU_DEP_3)
	v_pk_fma_f16 v2, v0, v2, v9
	v_pk_fma_f16 v0, v0, v7, v6
	v_lshrrev_b32_e32 v6, 16, v3
	v_and_b32_e32 v3, 0xffff, v3
	s_delay_alu instid0(VALU_DEP_2) | instskip(NEXT) | instid1(VALU_DEP_2)
	v_mul_u32_u24_e32 v6, 0x10001, v6
	v_mul_u32_u24_e32 v3, 0x10001, v3
	s_delay_alu instid0(VALU_DEP_2) | instskip(NEXT) | instid1(VALU_DEP_2)
	v_pk_fma_f16 v9, v1, v6, v0
	v_pk_fma_f16 v8, v1, v3, v2
	ds_load_2addr_b32 v[6:7], v95 offset1:32
	ds_load_b128 v[0:3], v76 offset:352
	s_wait_dscnt 0x0
	v_lshrrev_b32_e32 v10, 16, v0
	v_and_b32_e32 v0, 0xffff, v0
	s_delay_alu instid0(VALU_DEP_1) | instskip(NEXT) | instid1(VALU_DEP_1)
	v_mul_u32_u24_e32 v0, 0x10001, v0
	v_pk_fma_f16 v0, v6, v0, v8
	v_lshrrev_b32_e32 v8, 16, v1
	v_and_b32_e32 v1, 0xffff, v1
	v_mul_u32_u24_e32 v10, 0x10001, v10
	s_delay_alu instid0(VALU_DEP_3) | instskip(NEXT) | instid1(VALU_DEP_3)
	v_mul_u32_u24_e32 v8, 0x10001, v8
	v_mul_u32_u24_e32 v1, 0x10001, v1
	s_delay_alu instid0(VALU_DEP_3) | instskip(NEXT) | instid1(VALU_DEP_2)
	v_pk_fma_f16 v6, v6, v10, v9
	v_pk_fma_f16 v9, v7, v1, v0
	ds_load_2addr_b32 v[0:1], v95 offset0:64 offset1:96
	v_pk_fma_f16 v6, v7, v8, v6
	v_lshrrev_b32_e32 v7, 16, v2
	v_and_b32_e32 v2, 0xffff, v2
	s_delay_alu instid0(VALU_DEP_2) | instskip(NEXT) | instid1(VALU_DEP_2)
	v_mul_u32_u24_e32 v7, 0x10001, v7
	v_mul_u32_u24_e32 v2, 0x10001, v2
	s_wait_dscnt 0x0
	s_delay_alu instid0(VALU_DEP_1) | instskip(NEXT) | instid1(VALU_DEP_3)
	v_pk_fma_f16 v2, v0, v2, v9
	v_pk_fma_f16 v0, v0, v7, v6
	v_lshrrev_b32_e32 v6, 16, v3
	v_and_b32_e32 v3, 0xffff, v3
	s_delay_alu instid0(VALU_DEP_2) | instskip(NEXT) | instid1(VALU_DEP_2)
	v_mul_u32_u24_e32 v6, 0x10001, v6
	v_mul_u32_u24_e32 v3, 0x10001, v3
	s_delay_alu instid0(VALU_DEP_2) | instskip(NEXT) | instid1(VALU_DEP_2)
	v_pk_fma_f16 v9, v1, v6, v0
	v_pk_fma_f16 v8, v1, v3, v2
	ds_load_2addr_b32 v[6:7], v95 offset0:128 offset1:160
	ds_load_b128 v[0:3], v76 offset:368
	s_wait_dscnt 0x0
	v_lshrrev_b32_e32 v10, 16, v0
	v_and_b32_e32 v0, 0xffff, v0
	s_delay_alu instid0(VALU_DEP_1) | instskip(NEXT) | instid1(VALU_DEP_1)
	v_mul_u32_u24_e32 v0, 0x10001, v0
	v_pk_fma_f16 v0, v6, v0, v8
	v_lshrrev_b32_e32 v8, 16, v1
	v_and_b32_e32 v1, 0xffff, v1
	v_mul_u32_u24_e32 v10, 0x10001, v10
	s_delay_alu instid0(VALU_DEP_3) | instskip(NEXT) | instid1(VALU_DEP_3)
	v_mul_u32_u24_e32 v8, 0x10001, v8
	v_mul_u32_u24_e32 v1, 0x10001, v1
	s_delay_alu instid0(VALU_DEP_3) | instskip(NEXT) | instid1(VALU_DEP_2)
	v_pk_fma_f16 v6, v6, v10, v9
	v_pk_fma_f16 v9, v7, v1, v0
	ds_load_2addr_b32 v[0:1], v95 offset0:192 offset1:224
	v_pk_fma_f16 v6, v7, v8, v6
	v_lshrrev_b32_e32 v7, 16, v2
	v_and_b32_e32 v2, 0xffff, v2
	s_delay_alu instid0(VALU_DEP_2) | instskip(NEXT) | instid1(VALU_DEP_2)
	v_mul_u32_u24_e32 v7, 0x10001, v7
	v_mul_u32_u24_e32 v2, 0x10001, v2
	s_wait_dscnt 0x0
	s_delay_alu instid0(VALU_DEP_1) | instskip(NEXT) | instid1(VALU_DEP_3)
	v_pk_fma_f16 v2, v0, v2, v9
	v_pk_fma_f16 v0, v0, v7, v6
	v_lshrrev_b32_e32 v6, 16, v3
	v_and_b32_e32 v3, 0xffff, v3
	s_delay_alu instid0(VALU_DEP_2) | instskip(NEXT) | instid1(VALU_DEP_2)
	v_mul_u32_u24_e32 v6, 0x10001, v6
	v_mul_u32_u24_e32 v3, 0x10001, v3
	s_delay_alu instid0(VALU_DEP_2) | instskip(NEXT) | instid1(VALU_DEP_2)
	v_pk_fma_f16 v9, v1, v6, v0
	v_pk_fma_f16 v8, v1, v3, v2
	ds_load_2addr_b32 v[6:7], v96 offset1:32
	ds_load_b128 v[0:3], v76 offset:384
	s_wait_dscnt 0x0
	v_lshrrev_b32_e32 v10, 16, v0
	v_and_b32_e32 v0, 0xffff, v0
	s_delay_alu instid0(VALU_DEP_1) | instskip(NEXT) | instid1(VALU_DEP_1)
	v_mul_u32_u24_e32 v0, 0x10001, v0
	v_pk_fma_f16 v0, v6, v0, v8
	v_lshrrev_b32_e32 v8, 16, v1
	v_and_b32_e32 v1, 0xffff, v1
	v_mul_u32_u24_e32 v10, 0x10001, v10
	s_delay_alu instid0(VALU_DEP_3) | instskip(NEXT) | instid1(VALU_DEP_3)
	v_mul_u32_u24_e32 v8, 0x10001, v8
	v_mul_u32_u24_e32 v1, 0x10001, v1
	s_delay_alu instid0(VALU_DEP_3) | instskip(NEXT) | instid1(VALU_DEP_2)
	v_pk_fma_f16 v6, v6, v10, v9
	v_pk_fma_f16 v9, v7, v1, v0
	ds_load_2addr_b32 v[0:1], v96 offset0:64 offset1:96
	v_pk_fma_f16 v6, v7, v8, v6
	v_lshrrev_b32_e32 v7, 16, v2
	v_and_b32_e32 v2, 0xffff, v2
	s_delay_alu instid0(VALU_DEP_2) | instskip(NEXT) | instid1(VALU_DEP_2)
	v_mul_u32_u24_e32 v7, 0x10001, v7
	v_mul_u32_u24_e32 v2, 0x10001, v2
	s_wait_dscnt 0x0
	s_delay_alu instid0(VALU_DEP_1) | instskip(NEXT) | instid1(VALU_DEP_3)
	v_pk_fma_f16 v2, v0, v2, v9
	v_pk_fma_f16 v0, v0, v7, v6
	v_lshrrev_b32_e32 v6, 16, v3
	v_and_b32_e32 v3, 0xffff, v3
	s_delay_alu instid0(VALU_DEP_2) | instskip(NEXT) | instid1(VALU_DEP_2)
	v_mul_u32_u24_e32 v6, 0x10001, v6
	v_mul_u32_u24_e32 v3, 0x10001, v3
	s_delay_alu instid0(VALU_DEP_2) | instskip(NEXT) | instid1(VALU_DEP_2)
	v_pk_fma_f16 v9, v1, v6, v0
	v_pk_fma_f16 v8, v1, v3, v2
	ds_load_2addr_b32 v[6:7], v96 offset0:128 offset1:160
	ds_load_b128 v[0:3], v76 offset:400
	s_wait_dscnt 0x0
	v_lshrrev_b32_e32 v10, 16, v0
	v_and_b32_e32 v0, 0xffff, v0
	s_delay_alu instid0(VALU_DEP_1) | instskip(NEXT) | instid1(VALU_DEP_1)
	v_mul_u32_u24_e32 v0, 0x10001, v0
	v_pk_fma_f16 v0, v6, v0, v8
	v_lshrrev_b32_e32 v8, 16, v1
	v_and_b32_e32 v1, 0xffff, v1
	v_mul_u32_u24_e32 v10, 0x10001, v10
	s_delay_alu instid0(VALU_DEP_3) | instskip(NEXT) | instid1(VALU_DEP_3)
	v_mul_u32_u24_e32 v8, 0x10001, v8
	v_mul_u32_u24_e32 v1, 0x10001, v1
	s_delay_alu instid0(VALU_DEP_3) | instskip(NEXT) | instid1(VALU_DEP_2)
	v_pk_fma_f16 v6, v6, v10, v9
	v_pk_fma_f16 v9, v7, v1, v0
	ds_load_2addr_b32 v[0:1], v96 offset0:192 offset1:224
	v_pk_fma_f16 v6, v7, v8, v6
	v_lshrrev_b32_e32 v7, 16, v2
	v_and_b32_e32 v2, 0xffff, v2
	s_delay_alu instid0(VALU_DEP_2) | instskip(NEXT) | instid1(VALU_DEP_2)
	v_mul_u32_u24_e32 v7, 0x10001, v7
	v_mul_u32_u24_e32 v2, 0x10001, v2
	s_wait_dscnt 0x0
	s_delay_alu instid0(VALU_DEP_1) | instskip(NEXT) | instid1(VALU_DEP_3)
	v_pk_fma_f16 v2, v0, v2, v9
	v_pk_fma_f16 v0, v0, v7, v6
	v_lshrrev_b32_e32 v6, 16, v3
	v_and_b32_e32 v3, 0xffff, v3
	s_delay_alu instid0(VALU_DEP_2) | instskip(NEXT) | instid1(VALU_DEP_2)
	v_mul_u32_u24_e32 v6, 0x10001, v6
	v_mul_u32_u24_e32 v3, 0x10001, v3
	s_delay_alu instid0(VALU_DEP_2) | instskip(NEXT) | instid1(VALU_DEP_2)
	v_pk_fma_f16 v9, v1, v6, v0
	v_pk_fma_f16 v8, v1, v3, v2
	ds_load_2addr_b32 v[6:7], v97 offset1:32
	ds_load_b128 v[0:3], v76 offset:416
	s_wait_dscnt 0x0
	v_lshrrev_b32_e32 v10, 16, v0
	v_and_b32_e32 v0, 0xffff, v0
	s_delay_alu instid0(VALU_DEP_1) | instskip(NEXT) | instid1(VALU_DEP_1)
	v_mul_u32_u24_e32 v0, 0x10001, v0
	v_pk_fma_f16 v0, v6, v0, v8
	v_lshrrev_b32_e32 v8, 16, v1
	v_and_b32_e32 v1, 0xffff, v1
	v_mul_u32_u24_e32 v10, 0x10001, v10
	s_delay_alu instid0(VALU_DEP_3) | instskip(NEXT) | instid1(VALU_DEP_3)
	v_mul_u32_u24_e32 v8, 0x10001, v8
	v_mul_u32_u24_e32 v1, 0x10001, v1
	s_delay_alu instid0(VALU_DEP_3) | instskip(NEXT) | instid1(VALU_DEP_2)
	v_pk_fma_f16 v6, v6, v10, v9
	v_pk_fma_f16 v9, v7, v1, v0
	ds_load_2addr_b32 v[0:1], v97 offset0:64 offset1:96
	v_pk_fma_f16 v6, v7, v8, v6
	v_lshrrev_b32_e32 v7, 16, v2
	v_and_b32_e32 v2, 0xffff, v2
	s_delay_alu instid0(VALU_DEP_2) | instskip(NEXT) | instid1(VALU_DEP_2)
	v_mul_u32_u24_e32 v7, 0x10001, v7
	v_mul_u32_u24_e32 v2, 0x10001, v2
	s_wait_dscnt 0x0
	s_delay_alu instid0(VALU_DEP_1) | instskip(NEXT) | instid1(VALU_DEP_3)
	v_pk_fma_f16 v2, v0, v2, v9
	v_pk_fma_f16 v0, v0, v7, v6
	v_lshrrev_b32_e32 v6, 16, v3
	v_and_b32_e32 v3, 0xffff, v3
	s_delay_alu instid0(VALU_DEP_2) | instskip(NEXT) | instid1(VALU_DEP_2)
	v_mul_u32_u24_e32 v6, 0x10001, v6
	v_mul_u32_u24_e32 v3, 0x10001, v3
	s_delay_alu instid0(VALU_DEP_2) | instskip(NEXT) | instid1(VALU_DEP_2)
	v_pk_fma_f16 v9, v1, v6, v0
	v_pk_fma_f16 v8, v1, v3, v2
	ds_load_2addr_b32 v[6:7], v97 offset0:128 offset1:160
	ds_load_b128 v[0:3], v76 offset:432
	s_wait_dscnt 0x0
	v_lshrrev_b32_e32 v10, 16, v0
	v_and_b32_e32 v0, 0xffff, v0
	s_delay_alu instid0(VALU_DEP_1) | instskip(NEXT) | instid1(VALU_DEP_1)
	v_mul_u32_u24_e32 v0, 0x10001, v0
	v_pk_fma_f16 v0, v6, v0, v8
	v_lshrrev_b32_e32 v8, 16, v1
	v_and_b32_e32 v1, 0xffff, v1
	v_mul_u32_u24_e32 v10, 0x10001, v10
	s_delay_alu instid0(VALU_DEP_3) | instskip(NEXT) | instid1(VALU_DEP_3)
	v_mul_u32_u24_e32 v8, 0x10001, v8
	v_mul_u32_u24_e32 v1, 0x10001, v1
	s_delay_alu instid0(VALU_DEP_3) | instskip(NEXT) | instid1(VALU_DEP_2)
	v_pk_fma_f16 v6, v6, v10, v9
	v_pk_fma_f16 v9, v7, v1, v0
	ds_load_2addr_b32 v[0:1], v97 offset0:192 offset1:224
	v_pk_fma_f16 v6, v7, v8, v6
	v_lshrrev_b32_e32 v7, 16, v2
	v_and_b32_e32 v2, 0xffff, v2
	s_delay_alu instid0(VALU_DEP_2) | instskip(NEXT) | instid1(VALU_DEP_2)
	v_mul_u32_u24_e32 v7, 0x10001, v7
	v_mul_u32_u24_e32 v2, 0x10001, v2
	s_wait_dscnt 0x0
	s_delay_alu instid0(VALU_DEP_1) | instskip(NEXT) | instid1(VALU_DEP_3)
	v_pk_fma_f16 v2, v0, v2, v9
	v_pk_fma_f16 v0, v0, v7, v6
	v_lshrrev_b32_e32 v6, 16, v3
	v_and_b32_e32 v3, 0xffff, v3
	s_delay_alu instid0(VALU_DEP_2) | instskip(NEXT) | instid1(VALU_DEP_2)
	v_mul_u32_u24_e32 v6, 0x10001, v6
	v_mul_u32_u24_e32 v3, 0x10001, v3
	s_delay_alu instid0(VALU_DEP_2) | instskip(NEXT) | instid1(VALU_DEP_2)
	v_pk_fma_f16 v9, v1, v6, v0
	v_pk_fma_f16 v8, v1, v3, v2
	ds_load_2addr_b32 v[6:7], v98 offset1:32
	ds_load_b128 v[0:3], v76 offset:448
	s_wait_dscnt 0x0
	v_lshrrev_b32_e32 v10, 16, v0
	v_and_b32_e32 v0, 0xffff, v0
	s_delay_alu instid0(VALU_DEP_1) | instskip(NEXT) | instid1(VALU_DEP_1)
	v_mul_u32_u24_e32 v0, 0x10001, v0
	v_pk_fma_f16 v0, v6, v0, v8
	v_lshrrev_b32_e32 v8, 16, v1
	v_and_b32_e32 v1, 0xffff, v1
	v_mul_u32_u24_e32 v10, 0x10001, v10
	s_delay_alu instid0(VALU_DEP_3) | instskip(NEXT) | instid1(VALU_DEP_3)
	v_mul_u32_u24_e32 v8, 0x10001, v8
	v_mul_u32_u24_e32 v1, 0x10001, v1
	s_delay_alu instid0(VALU_DEP_3) | instskip(NEXT) | instid1(VALU_DEP_2)
	v_pk_fma_f16 v6, v6, v10, v9
	v_pk_fma_f16 v9, v7, v1, v0
	ds_load_2addr_b32 v[0:1], v98 offset0:64 offset1:96
	v_pk_fma_f16 v6, v7, v8, v6
	v_lshrrev_b32_e32 v7, 16, v2
	v_and_b32_e32 v2, 0xffff, v2
	s_delay_alu instid0(VALU_DEP_2) | instskip(NEXT) | instid1(VALU_DEP_2)
	v_mul_u32_u24_e32 v7, 0x10001, v7
	v_mul_u32_u24_e32 v2, 0x10001, v2
	s_wait_dscnt 0x0
	s_delay_alu instid0(VALU_DEP_1) | instskip(NEXT) | instid1(VALU_DEP_3)
	v_pk_fma_f16 v2, v0, v2, v9
	v_pk_fma_f16 v0, v0, v7, v6
	v_lshrrev_b32_e32 v6, 16, v3
	v_and_b32_e32 v3, 0xffff, v3
	s_delay_alu instid0(VALU_DEP_2) | instskip(NEXT) | instid1(VALU_DEP_2)
	v_mul_u32_u24_e32 v6, 0x10001, v6
	v_mul_u32_u24_e32 v3, 0x10001, v3
	s_delay_alu instid0(VALU_DEP_2) | instskip(NEXT) | instid1(VALU_DEP_2)
	v_pk_fma_f16 v9, v1, v6, v0
	v_pk_fma_f16 v8, v1, v3, v2
	ds_load_2addr_b32 v[6:7], v98 offset0:128 offset1:160
	ds_load_b128 v[0:3], v76 offset:464
	s_wait_dscnt 0x0
	v_lshrrev_b32_e32 v10, 16, v0
	v_and_b32_e32 v0, 0xffff, v0
	s_delay_alu instid0(VALU_DEP_1) | instskip(NEXT) | instid1(VALU_DEP_1)
	v_mul_u32_u24_e32 v0, 0x10001, v0
	v_pk_fma_f16 v0, v6, v0, v8
	v_lshrrev_b32_e32 v8, 16, v1
	v_and_b32_e32 v1, 0xffff, v1
	v_mul_u32_u24_e32 v10, 0x10001, v10
	s_delay_alu instid0(VALU_DEP_3) | instskip(NEXT) | instid1(VALU_DEP_3)
	v_mul_u32_u24_e32 v8, 0x10001, v8
	v_mul_u32_u24_e32 v1, 0x10001, v1
	s_delay_alu instid0(VALU_DEP_3) | instskip(NEXT) | instid1(VALU_DEP_2)
	v_pk_fma_f16 v6, v6, v10, v9
	v_pk_fma_f16 v9, v7, v1, v0
	ds_load_2addr_b32 v[0:1], v98 offset0:192 offset1:224
	v_pk_fma_f16 v6, v7, v8, v6
	v_lshrrev_b32_e32 v7, 16, v2
	v_and_b32_e32 v2, 0xffff, v2
	s_delay_alu instid0(VALU_DEP_2) | instskip(NEXT) | instid1(VALU_DEP_2)
	v_mul_u32_u24_e32 v7, 0x10001, v7
	v_mul_u32_u24_e32 v2, 0x10001, v2
	s_wait_dscnt 0x0
	s_delay_alu instid0(VALU_DEP_1) | instskip(NEXT) | instid1(VALU_DEP_3)
	v_pk_fma_f16 v2, v0, v2, v9
	v_pk_fma_f16 v0, v0, v7, v6
	v_lshrrev_b32_e32 v6, 16, v3
	v_and_b32_e32 v3, 0xffff, v3
	s_delay_alu instid0(VALU_DEP_2) | instskip(NEXT) | instid1(VALU_DEP_2)
	v_mul_u32_u24_e32 v6, 0x10001, v6
	v_mul_u32_u24_e32 v3, 0x10001, v3
	s_delay_alu instid0(VALU_DEP_1) | instskip(NEXT) | instid1(VALU_DEP_3)
	v_pk_fma_f16 v2, v1, v3, v2
	v_pk_fma_f16 v3, v1, v6, v0
	ds_load_2addr_b32 v[0:1], v99 offset1:32
	ds_load_b128 v[6:9], v76 offset:480
	s_wait_dscnt 0x0
	v_lshrrev_b32_e32 v10, 16, v6
	v_and_b32_e32 v6, 0xffff, v6
	s_delay_alu instid0(VALU_DEP_2) | instskip(NEXT) | instid1(VALU_DEP_2)
	v_mul_u32_u24_e32 v10, 0x10001, v10
	v_mul_u32_u24_e32 v6, 0x10001, v6
	s_delay_alu instid0(VALU_DEP_1) | instskip(NEXT) | instid1(VALU_DEP_3)
	v_pk_fma_f16 v2, v0, v6, v2
	v_pk_fma_f16 v0, v0, v10, v3
	v_lshrrev_b32_e32 v3, 16, v7
	v_and_b32_e32 v6, 0xffff, v7
	v_and_b32_e32 v7, 0xffff, v8
	s_delay_alu instid0(VALU_DEP_3) | instskip(NEXT) | instid1(VALU_DEP_3)
	v_mul_u32_u24_e32 v3, 0x10001, v3
	v_mul_u32_u24_e32 v6, 0x10001, v6
	s_delay_alu instid0(VALU_DEP_3) | instskip(NEXT) | instid1(VALU_DEP_3)
	v_mul_u32_u24_e32 v7, 0x10001, v7
	v_pk_fma_f16 v3, v1, v3, v0
	s_delay_alu instid0(VALU_DEP_3) | instskip(SKIP_2) | instid1(VALU_DEP_1)
	v_pk_fma_f16 v2, v1, v6, v2
	ds_load_2addr_b32 v[0:1], v99 offset0:64 offset1:96
	v_lshrrev_b32_e32 v6, 16, v8
	v_mul_u32_u24_e32 v6, 0x10001, v6
	s_wait_dscnt 0x0
	v_pk_fma_f16 v2, v0, v7, v2
	s_delay_alu instid0(VALU_DEP_2) | instskip(SKIP_2) | instid1(VALU_DEP_2)
	v_pk_fma_f16 v0, v0, v6, v3
	v_lshrrev_b32_e32 v3, 16, v9
	v_and_b32_e32 v6, 0xffff, v9
	v_mul_u32_u24_e32 v3, 0x10001, v3
	s_delay_alu instid0(VALU_DEP_2) | instskip(NEXT) | instid1(VALU_DEP_2)
	v_mul_u32_u24_e32 v6, 0x10001, v6
	v_pk_fma_f16 v9, v1, v3, v0
	s_delay_alu instid0(VALU_DEP_2)
	v_pk_fma_f16 v8, v1, v6, v2
	ds_load_2addr_b32 v[6:7], v99 offset0:128 offset1:160
	ds_load_b128 v[0:3], v76 offset:496
	s_wait_dscnt 0x0
	v_lshrrev_b32_e32 v10, 16, v0
	v_and_b32_e32 v0, 0xffff, v0
	s_delay_alu instid0(VALU_DEP_1) | instskip(NEXT) | instid1(VALU_DEP_1)
	v_mul_u32_u24_e32 v0, 0x10001, v0
	v_pk_fma_f16 v0, v6, v0, v8
	v_lshrrev_b32_e32 v8, 16, v1
	v_mul_u32_u24_e32 v10, 0x10001, v10
	v_and_b32_e32 v1, 0xffff, v1
	s_delay_alu instid0(VALU_DEP_3) | instskip(NEXT) | instid1(VALU_DEP_3)
	v_mul_u32_u24_e32 v8, 0x10001, v8
	v_pk_fma_f16 v6, v6, v10, v9
	s_delay_alu instid0(VALU_DEP_3) | instskip(NEXT) | instid1(VALU_DEP_1)
	v_mul_u32_u24_e32 v1, 0x10001, v1
	v_pk_fma_f16 v0, v7, v1, v0
	s_delay_alu instid0(VALU_DEP_3)
	v_pk_fma_f16 v1, v7, v8, v6
	ds_load_2addr_b32 v[6:7], v99 offset0:192 offset1:224
	s_wait_dscnt 0x0
	s_barrier_signal -1
	s_barrier_wait -1
	s_load_b32 s3, s[20:21], 0x4
	v_lshrrev_b32_e32 v8, 16, v2
	v_and_b32_e32 v2, 0xffff, v2
	s_delay_alu instid0(VALU_DEP_1) | instskip(NEXT) | instid1(VALU_DEP_1)
	v_mul_u32_u24_e32 v2, 0x10001, v2
	v_pk_fma_f16 v0, v6, v2, v0
	v_lshrrev_b32_e32 v2, 16, v3
	v_mul_u32_u24_e32 v8, 0x10001, v8
	v_and_b32_e32 v3, 0xffff, v3
	s_wait_kmcnt 0x0
	s_lshl_b32 s3, s3, 7
	v_mul_u32_u24_e32 v2, 0x10001, v2
	v_pk_fma_f16 v1, v6, v8, v1
	v_mul_u32_u24_e32 v3, 0x10001, v3
	s_add_co_i32 s4, s3, s4
	s_delay_alu instid0(SALU_CYCLE_1) | instskip(NEXT) | instid1(VALU_DEP_2)
	s_cmp_ge_i32 s4, s28
	v_pk_fma_f16 v100, v7, v2, v1
	s_delay_alu instid0(VALU_DEP_2)
	v_pk_fma_f16 v101, v7, v3, v0
	s_cbranch_scc0 .LBB13_9
; %bb.10:
	v_dual_mov_b32 v3, v63 :: v_dual_lshlrev_b32 v8, 1, v25
.LBB13_11:
	v_cmp_lt_i32_e32 vcc_lo, v71, v65
	s_cmp_lg_u64 s[12:13], 0
	s_cselect_b32 s3, -1, 0
	s_cmp_eq_u32 s29, 0
	v_cndmask_b32_e32 v0, v3, v71, vcc_lo
	v_cmp_lt_i32_e32 vcc_lo, v70, v65
	s_cselect_b32 s4, -1, 0
	s_delay_alu instid0(SALU_CYCLE_1) | instskip(NEXT) | instid1(VALU_DEP_2)
	s_and_b32 s3, s4, s3
	v_dual_cndmask_b32 v2, v3, v70 :: v_dual_lshlrev_b32 v1, 2, v0
	v_cmp_lt_i32_e32 vcc_lo, v69, v65
	s_delay_alu instid0(VALU_DEP_2)
	v_lshlrev_b32_e32 v2, 2, v2
	ds_bpermute_b32 v0, v1, v52
	ds_bpermute_b32 v1, v1, v53
	s_wait_dscnt 0x0
	v_pk_add_f32 v[0:1], v[52:53], v[0:1]
	ds_bpermute_b32 v6, v2, v0
	ds_bpermute_b32 v7, v2, v1
	v_cndmask_b32_e32 v2, v3, v69, vcc_lo
	v_cmp_lt_i32_e32 vcc_lo, v68, v65
	s_delay_alu instid0(VALU_DEP_2)
	v_lshlrev_b32_e32 v2, 2, v2
	s_wait_dscnt 0x0
	v_pk_add_f32 v[0:1], v[0:1], v[6:7]
	ds_bpermute_b32 v6, v2, v0
	ds_bpermute_b32 v7, v2, v1
	v_cndmask_b32_e32 v2, v3, v68, vcc_lo
	v_cmp_lt_i32_e32 vcc_lo, v67, v65
	s_delay_alu instid0(VALU_DEP_2)
	v_lshlrev_b32_e32 v2, 2, v2
	s_wait_dscnt 0x0
	v_pk_add_f32 v[0:1], v[0:1], v[6:7]
	ds_bpermute_b32 v6, v2, v0
	ds_bpermute_b32 v7, v2, v1
	v_cndmask_b32_e32 v2, v3, v67, vcc_lo
	s_and_b32 vcc_lo, exec_lo, s3
	s_mov_b32 s3, 0
	s_delay_alu instid0(VALU_DEP_1)
	v_lshlrev_b32_e32 v2, 2, v2
	s_wait_dscnt 0x0
	v_pk_add_f32 v[0:1], v[0:1], v[6:7]
	ds_bpermute_b32 v6, v2, v0
	ds_bpermute_b32 v7, v2, v1
	v_add_nc_u32_e32 v2, s33, v24
	s_cbranch_vccnz .LBB13_14
; %bb.12:
	v_add_nc_u32_e32 v3, s33, v24
	s_wait_dscnt 0x0
	v_pk_add_f32 v[0:1], v[0:1], v[6:7]
	s_and_not1_b32 vcc_lo, exec_lo, s3
	s_cbranch_vccz .LBB13_15
; %bb.13:
	v_mov_b32_e32 v2, v3
	s_branch .LBB13_16
.LBB13_14:
                                        ; implicit-def: $vgpr3
	s_wait_dscnt 0x0
	v_pk_add_f32 v[0:1], v[0:1], v[6:7]
.LBB13_15:
	s_delay_alu instid0(VALU_DEP_2) | instskip(NEXT) | instid1(VALU_DEP_1)
	v_dual_ashrrev_i32 v3, 31, v2 :: v_dual_max_num_f32 v11, v5, v5
	v_lshl_add_u64 v[6:7], v[2:3], 2, s[12:13]
	global_load_b64 v[6:7], v[6:7], off
	s_wait_loadcnt 0x0
	v_dual_max_num_f32 v3, v4, v4 :: v_dual_max_num_f32 v9, v6, v6
	s_delay_alu instid0(VALU_DEP_1) | instskip(NEXT) | instid1(VALU_DEP_1)
	v_max_num_f32_e32 v10, v3, v9
	v_dual_max_num_f32 v12, v7, v7 :: v_dual_sub_f32 v3, v4, v10
	s_delay_alu instid0(VALU_DEP_1) | instskip(NEXT) | instid1(VALU_DEP_2)
	v_max_num_f32_e32 v11, v11, v12
	v_cmp_ngt_f32_e32 vcc_lo, 0xc2ce8ed0, v3
	s_delay_alu instid0(VALU_DEP_2) | instskip(SKIP_1) | instid1(VALU_DEP_2)
	v_dual_sub_f32 v5, v5, v11 :: v_dual_sub_f32 v6, v6, v10
	v_mul_f32_e32 v4, 0x3fb8aa3b, v3
	v_dual_sub_f32 v7, v7, v11 :: v_dual_mul_f32 v12, 0x3fb8aa3b, v5
	s_delay_alu instid0(VALU_DEP_3) | instskip(NEXT) | instid1(VALU_DEP_3)
	v_mul_f32_e32 v9, 0x3fb8aa3b, v6
	v_fma_f32 v14, 0x3fb8aa3b, v3, -v4
	v_rndne_f32_e32 v15, v4
	s_delay_alu instid0(VALU_DEP_4) | instskip(NEXT) | instid1(VALU_DEP_4)
	v_fma_f32 v18, 0x3fb8aa3b, v5, -v12
	v_rndne_f32_e32 v17, v9
	s_delay_alu instid0(VALU_DEP_4) | instskip(NEXT) | instid1(VALU_DEP_4)
	v_fmac_f32_e32 v14, 0x32a5705f, v3
	v_sub_f32_e32 v4, v4, v15
	v_fma_f32 v16, 0x3fb8aa3b, v6, -v9
	v_rndne_f32_e32 v19, v12
	v_sub_f32_e32 v9, v9, v17
	s_delay_alu instid0(VALU_DEP_4) | instskip(SKIP_3) | instid1(VALU_DEP_4)
	v_dual_mul_f32 v13, 0x3fb8aa3b, v7 :: v_dual_add_f32 v4, v4, v14
	v_cvt_i32_f32_e32 v15, v15
	v_fmac_f32_e32 v16, 0x32a5705f, v6
	v_fmac_f32_e32 v18, 0x32a5705f, v5
	v_fma_f32 v20, 0x3fb8aa3b, v7, -v13
	v_rndne_f32_e32 v21, v13
	v_exp_f32_e32 v4, v4
	v_add_f32_e32 v9, v9, v16
	v_cvt_i32_f32_e32 v14, v17
	s_delay_alu instid0(VALU_DEP_3) | instskip(SKIP_2) | instid1(TRANS32_DEP_1)
	v_dual_fmac_f32 v20, 0x32a5705f, v7 :: v_dual_sub_f32 v13, v13, v21
	v_sub_f32_e32 v12, v12, v19
	v_cvt_i32_f32_e32 v17, v19
	v_ldexp_f32 v4, v4, v15
	v_exp_f32_e32 v9, v9
	s_delay_alu instid0(VALU_DEP_3) | instskip(SKIP_1) | instid1(VALU_DEP_3)
	v_dual_add_f32 v13, v13, v20 :: v_dual_add_f32 v12, v12, v18
	v_cvt_i32_f32_e32 v16, v21
	v_cndmask_b32_e32 v4, 0, v4, vcc_lo
	v_cmp_ngt_f32_e32 vcc_lo, 0xc2ce8ed0, v5
	s_delay_alu instid0(VALU_DEP_4) | instskip(SKIP_2) | instid1(TRANS32_DEP_1)
	v_exp_f32_e32 v13, v13
	v_exp_f32_e32 v12, v12
	v_nop
	v_ldexp_f32 v12, v12, v17
	s_delay_alu instid0(VALU_DEP_1)
	v_cndmask_b32_e32 v12, 0, v12, vcc_lo
	v_cmp_nlt_f32_e32 vcc_lo, 0x42b17218, v3
	v_ldexp_f32 v3, v9, v14
	v_ldexp_f32 v9, v13, v16
	v_cndmask_b32_e32 v4, 0x7f800000, v4, vcc_lo
	v_cmp_nlt_f32_e32 vcc_lo, 0x42b17218, v5
	v_cndmask_b32_e32 v5, 0x7f800000, v12, vcc_lo
	v_cmp_ngt_f32_e32 vcc_lo, 0xc2ce8ed0, v6
	s_delay_alu instid0(VALU_DEP_4) | instskip(NEXT) | instid1(VALU_DEP_3)
	v_cvt_f16_f32_e32 v12, v4
	v_cvt_f16_f32_e32 v13, v5
	v_cndmask_b32_e32 v3, 0, v3, vcc_lo
	v_cmp_ngt_f32_e32 vcc_lo, 0xc2ce8ed0, v7
	s_delay_alu instid0(VALU_DEP_4) | instskip(NEXT) | instid1(VALU_DEP_4)
	v_and_b32_e32 v12, 0xffff, v12
	v_and_b32_e32 v13, 0xffff, v13
	v_cndmask_b32_e32 v9, 0, v9, vcc_lo
	v_cmp_nlt_f32_e32 vcc_lo, 0x42b17218, v6
	v_cndmask_b32_e32 v6, 0x7f800000, v3, vcc_lo
	v_cmp_nlt_f32_e32 vcc_lo, 0x42b17218, v7
	v_mul_u32_u24_e32 v3, 0x10001, v12
	v_cndmask_b32_e32 v7, 0x7f800000, v9, vcc_lo
	v_mul_u32_u24_e32 v9, 0x10001, v13
	s_delay_alu instid0(VALU_DEP_3) | instskip(NEXT) | instid1(VALU_DEP_3)
	v_pk_mul_f16 v101, v101, v3
	v_pk_fma_f32 v[0:1], v[0:1], v[4:5], v[6:7]
	v_mov_b64_e32 v[4:5], v[10:11]
	s_delay_alu instid0(VALU_DEP_4)
	v_pk_mul_f16 v100, v100, v9
.LBB13_16:
	s_load_b32 s0, s[0:1], 0xd4
	v_mov_b32_e32 v6, 1.0
	s_wait_kmcnt 0x0
	s_cmp_lg_u32 s0, 1
	s_cselect_b32 s3, -1, 0
	s_cmp_eq_u32 s0, 1
	s_cselect_b32 s1, -1, 0
	s_and_b32 vcc_lo, exec_lo, s3
	s_cbranch_vccnz .LBB13_18
; %bb.17:
	v_div_scale_f32 v3, null, v0, v0, 1.0
	s_delay_alu instid0(VALU_DEP_1) | instskip(SKIP_1) | instid1(TRANS32_DEP_1)
	v_rcp_f32_e32 v6, v3
	v_nop
	v_fma_f32 v7, -v3, v6, 1.0
	s_delay_alu instid0(VALU_DEP_1) | instskip(SKIP_1) | instid1(VALU_DEP_1)
	v_fmac_f32_e32 v6, v7, v6
	v_div_scale_f32 v7, vcc_lo, 1.0, v0, 1.0
	v_mul_f32_e32 v9, v7, v6
	s_delay_alu instid0(VALU_DEP_1) | instskip(NEXT) | instid1(VALU_DEP_1)
	v_fma_f32 v10, -v3, v9, v7
	v_fmac_f32_e32 v9, v10, v6
	s_delay_alu instid0(VALU_DEP_1) | instskip(NEXT) | instid1(VALU_DEP_1)
	v_fma_f32 v3, -v3, v9, v7
	v_div_fmas_f32 v3, v3, v6, v9
	s_delay_alu instid0(VALU_DEP_1)
	v_div_fixup_f32 v6, v3, v0, 1.0
.LBB13_18:
	v_mad_u32 v3, s2, s22, v62
	v_cvt_f32_f16_e32 v12, v101
	v_cmp_eq_u32_e32 vcc_lo, 0, v25
	v_mov_b32_e32 v11, 0
	s_and_b32 s2, vcc_lo, s3
	s_delay_alu instid0(VALU_DEP_4) | instskip(SKIP_1) | instid1(VALU_DEP_1)
	v_mad_u32 v2, v3, s23, v2
	v_lshrrev_b32_e32 v3, 16, v101
	v_cvt_f32_f16_e32 v13, v3
	s_delay_alu instid0(VALU_DEP_1) | instskip(NEXT) | instid1(VALU_DEP_4)
	v_pk_mul_f32 v[6:7], v[6:7], v[12:13] op_sel_hi:[0,1]
	v_mad_u32 v2, s0, v2, s29
	s_delay_alu instid0(VALU_DEP_1) | instskip(NEXT) | instid1(VALU_DEP_1)
	v_lshl_add_u32 v10, v2, 6, v8
	v_lshl_add_u64 v[10:11], v[10:11], 2, s[16:17]
	global_store_b64 v[10:11], v[6:7], off
	s_wait_xcnt 0x0
	s_and_saveexec_b32 s3, s2
	s_cbranch_execz .LBB13_20
; %bb.19:
	v_dual_mov_b32 v6, v4 :: v_dual_mov_b32 v7, v0
	global_store_b64 v2, v[6:7], s[18:19] scale_offset
.LBB13_20:
	s_wait_xcnt 0x0
	s_or_b32 exec_lo, exec_lo, s3
	v_mov_b32_e32 v0, 1.0
	s_and_not1_b32 vcc_lo, exec_lo, s1
	s_cbranch_vccnz .LBB13_22
; %bb.21:
	v_div_scale_f32 v0, null, v1, v1, 1.0
	s_delay_alu instid0(VALU_DEP_1) | instskip(SKIP_1) | instid1(TRANS32_DEP_1)
	v_rcp_f32_e32 v3, v0
	v_nop
	v_fma_f32 v4, -v0, v3, 1.0
	s_delay_alu instid0(VALU_DEP_1) | instskip(SKIP_1) | instid1(VALU_DEP_1)
	v_fmac_f32_e32 v3, v4, v3
	v_div_scale_f32 v4, vcc_lo, 1.0, v1, 1.0
	v_mul_f32_e32 v6, v4, v3
	s_delay_alu instid0(VALU_DEP_1) | instskip(NEXT) | instid1(VALU_DEP_1)
	v_fma_f32 v7, -v0, v6, v4
	v_fmac_f32_e32 v6, v7, v3
	s_delay_alu instid0(VALU_DEP_1) | instskip(NEXT) | instid1(VALU_DEP_1)
	v_fma_f32 v0, -v0, v6, v4
	v_div_fmas_f32 v0, v0, v3, v6
	s_delay_alu instid0(VALU_DEP_1)
	v_div_fixup_f32 v0, v0, v1, 1.0
.LBB13_22:
	v_dual_add_nc_u32 v2, s0, v2 :: v_dual_lshrrev_b32 v3, 16, v100
	v_mov_b32_e32 v7, 0
	v_cvt_f32_f16_e32 v10, v100
	s_delay_alu instid0(VALU_DEP_3) | instskip(NEXT) | instid1(VALU_DEP_4)
	v_lshl_add_u32 v6, v2, 6, v8
	v_cvt_f32_f16_e32 v11, v3
	s_delay_alu instid0(VALU_DEP_2) | instskip(NEXT) | instid1(VALU_DEP_2)
	v_lshl_add_u64 v[6:7], v[6:7], 2, s[16:17]
	v_pk_mul_f32 v[8:9], v[0:1], v[10:11] op_sel_hi:[0,1]
	global_store_b64 v[6:7], v[8:9], off
	s_wait_xcnt 0x0
	s_and_saveexec_b32 s0, s2
	s_cbranch_execz .LBB13_24
; %bb.23:
	v_mov_b32_e32 v0, v5
	global_store_b64 v2, v[0:1], s[18:19] scale_offset
.LBB13_24:
	s_sendmsg sendmsg(MSG_DEALLOC_VGPRS)
	s_endpgm
	.section	.rodata,"a",@progbits
	.p2align	6, 0x0
	.amdhsa_kernel _ZL15flash_attn_tileILi64ELi64ELi1ELi8ELb0EEvPKcS1_S1_S1_S1_PKiPfP15HIP_vector_typeIfLj2EEffffjfiS5_IjLj3EEiiiiiiiiiiiliiliiiiil
		.amdhsa_group_segment_fixed_size 21504
		.amdhsa_private_segment_fixed_size 0
		.amdhsa_kernarg_size 464
		.amdhsa_user_sgpr_count 2
		.amdhsa_user_sgpr_dispatch_ptr 0
		.amdhsa_user_sgpr_queue_ptr 0
		.amdhsa_user_sgpr_kernarg_segment_ptr 1
		.amdhsa_user_sgpr_dispatch_id 0
		.amdhsa_user_sgpr_kernarg_preload_length 0
		.amdhsa_user_sgpr_kernarg_preload_offset 0
		.amdhsa_user_sgpr_private_segment_size 0
		.amdhsa_wavefront_size32 1
		.amdhsa_uses_dynamic_stack 0
		.amdhsa_enable_private_segment 0
		.amdhsa_system_sgpr_workgroup_id_x 1
		.amdhsa_system_sgpr_workgroup_id_y 1
		.amdhsa_system_sgpr_workgroup_id_z 1
		.amdhsa_system_sgpr_workgroup_info 0
		.amdhsa_system_vgpr_workitem_id 1
		.amdhsa_next_free_vgpr 122
		.amdhsa_next_free_sgpr 43
		.amdhsa_named_barrier_count 0
		.amdhsa_reserve_vcc 1
		.amdhsa_float_round_mode_32 0
		.amdhsa_float_round_mode_16_64 0
		.amdhsa_float_denorm_mode_32 3
		.amdhsa_float_denorm_mode_16_64 3
		.amdhsa_fp16_overflow 0
		.amdhsa_memory_ordered 1
		.amdhsa_forward_progress 1
		.amdhsa_inst_pref_size 109
		.amdhsa_round_robin_scheduling 0
		.amdhsa_exception_fp_ieee_invalid_op 0
		.amdhsa_exception_fp_denorm_src 0
		.amdhsa_exception_fp_ieee_div_zero 0
		.amdhsa_exception_fp_ieee_overflow 0
		.amdhsa_exception_fp_ieee_underflow 0
		.amdhsa_exception_fp_ieee_inexact 0
		.amdhsa_exception_int_div_zero 0
	.end_amdhsa_kernel
	.section	.text._ZL15flash_attn_tileILi64ELi64ELi1ELi8ELb0EEvPKcS1_S1_S1_S1_PKiPfP15HIP_vector_typeIfLj2EEffffjfiS5_IjLj3EEiiiiiiiiiiiliiliiiiil,"axG",@progbits,_ZL15flash_attn_tileILi64ELi64ELi1ELi8ELb0EEvPKcS1_S1_S1_S1_PKiPfP15HIP_vector_typeIfLj2EEffffjfiS5_IjLj3EEiiiiiiiiiiiliiliiiiil,comdat
.Lfunc_end13:
	.size	_ZL15flash_attn_tileILi64ELi64ELi1ELi8ELb0EEvPKcS1_S1_S1_S1_PKiPfP15HIP_vector_typeIfLj2EEffffjfiS5_IjLj3EEiiiiiiiiiiiliiliiiiil, .Lfunc_end13-_ZL15flash_attn_tileILi64ELi64ELi1ELi8ELb0EEvPKcS1_S1_S1_S1_PKiPfP15HIP_vector_typeIfLj2EEffffjfiS5_IjLj3EEiiiiiiiiiiiliiliiiiil
                                        ; -- End function
	.set _ZL15flash_attn_tileILi64ELi64ELi1ELi8ELb0EEvPKcS1_S1_S1_S1_PKiPfP15HIP_vector_typeIfLj2EEffffjfiS5_IjLj3EEiiiiiiiiiiiliiliiiiil.num_vgpr, 122
	.set _ZL15flash_attn_tileILi64ELi64ELi1ELi8ELb0EEvPKcS1_S1_S1_S1_PKiPfP15HIP_vector_typeIfLj2EEffffjfiS5_IjLj3EEiiiiiiiiiiiliiliiiiil.num_agpr, 0
	.set _ZL15flash_attn_tileILi64ELi64ELi1ELi8ELb0EEvPKcS1_S1_S1_S1_PKiPfP15HIP_vector_typeIfLj2EEffffjfiS5_IjLj3EEiiiiiiiiiiiliiliiiiil.numbered_sgpr, 43
	.set _ZL15flash_attn_tileILi64ELi64ELi1ELi8ELb0EEvPKcS1_S1_S1_S1_PKiPfP15HIP_vector_typeIfLj2EEffffjfiS5_IjLj3EEiiiiiiiiiiiliiliiiiil.num_named_barrier, 0
	.set _ZL15flash_attn_tileILi64ELi64ELi1ELi8ELb0EEvPKcS1_S1_S1_S1_PKiPfP15HIP_vector_typeIfLj2EEffffjfiS5_IjLj3EEiiiiiiiiiiiliiliiiiil.private_seg_size, 0
	.set _ZL15flash_attn_tileILi64ELi64ELi1ELi8ELb0EEvPKcS1_S1_S1_S1_PKiPfP15HIP_vector_typeIfLj2EEffffjfiS5_IjLj3EEiiiiiiiiiiiliiliiiiil.uses_vcc, 1
	.set _ZL15flash_attn_tileILi64ELi64ELi1ELi8ELb0EEvPKcS1_S1_S1_S1_PKiPfP15HIP_vector_typeIfLj2EEffffjfiS5_IjLj3EEiiiiiiiiiiiliiliiiiil.uses_flat_scratch, 0
	.set _ZL15flash_attn_tileILi64ELi64ELi1ELi8ELb0EEvPKcS1_S1_S1_S1_PKiPfP15HIP_vector_typeIfLj2EEffffjfiS5_IjLj3EEiiiiiiiiiiiliiliiiiil.has_dyn_sized_stack, 0
	.set _ZL15flash_attn_tileILi64ELi64ELi1ELi8ELb0EEvPKcS1_S1_S1_S1_PKiPfP15HIP_vector_typeIfLj2EEffffjfiS5_IjLj3EEiiiiiiiiiiiliiliiiiil.has_recursion, 0
	.set _ZL15flash_attn_tileILi64ELi64ELi1ELi8ELb0EEvPKcS1_S1_S1_S1_PKiPfP15HIP_vector_typeIfLj2EEffffjfiS5_IjLj3EEiiiiiiiiiiiliiliiiiil.has_indirect_call, 0
	.section	.AMDGPU.csdata,"",@progbits
; Kernel info:
; codeLenInByte = 13868
; TotalNumSgprs: 45
; NumVgprs: 122
; ScratchSize: 0
; MemoryBound: 0
; FloatMode: 240
; IeeeMode: 1
; LDSByteSize: 21504 bytes/workgroup (compile time only)
; SGPRBlocks: 0
; VGPRBlocks: 7
; NumSGPRsForWavesPerEU: 45
; NumVGPRsForWavesPerEU: 122
; NamedBarCnt: 0
; Occupancy: 8
; WaveLimiterHint : 1
; COMPUTE_PGM_RSRC2:SCRATCH_EN: 0
; COMPUTE_PGM_RSRC2:USER_SGPR: 2
; COMPUTE_PGM_RSRC2:TRAP_HANDLER: 0
; COMPUTE_PGM_RSRC2:TGID_X_EN: 1
; COMPUTE_PGM_RSRC2:TGID_Y_EN: 1
; COMPUTE_PGM_RSRC2:TGID_Z_EN: 1
; COMPUTE_PGM_RSRC2:TIDIG_COMP_CNT: 1
	.section	.text._ZL25flash_attn_mask_to_KV_maxILi1EEvPK7__half2Piiii,"axG",@progbits,_ZL25flash_attn_mask_to_KV_maxILi1EEvPK7__half2Piiii,comdat
	.globl	_ZL25flash_attn_mask_to_KV_maxILi1EEvPK7__half2Piiii ; -- Begin function _ZL25flash_attn_mask_to_KV_maxILi1EEvPK7__half2Piiii
	.p2align	8
	.type	_ZL25flash_attn_mask_to_KV_maxILi1EEvPK7__half2Piiii,@function
_ZL25flash_attn_mask_to_KV_maxILi1EEvPK7__half2Piiii: ; @_ZL25flash_attn_mask_to_KV_maxILi1EEvPK7__half2Piiii
; %bb.0:
	s_load_b128 s[4:7], s[0:1], 0x0
	s_mov_b32 s2, exec_lo
	v_cmpx_gt_u32_e32 32, v0
; %bb.1:
	v_dual_mov_b32 v2, 1 :: v_dual_lshlrev_b32 v1, 2, v0
	ds_store_b32 v1, v2
; %bb.2:
	s_or_b32 exec_lo, exec_lo, s2
	s_clause 0x1
	s_load_b96 s[8:10], s[0:1], 0x10
	s_load_b32 s11, s[0:1], 0x20
	s_wait_xcnt 0x0
	s_bfe_u32 s1, ttmp6, 0x4000c
	s_bfe_u32 s2, ttmp6, 0x40010
	s_add_co_i32 s1, s1, 1
	s_add_co_i32 s2, s2, 1
	s_and_b32 s0, ttmp6, 15
	s_bfe_u32 s3, ttmp6, 0x40004
	s_mul_i32 s1, ttmp9, s1
	s_mul_i32 s2, ttmp7, s2
	s_getreg_b32 s12, hwreg(HW_REG_IB_STS2, 6, 4)
	s_add_co_i32 s0, s0, s1
	s_add_co_i32 s3, s3, s2
	s_cmp_eq_u32 s12, 0
	v_dual_lshrrev_b32 v1, 3, v0 :: v_dual_bitop2_b32 v2, 31, v0 bitop3:0x40
	s_cselect_b32 s1, ttmp7, s3
	s_cselect_b32 s12, ttmp9, s0
	s_wait_dscnt 0x0
	s_barrier_signal -1
	s_wait_kmcnt 0x0
	s_mul_i32 s0, s10, s1
	s_mul_i32 s2, s9, s12
	s_barrier_wait -1
	s_add_co_i32 s2, s0, s2
	v_cmp_eq_u32_e64 s0, 0, v2
	s_ashr_i32 s3, s2, 31
	v_lshlrev_b32_e32 v2, 2, v2
	s_lshl_b64 s[2:3], s[2:3], 2
	s_delay_alu instid0(SALU_CYCLE_1)
	s_add_nc_u64 s[2:3], s[4:5], s[2:3]
	s_lshl_b32 s5, s8, 8
	s_branch .LBB14_4
.LBB14_3:                               ;   in Loop: Header=BB14_4 Depth=1
	s_or_b32 exec_lo, exec_lo, s9
	s_wait_dscnt 0x0
	s_barrier_signal -1
	s_barrier_wait -1
	ds_load_b32 v3, v2
	s_wait_dscnt 0x0
	s_barrier_signal -1
	s_barrier_wait -1
	v_cmp_ne_u32_e32 vcc_lo, 0, v3
	s_cmp_lg_u32 vcc_lo, exec_lo
	s_cselect_b32 s8, -1, 0
	s_delay_alu instid0(SALU_CYCLE_1)
	s_and_b32 vcc_lo, exec_lo, s8
	s_cbranch_vccnz .LBB14_8
.LBB14_4:                               ; =>This Inner Loop Header: Depth=1
	s_mov_b32 s4, s5
	s_addk_co_i32 s5, 0xff00
	s_delay_alu instid0(SALU_CYCLE_1)
	s_cmp_lt_i32 s5, 0
	s_cbranch_scc1 .LBB14_7
; %bb.5:                                ;   in Loop: Header=BB14_4 Depth=1
	s_lshr_b32 s9, s5, 1
	s_mov_b32 s8, exec_lo
	v_add_nc_u32_e32 v3, s9, v0
	global_load_b32 v3, v3, s[2:3] scale_offset
	s_wait_loadcnt 0x0
	v_lshrrev_b32_e32 v4, 16, v3
	v_cmp_class_f16_e64 s9, v3, 0x204
	s_delay_alu instid0(VALU_DEP_2) | instskip(SKIP_1) | instid1(SALU_CYCLE_1)
	v_cmp_class_f16_e64 s10, v4, 0x204
	s_and_b32 s9, s9, s10
	v_cndmask_b32_e64 v3, 0, 1, s9
	s_delay_alu instid0(VALU_DEP_1)
	v_cmp_ne_u32_e32 vcc_lo, 0, v3
	s_and_saveexec_b32 s9, s0
	s_cbranch_execz .LBB14_3
; %bb.6:                                ;   in Loop: Header=BB14_4 Depth=1
	s_cmp_eq_u32 vcc_lo, s8
	s_cselect_b32 s8, -1, 0
	s_delay_alu instid0(SALU_CYCLE_1)
	v_cndmask_b32_e64 v3, 0, 1, s8
	ds_store_b32 v1, v3
	s_branch .LBB14_3
.LBB14_7:                               ;   in Loop: Header=BB14_4 Depth=1
	s_cbranch_execz .LBB14_4
.LBB14_8:
	s_mov_b32 s0, exec_lo
	v_cmpx_eq_u32_e32 0, v0
	s_cbranch_execz .LBB14_10
; %bb.9:
	s_mul_i32 s0, s11, s1
	v_mov_b32_e32 v1, s4
	s_add_co_i32 s0, s0, s12
	s_delay_alu instid0(SALU_CYCLE_1)
	v_mov_b32_e32 v0, s0
	global_store_b32 v0, v1, s[6:7] scale_offset
.LBB14_10:
	s_endpgm
	.section	.rodata,"a",@progbits
	.p2align	6, 0x0
	.amdhsa_kernel _ZL25flash_attn_mask_to_KV_maxILi1EEvPK7__half2Piiii
		.amdhsa_group_segment_fixed_size 128
		.amdhsa_private_segment_fixed_size 0
		.amdhsa_kernarg_size 288
		.amdhsa_user_sgpr_count 2
		.amdhsa_user_sgpr_dispatch_ptr 0
		.amdhsa_user_sgpr_queue_ptr 0
		.amdhsa_user_sgpr_kernarg_segment_ptr 1
		.amdhsa_user_sgpr_dispatch_id 0
		.amdhsa_user_sgpr_kernarg_preload_length 0
		.amdhsa_user_sgpr_kernarg_preload_offset 0
		.amdhsa_user_sgpr_private_segment_size 0
		.amdhsa_wavefront_size32 1
		.amdhsa_uses_dynamic_stack 0
		.amdhsa_enable_private_segment 0
		.amdhsa_system_sgpr_workgroup_id_x 1
		.amdhsa_system_sgpr_workgroup_id_y 1
		.amdhsa_system_sgpr_workgroup_id_z 0
		.amdhsa_system_sgpr_workgroup_info 0
		.amdhsa_system_vgpr_workitem_id 0
		.amdhsa_next_free_vgpr 5
		.amdhsa_next_free_sgpr 13
		.amdhsa_named_barrier_count 0
		.amdhsa_reserve_vcc 1
		.amdhsa_float_round_mode_32 0
		.amdhsa_float_round_mode_16_64 0
		.amdhsa_float_denorm_mode_32 3
		.amdhsa_float_denorm_mode_16_64 3
		.amdhsa_fp16_overflow 0
		.amdhsa_memory_ordered 1
		.amdhsa_forward_progress 1
		.amdhsa_inst_pref_size 4
		.amdhsa_round_robin_scheduling 0
		.amdhsa_exception_fp_ieee_invalid_op 0
		.amdhsa_exception_fp_denorm_src 0
		.amdhsa_exception_fp_ieee_div_zero 0
		.amdhsa_exception_fp_ieee_overflow 0
		.amdhsa_exception_fp_ieee_underflow 0
		.amdhsa_exception_fp_ieee_inexact 0
		.amdhsa_exception_int_div_zero 0
	.end_amdhsa_kernel
	.section	.text._ZL25flash_attn_mask_to_KV_maxILi1EEvPK7__half2Piiii,"axG",@progbits,_ZL25flash_attn_mask_to_KV_maxILi1EEvPK7__half2Piiii,comdat
.Lfunc_end14:
	.size	_ZL25flash_attn_mask_to_KV_maxILi1EEvPK7__half2Piiii, .Lfunc_end14-_ZL25flash_attn_mask_to_KV_maxILi1EEvPK7__half2Piiii
                                        ; -- End function
	.set _ZL25flash_attn_mask_to_KV_maxILi1EEvPK7__half2Piiii.num_vgpr, 5
	.set _ZL25flash_attn_mask_to_KV_maxILi1EEvPK7__half2Piiii.num_agpr, 0
	.set _ZL25flash_attn_mask_to_KV_maxILi1EEvPK7__half2Piiii.numbered_sgpr, 13
	.set _ZL25flash_attn_mask_to_KV_maxILi1EEvPK7__half2Piiii.num_named_barrier, 0
	.set _ZL25flash_attn_mask_to_KV_maxILi1EEvPK7__half2Piiii.private_seg_size, 0
	.set _ZL25flash_attn_mask_to_KV_maxILi1EEvPK7__half2Piiii.uses_vcc, 1
	.set _ZL25flash_attn_mask_to_KV_maxILi1EEvPK7__half2Piiii.uses_flat_scratch, 0
	.set _ZL25flash_attn_mask_to_KV_maxILi1EEvPK7__half2Piiii.has_dyn_sized_stack, 0
	.set _ZL25flash_attn_mask_to_KV_maxILi1EEvPK7__half2Piiii.has_recursion, 0
	.set _ZL25flash_attn_mask_to_KV_maxILi1EEvPK7__half2Piiii.has_indirect_call, 0
	.section	.AMDGPU.csdata,"",@progbits
; Kernel info:
; codeLenInByte = 456
; TotalNumSgprs: 15
; NumVgprs: 5
; ScratchSize: 0
; MemoryBound: 0
; FloatMode: 240
; IeeeMode: 1
; LDSByteSize: 128 bytes/workgroup (compile time only)
; SGPRBlocks: 0
; VGPRBlocks: 0
; NumSGPRsForWavesPerEU: 15
; NumVGPRsForWavesPerEU: 5
; NamedBarCnt: 0
; Occupancy: 16
; WaveLimiterHint : 0
; COMPUTE_PGM_RSRC2:SCRATCH_EN: 0
; COMPUTE_PGM_RSRC2:USER_SGPR: 2
; COMPUTE_PGM_RSRC2:TRAP_HANDLER: 0
; COMPUTE_PGM_RSRC2:TGID_X_EN: 1
; COMPUTE_PGM_RSRC2:TGID_Y_EN: 1
; COMPUTE_PGM_RSRC2:TGID_Z_EN: 0
; COMPUTE_PGM_RSRC2:TIDIG_COMP_CNT: 0
	.section	.text._ZL33flash_attn_stream_k_fixup_uniformILi64ELi1ELi8EEvPfPK15HIP_vector_typeIfLj2EEiiiiiiS1_IjLj3EES5_S5_,"axG",@progbits,_ZL33flash_attn_stream_k_fixup_uniformILi64ELi1ELi8EEvPfPK15HIP_vector_typeIfLj2EEiiiiiiS1_IjLj3EES5_S5_,comdat
	.globl	_ZL33flash_attn_stream_k_fixup_uniformILi64ELi1ELi8EEvPfPK15HIP_vector_typeIfLj2EEiiiiiiS1_IjLj3EES5_S5_ ; -- Begin function _ZL33flash_attn_stream_k_fixup_uniformILi64ELi1ELi8EEvPfPK15HIP_vector_typeIfLj2EEiiiiiiS1_IjLj3EES5_S5_
	.p2align	8
	.type	_ZL33flash_attn_stream_k_fixup_uniformILi64ELi1ELi8EEvPfPK15HIP_vector_typeIfLj2EEiiiiiiS1_IjLj3EES5_S5_,@function
_ZL33flash_attn_stream_k_fixup_uniformILi64ELi1ELi8EEvPfPK15HIP_vector_typeIfLj2EEiiiiiiS1_IjLj3EES5_S5_: ; @_ZL33flash_attn_stream_k_fixup_uniformILi64ELi1ELi8EEvPfPK15HIP_vector_typeIfLj2EEiiiiiiS1_IjLj3EES5_S5_
; %bb.0:
	s_load_b256 s[4:11], s[0:1], 0x1c
	s_bfe_u32 s2, ttmp6, 0x40014
	s_lshr_b32 s3, ttmp7, 16
	s_add_co_i32 s2, s2, 1
	s_bfe_u32 s13, ttmp6, 0x40010
	s_mul_i32 s2, s3, s2
	s_bfe_u32 s12, ttmp6, 0x40008
	s_and_b32 s15, ttmp7, 0xffff
	s_add_co_i32 s13, s13, 1
	s_bfe_u32 s14, ttmp6, 0x4000c
	s_add_co_i32 s12, s12, s2
	s_mul_i32 s2, s15, s13
	s_bfe_u32 s13, ttmp6, 0x40004
	s_add_co_i32 s14, s14, 1
	s_add_co_i32 s13, s13, s2
	s_and_b32 s2, ttmp6, 15
	s_mul_i32 s14, ttmp9, s14
	s_getreg_b32 s20, hwreg(HW_REG_IB_STS2, 6, 4)
	s_add_co_i32 s2, s2, s14
	s_load_b128 s[16:19], s[0:1], 0x3c
	s_cmp_eq_u32 s20, 0
	s_cselect_b32 s14, ttmp9, s2
	s_cselect_b32 s13, s15, s13
	s_wait_kmcnt 0x0
	s_mul_hi_u32 s2, s7, s14
	s_cselect_b32 s12, s3, s12
	s_add_co_i32 s2, s14, s2
	s_delay_alu instid0(SALU_CYCLE_1) | instskip(NEXT) | instid1(SALU_CYCLE_1)
	s_lshr_b32 s7, s2, s8
	s_mul_i32 s2, s7, s9
	s_delay_alu instid0(SALU_CYCLE_1) | instskip(SKIP_2) | instid1(SALU_CYCLE_1)
	s_sub_co_i32 s8, s14, s2
	s_load_b64 s[2:3], s[0:1], 0x10
	s_mul_hi_u32 s9, s8, s10
	s_add_co_i32 s9, s8, s9
	s_delay_alu instid0(SALU_CYCLE_1) | instskip(NEXT) | instid1(SALU_CYCLE_1)
	s_lshr_b32 s15, s9, s11
	s_mul_i32 s9, s15, s16
	s_delay_alu instid0(SALU_CYCLE_1) | instskip(NEXT) | instid1(SALU_CYCLE_1)
	s_sub_co_i32 s8, s8, s9
	s_mul_hi_u32 s9, s8, s17
	s_delay_alu instid0(SALU_CYCLE_1) | instskip(NEXT) | instid1(SALU_CYCLE_1)
	s_add_co_i32 s9, s8, s9
	s_lshr_b32 s9, s9, s18
	s_delay_alu instid0(SALU_CYCLE_1) | instskip(SKIP_2) | instid1(SALU_CYCLE_1)
	s_mul_i32 s10, s9, s19
	s_lshl_b32 s17, s9, 3
	s_sub_co_i32 s16, s8, s10
	s_add_co_i32 s16, s16, s13
	s_wait_kmcnt 0x0
	s_cmp_lt_i32 s16, s2
	s_cselect_b32 s8, -1, 0
	s_add_co_i32 s17, s17, s12
	s_delay_alu instid0(SALU_CYCLE_1) | instskip(SKIP_1) | instid1(SALU_CYCLE_1)
	s_cmp_lt_i32 s17, s5
	s_cselect_b32 s9, -1, 0
	s_and_b32 s8, s8, s9
	s_delay_alu instid0(SALU_CYCLE_1)
	s_and_not1_b32 vcc_lo, exec_lo, s8
	s_cbranch_vccnz .LBB15_6
; %bb.1:
	s_load_b128 s[8:11], s[0:1], 0x0
	s_mul_i32 s7, s7, s2
	s_mul_i32 s15, s15, s5
	s_wait_xcnt 0x0
	s_add_co_i32 s0, s16, s7
	s_add_co_i32 s1, s17, s15
	s_mul_i32 s0, s0, s3
	s_mul_i32 s7, s6, s14
	s_add_co_i32 s1, s1, s0
	s_add_co_i32 s5, s7, s6
	v_lshl_or_b32 v4, s1, 6, v0
	s_add_co_i32 s0, s13, s5
	s_add_co_i32 s2, s5, -2
	s_lshl_b32 s0, s0, 3
	s_delay_alu instid0(SALU_CYCLE_1) | instskip(SKIP_2) | instid1(SALU_CYCLE_1)
	s_add_co_i32 s0, s0, s12
	v_ashrrev_i32_e32 v5, 31, v4
	s_add_co_i32 s0, s0, -8
	s_ashr_i32 s1, s0, 31
	s_delay_alu instid0(SALU_CYCLE_1)
	s_lshl_b64 s[0:1], s[0:1], 3
	s_wait_kmcnt 0x0
	global_load_b32 v3, v4, s[8:9] scale_offset
	s_add_nc_u64 s[0:1], s[10:11], s[0:1]
	s_cmp_lt_i32 s2, s7
	s_load_b32 s15, s[0:1], 0x4
	s_cbranch_scc1 .LBB15_4
; %bb.2:
	s_wait_xcnt 0x0
	s_load_b32 s0, s[0:1], 0x0
	s_add_co_i32 s14, s14, 1
	s_wait_xcnt 0x0
	s_lshl_b32 s1, s12, 6
	s_mul_i32 s3, s6, s14
	s_lshl_b32 s6, s13, 9
	s_lshl_b32 s14, s3, 9
	s_add_co_i32 s1, s1, s6
	s_lshl_b32 s2, s4, 5
	s_add_co_i32 s1, s1, s14
	s_add_co_i32 s4, s13, s4
	s_wait_kmcnt 0x0
	v_dual_mov_b32 v2, s15 :: v_dual_bitop2_b32 v0, s1, v0 bitop3:0x54
	s_add_co_i32 s4, s4, s5
	s_ashr_i32 s3, s2, 31
	s_lshl_b32 s1, s4, 3
	s_delay_alu instid0(VALU_DEP_1)
	v_add_nc_u32_e32 v0, 0xfffffc00, v0
	s_lshl_b64 s[2:3], s[2:3], 2
	s_add_co_i32 s4, s12, s1
	s_add_nc_u64 s[2:3], s[10:11], s[2:3]
	s_add_co_i32 s1, s5, -1
	s_add_co_i32 s4, s4, -16
.LBB15_3:                               ; =>This Inner Loop Header: Depth=1
	global_load_b32 v7, v0, s[2:3] scale_offset
	s_ashr_i32 s5, s4, 31
	v_max_num_f32_e64 v1, s0, s0
	s_lshl_b64 s[12:13], s[4:5], 3
	s_delay_alu instid0(SALU_CYCLE_1) | instskip(SKIP_1) | instid1(VALU_DEP_1)
	s_add_nc_u64 s[12:13], s[10:11], s[12:13]
	s_load_b64 s[12:13], s[12:13], 0x0
	v_readfirstlane_b32 s5, v1
	v_add_nc_u32_e32 v0, 0xfffffe00, v0
	s_wait_kmcnt 0x0
	v_max_num_f32_e64 v1, s12, s12
	s_delay_alu instid0(VALU_DEP_1) | instskip(SKIP_1) | instid1(SALU_CYCLE_3)
	v_readfirstlane_b32 s6, v1
	s_max_num_f32 s5, s5, s6
	s_sub_f32 s0, s0, s5
	s_sub_f32 s6, s12, s5
	s_delay_alu instid0(SALU_CYCLE_2) | instskip(NEXT) | instid1(SALU_CYCLE_2)
	s_mul_f32 s12, s0, 0x3fb8aa3b
	s_mul_f32 s14, s6, 0x3fb8aa3b
	s_delay_alu instid0(SALU_CYCLE_2)
	s_xor_b32 s15, s12, 0x80000000
	s_rndne_f32 s16, s12
	s_fmamk_f32 s15, s0, 0x3fb8aa3b, s15
	s_cmp_nlt_f32 s0, 0xc2ce8ed0
	s_rndne_f32 s17, s14
	s_sub_f32 s12, s12, s16
	s_fmamk_f32 s15, s0, 0x32a5705f, s15
	s_cselect_b32 vcc_lo, -1, 0
	s_cmp_ngt_f32 s0, 0x42b17218
	s_delay_alu instid0(SALU_CYCLE_1) | instskip(SKIP_2) | instid1(SALU_CYCLE_1)
	s_add_f32 s12, s12, s15
	s_cvt_i32_f32 s15, s16
	s_sub_f32 s16, s14, s17
	v_s_exp_f32 s12, s12
	v_nop
	s_delay_alu instid0(TRANS32_DEP_1) | instskip(SKIP_1) | instid1(VALU_DEP_1)
	v_ldexp_f32 v1, s12, s15
	s_cvt_i32_f32 s12, s17
	v_cndmask_b32_e32 v1, 0, v1, vcc_lo
	s_cselect_b32 vcc_lo, -1, 0
	s_cmp_ge_f32 s0, 0xc1a00000
	s_delay_alu instid0(VALU_DEP_1)
	v_cndmask_b32_e32 v1, 0x7f800000, v1, vcc_lo
	s_cselect_b32 vcc_lo, -1, 0
	s_xor_b32 s0, s14, 0x80000000
	s_cmp_nlt_f32 s6, 0xc2ce8ed0
	s_fmamk_f32 s0, s6, 0x3fb8aa3b, s0
	v_cndmask_b32_e32 v10, 0, v1, vcc_lo
	s_delay_alu instid0(SALU_CYCLE_2) | instskip(NEXT) | instid1(SALU_CYCLE_3)
	s_fmamk_f32 s0, s6, 0x32a5705f, s0
	s_add_f32 s0, s16, s0
	s_delay_alu instid0(SALU_CYCLE_3) | instskip(SKIP_1) | instid1(TRANS32_DEP_1)
	v_s_exp_f32 s0, s0
	v_nop
	v_ldexp_f32 v6, s0, s12
	s_cselect_b32 s0, -1, 0
	s_cmp_ngt_f32 s6, 0x42b17218
	s_delay_alu instid0(VALU_DEP_1) | instskip(SKIP_2) | instid1(VALU_DEP_1)
	v_cndmask_b32_e64 v6, 0, v6, s0
	s_cselect_b32 s0, -1, 0
	s_cmp_ge_f32 s6, 0xc1a00000
	v_cndmask_b32_e64 v8, 0x7f800000, v6, s0
	s_cselect_b32 s0, -1, 0
	v_mov_b32_e32 v6, s13
	s_add_co_i32 s1, s1, -1
	s_add_co_i32 s4, s4, -8
	v_cndmask_b32_e64 v8, 0, v8, s0
	s_cmp_le_i32 s1, s7
	s_mov_b32 s0, s5
	s_wait_loadcnt 0x0
	s_delay_alu instid0(VALU_DEP_1) | instskip(NEXT) | instid1(VALU_DEP_1)
	v_pk_mul_f32 v[6:7], v[6:7], v[8:9] op_sel_hi:[1,0]
	v_pk_fma_f32 v[2:3], v[2:3], v[10:11], v[6:7] op_sel_hi:[1,0,1]
	s_cbranch_scc0 .LBB15_3
	s_branch .LBB15_5
.LBB15_4:
	s_wait_kmcnt 0x0
	v_mov_b32_e32 v2, s15
.LBB15_5:
	v_lshl_add_u64 v[0:1], v[4:5], 2, s[8:9]
	s_wait_loadcnt 0x0
	s_delay_alu instid0(VALU_DEP_2) | instskip(NEXT) | instid1(VALU_DEP_1)
	v_div_scale_f32 v4, null, v2, v2, v3
	v_rcp_f32_e32 v5, v4
	v_nop
	s_delay_alu instid0(TRANS32_DEP_1) | instskip(NEXT) | instid1(VALU_DEP_1)
	v_fma_f32 v6, -v4, v5, 1.0
	v_fmac_f32_e32 v5, v6, v5
	v_div_scale_f32 v6, vcc_lo, v3, v2, v3
	s_delay_alu instid0(VALU_DEP_1) | instskip(NEXT) | instid1(VALU_DEP_1)
	v_mul_f32_e32 v7, v6, v5
	v_fma_f32 v8, -v4, v7, v6
	s_delay_alu instid0(VALU_DEP_1) | instskip(NEXT) | instid1(VALU_DEP_1)
	v_fmac_f32_e32 v7, v8, v5
	v_fma_f32 v4, -v4, v7, v6
	s_delay_alu instid0(VALU_DEP_1) | instskip(NEXT) | instid1(VALU_DEP_1)
	v_div_fmas_f32 v4, v4, v5, v7
	v_div_fixup_f32 v2, v4, v2, v3
	global_store_b32 v[0:1], v2, off
.LBB15_6:
	s_endpgm
	.section	.rodata,"a",@progbits
	.p2align	6, 0x0
	.amdhsa_kernel _ZL33flash_attn_stream_k_fixup_uniformILi64ELi1ELi8EEvPfPK15HIP_vector_typeIfLj2EEiiiiiiS1_IjLj3EES5_S5_
		.amdhsa_group_segment_fixed_size 0
		.amdhsa_private_segment_fixed_size 0
		.amdhsa_kernarg_size 76
		.amdhsa_user_sgpr_count 2
		.amdhsa_user_sgpr_dispatch_ptr 0
		.amdhsa_user_sgpr_queue_ptr 0
		.amdhsa_user_sgpr_kernarg_segment_ptr 1
		.amdhsa_user_sgpr_dispatch_id 0
		.amdhsa_user_sgpr_kernarg_preload_length 0
		.amdhsa_user_sgpr_kernarg_preload_offset 0
		.amdhsa_user_sgpr_private_segment_size 0
		.amdhsa_wavefront_size32 1
		.amdhsa_uses_dynamic_stack 0
		.amdhsa_enable_private_segment 0
		.amdhsa_system_sgpr_workgroup_id_x 1
		.amdhsa_system_sgpr_workgroup_id_y 1
		.amdhsa_system_sgpr_workgroup_id_z 1
		.amdhsa_system_sgpr_workgroup_info 0
		.amdhsa_system_vgpr_workitem_id 0
		.amdhsa_next_free_vgpr 12
		.amdhsa_next_free_sgpr 21
		.amdhsa_named_barrier_count 0
		.amdhsa_reserve_vcc 1
		.amdhsa_float_round_mode_32 0
		.amdhsa_float_round_mode_16_64 0
		.amdhsa_float_denorm_mode_32 3
		.amdhsa_float_denorm_mode_16_64 3
		.amdhsa_fp16_overflow 0
		.amdhsa_memory_ordered 1
		.amdhsa_forward_progress 1
		.amdhsa_inst_pref_size 9
		.amdhsa_round_robin_scheduling 0
		.amdhsa_exception_fp_ieee_invalid_op 0
		.amdhsa_exception_fp_denorm_src 0
		.amdhsa_exception_fp_ieee_div_zero 0
		.amdhsa_exception_fp_ieee_overflow 0
		.amdhsa_exception_fp_ieee_underflow 0
		.amdhsa_exception_fp_ieee_inexact 0
		.amdhsa_exception_int_div_zero 0
	.end_amdhsa_kernel
	.section	.text._ZL33flash_attn_stream_k_fixup_uniformILi64ELi1ELi8EEvPfPK15HIP_vector_typeIfLj2EEiiiiiiS1_IjLj3EES5_S5_,"axG",@progbits,_ZL33flash_attn_stream_k_fixup_uniformILi64ELi1ELi8EEvPfPK15HIP_vector_typeIfLj2EEiiiiiiS1_IjLj3EES5_S5_,comdat
.Lfunc_end15:
	.size	_ZL33flash_attn_stream_k_fixup_uniformILi64ELi1ELi8EEvPfPK15HIP_vector_typeIfLj2EEiiiiiiS1_IjLj3EES5_S5_, .Lfunc_end15-_ZL33flash_attn_stream_k_fixup_uniformILi64ELi1ELi8EEvPfPK15HIP_vector_typeIfLj2EEiiiiiiS1_IjLj3EES5_S5_
                                        ; -- End function
	.set _ZL33flash_attn_stream_k_fixup_uniformILi64ELi1ELi8EEvPfPK15HIP_vector_typeIfLj2EEiiiiiiS1_IjLj3EES5_S5_.num_vgpr, 12
	.set _ZL33flash_attn_stream_k_fixup_uniformILi64ELi1ELi8EEvPfPK15HIP_vector_typeIfLj2EEiiiiiiS1_IjLj3EES5_S5_.num_agpr, 0
	.set _ZL33flash_attn_stream_k_fixup_uniformILi64ELi1ELi8EEvPfPK15HIP_vector_typeIfLj2EEiiiiiiS1_IjLj3EES5_S5_.numbered_sgpr, 21
	.set _ZL33flash_attn_stream_k_fixup_uniformILi64ELi1ELi8EEvPfPK15HIP_vector_typeIfLj2EEiiiiiiS1_IjLj3EES5_S5_.num_named_barrier, 0
	.set _ZL33flash_attn_stream_k_fixup_uniformILi64ELi1ELi8EEvPfPK15HIP_vector_typeIfLj2EEiiiiiiS1_IjLj3EES5_S5_.private_seg_size, 0
	.set _ZL33flash_attn_stream_k_fixup_uniformILi64ELi1ELi8EEvPfPK15HIP_vector_typeIfLj2EEiiiiiiS1_IjLj3EES5_S5_.uses_vcc, 1
	.set _ZL33flash_attn_stream_k_fixup_uniformILi64ELi1ELi8EEvPfPK15HIP_vector_typeIfLj2EEiiiiiiS1_IjLj3EES5_S5_.uses_flat_scratch, 0
	.set _ZL33flash_attn_stream_k_fixup_uniformILi64ELi1ELi8EEvPfPK15HIP_vector_typeIfLj2EEiiiiiiS1_IjLj3EES5_S5_.has_dyn_sized_stack, 0
	.set _ZL33flash_attn_stream_k_fixup_uniformILi64ELi1ELi8EEvPfPK15HIP_vector_typeIfLj2EEiiiiiiS1_IjLj3EES5_S5_.has_recursion, 0
	.set _ZL33flash_attn_stream_k_fixup_uniformILi64ELi1ELi8EEvPfPK15HIP_vector_typeIfLj2EEiiiiiiS1_IjLj3EES5_S5_.has_indirect_call, 0
	.section	.AMDGPU.csdata,"",@progbits
; Kernel info:
; codeLenInByte = 1072
; TotalNumSgprs: 23
; NumVgprs: 12
; ScratchSize: 0
; MemoryBound: 0
; FloatMode: 240
; IeeeMode: 1
; LDSByteSize: 0 bytes/workgroup (compile time only)
; SGPRBlocks: 0
; VGPRBlocks: 0
; NumSGPRsForWavesPerEU: 23
; NumVGPRsForWavesPerEU: 12
; NamedBarCnt: 0
; Occupancy: 16
; WaveLimiterHint : 0
; COMPUTE_PGM_RSRC2:SCRATCH_EN: 0
; COMPUTE_PGM_RSRC2:USER_SGPR: 2
; COMPUTE_PGM_RSRC2:TRAP_HANDLER: 0
; COMPUTE_PGM_RSRC2:TGID_X_EN: 1
; COMPUTE_PGM_RSRC2:TGID_Y_EN: 1
; COMPUTE_PGM_RSRC2:TGID_Z_EN: 1
; COMPUTE_PGM_RSRC2:TIDIG_COMP_CNT: 0
	.section	.text._ZL33flash_attn_stream_k_fixup_generalILi64ELi1ELi8EEvPfPK15HIP_vector_typeIfLj2EEiiiiS1_IjLj3EES5_S5_S5_,"axG",@progbits,_ZL33flash_attn_stream_k_fixup_generalILi64ELi1ELi8EEvPfPK15HIP_vector_typeIfLj2EEiiiiS1_IjLj3EES5_S5_S5_,comdat
	.globl	_ZL33flash_attn_stream_k_fixup_generalILi64ELi1ELi8EEvPfPK15HIP_vector_typeIfLj2EEiiiiS1_IjLj3EES5_S5_S5_ ; -- Begin function _ZL33flash_attn_stream_k_fixup_generalILi64ELi1ELi8EEvPfPK15HIP_vector_typeIfLj2EEiiiiS1_IjLj3EES5_S5_S5_
	.p2align	8
	.type	_ZL33flash_attn_stream_k_fixup_generalILi64ELi1ELi8EEvPfPK15HIP_vector_typeIfLj2EEiiiiS1_IjLj3EES5_S5_S5_,@function
_ZL33flash_attn_stream_k_fixup_generalILi64ELi1ELi8EEvPfPK15HIP_vector_typeIfLj2EEiiiiS1_IjLj3EES5_S5_S5_: ; @_ZL33flash_attn_stream_k_fixup_generalILi64ELi1ELi8EEvPfPK15HIP_vector_typeIfLj2EEiiiiS1_IjLj3EES5_S5_S5_
; %bb.0:
	s_clause 0x1
	s_load_b128 s[4:7], s[0:1], 0x10
	s_load_b32 s16, s[0:1], 0x50
	s_bfe_u32 s2, ttmp6, 0x4000c
	s_and_b32 s3, ttmp6, 15
	s_add_co_i32 s2, s2, 1
	s_getreg_b32 s15, hwreg(HW_REG_IB_STS2, 6, 4)
	s_mul_i32 s2, ttmp9, s2
	s_mov_b32 s17, 0
	s_add_co_i32 s3, s3, s2
	s_cmp_eq_u32 s15, 0
	s_cselect_b32 s2, ttmp9, s3
	s_delay_alu instid0(SALU_CYCLE_1) | instskip(SKIP_3) | instid1(SALU_CYCLE_1)
	s_ashr_i32 s3, s2, 31
	s_wait_kmcnt 0x0
	s_ashr_i32 s19, s7, 31
	s_mov_b32 s18, s7
	s_mul_u64 s[8:9], s[18:19], s[2:3]
	s_delay_alu instid0(SALU_CYCLE_1) | instskip(NEXT) | instid1(SALU_CYCLE_1)
	s_and_b64 s[10:11], s[8:9], 0xffffffff00000000
	s_cmp_lg_u64 s[10:11], 0
	s_cbranch_scc0 .LBB16_21
; %bb.1:
	s_add_nc_u64 s[10:11], s[16:17], 0
	s_mov_b32 s23, s17
	s_xor_b64 s[10:11], s[10:11], 0
	s_mov_b32 s27, s17
	s_cvt_f32_u32 s3, s10
	s_cvt_f32_u32 s7, s11
	s_sub_nc_u64 s[20:21], 0, s[10:11]
	s_delay_alu instid0(SALU_CYCLE_2) | instskip(NEXT) | instid1(SALU_CYCLE_3)
	s_fmamk_f32 s3, s7, 0x4f800000, s3
	v_s_rcp_f32 s3, s3
	s_delay_alu instid0(TRANS32_DEP_1) | instskip(NEXT) | instid1(SALU_CYCLE_3)
	s_mul_f32 s3, s3, 0x5f7ffffc
	s_mul_f32 s7, s3, 0x2f800000
	s_delay_alu instid0(SALU_CYCLE_3) | instskip(NEXT) | instid1(SALU_CYCLE_3)
	s_trunc_f32 s7, s7
	s_fmamk_f32 s3, s7, 0xcf800000, s3
	s_cvt_u32_f32 s13, s7
	s_delay_alu instid0(SALU_CYCLE_2) | instskip(NEXT) | instid1(SALU_CYCLE_3)
	s_cvt_u32_f32 s12, s3
	s_mul_u64 s[24:25], s[20:21], s[12:13]
	s_delay_alu instid0(SALU_CYCLE_1)
	s_mul_hi_u32 s29, s12, s25
	s_mul_i32 s28, s12, s25
	s_mul_hi_u32 s22, s12, s24
	s_mul_i32 s7, s13, s24
	s_add_nc_u64 s[22:23], s[22:23], s[28:29]
	s_mul_hi_u32 s3, s13, s24
	s_mul_hi_u32 s14, s13, s25
	s_add_co_u32 s7, s22, s7
	s_add_co_ci_u32 s26, s23, s3
	s_mul_i32 s24, s13, s25
	s_add_co_ci_u32 s25, s14, 0
	s_delay_alu instid0(SALU_CYCLE_1) | instskip(SKIP_3) | instid1(SALU_CYCLE_1)
	s_add_nc_u64 s[22:23], s[26:27], s[24:25]
	s_mov_b32 s25, s17
	s_add_co_u32 s12, s12, s22
	s_cselect_b32 s3, -1, 0
	s_cmp_lg_u32 s3, 0
	s_add_co_ci_u32 s13, s13, s23
	s_mov_b32 s23, s17
	s_mul_u64 s[20:21], s[20:21], s[12:13]
	s_delay_alu instid0(SALU_CYCLE_1)
	s_mul_hi_u32 s27, s12, s21
	s_mul_i32 s26, s12, s21
	s_mul_hi_u32 s22, s12, s20
	s_mul_i32 s7, s13, s20
	s_add_nc_u64 s[22:23], s[22:23], s[26:27]
	s_mul_hi_u32 s3, s13, s20
	s_mul_hi_u32 s14, s13, s21
	s_add_co_u32 s7, s22, s7
	s_add_co_ci_u32 s24, s23, s3
	s_mul_i32 s20, s13, s21
	s_add_co_ci_u32 s21, s14, 0
	s_mov_b32 s23, s17
	s_add_nc_u64 s[20:21], s[24:25], s[20:21]
	s_delay_alu instid0(SALU_CYCLE_1) | instskip(SKIP_1) | instid1(SALU_CYCLE_1)
	s_add_co_u32 s3, s12, s20
	s_cselect_b32 s7, -1, 0
	s_cmp_lg_u32 s7, 0
	s_add_co_ci_u32 s7, s13, s21
	s_ashr_i32 s12, s9, 31
	s_delay_alu instid0(SALU_CYCLE_1) | instskip(NEXT) | instid1(SALU_CYCLE_1)
	s_mov_b32 s13, s12
	s_add_nc_u64 s[20:21], s[8:9], s[12:13]
	s_delay_alu instid0(SALU_CYCLE_1) | instskip(NEXT) | instid1(SALU_CYCLE_1)
	s_xor_b64 s[20:21], s[20:21], s[12:13]
	s_mul_hi_u32 s27, s20, s7
	s_mul_i32 s26, s20, s7
	s_mul_hi_u32 s22, s20, s3
	s_mul_hi_u32 s14, s21, s3
	s_mul_i32 s3, s21, s3
	s_add_nc_u64 s[22:23], s[22:23], s[26:27]
	s_mul_hi_u32 s9, s21, s7
	s_add_co_u32 s3, s22, s3
	s_add_co_ci_u32 s24, s23, s14
	s_mul_i32 s26, s21, s7
	s_add_co_ci_u32 s27, s9, 0
	s_delay_alu instid0(SALU_CYCLE_1) | instskip(NEXT) | instid1(SALU_CYCLE_1)
	s_add_nc_u64 s[22:23], s[24:25], s[26:27]
	s_and_b64 s[24:25], s[22:23], 0xffffffff00000000
	s_delay_alu instid0(SALU_CYCLE_1) | instskip(NEXT) | instid1(SALU_CYCLE_1)
	s_or_b32 s24, s24, s22
	s_mul_u64 s[22:23], s[10:11], s[24:25]
	s_add_nc_u64 s[26:27], s[24:25], 1
	s_sub_co_u32 s3, s20, s22
	s_cselect_b32 s7, -1, 0
	s_sub_co_i32 s9, s21, s23
	s_cmp_lg_u32 s7, 0
	s_add_nc_u64 s[28:29], s[24:25], 2
	s_sub_co_ci_u32 s9, s9, s11
	s_sub_co_u32 s14, s3, s10
	s_cselect_b32 s20, -1, 0
	s_delay_alu instid0(SALU_CYCLE_1) | instskip(SKIP_1) | instid1(SALU_CYCLE_1)
	s_cmp_lg_u32 s20, 0
	s_sub_co_ci_u32 s9, s9, 0
	s_cmp_ge_u32 s9, s11
	s_cselect_b32 s20, -1, 0
	s_cmp_ge_u32 s14, s10
	s_cselect_b32 s14, -1, 0
	s_cmp_eq_u32 s9, s11
	s_cselect_b32 s9, s14, s20
	s_delay_alu instid0(SALU_CYCLE_1) | instskip(SKIP_4) | instid1(SALU_CYCLE_1)
	s_cmp_lg_u32 s9, 0
	s_cselect_b32 s9, s28, s26
	s_cselect_b32 s14, s29, s27
	s_cmp_lg_u32 s7, 0
	s_sub_co_ci_u32 s7, s21, s23
	s_cmp_ge_u32 s7, s11
	s_cselect_b32 s20, -1, 0
	s_cmp_ge_u32 s3, s10
	s_cselect_b32 s3, -1, 0
	s_cmp_eq_u32 s7, s11
	s_cselect_b32 s3, s3, s20
	s_delay_alu instid0(SALU_CYCLE_1) | instskip(SKIP_4) | instid1(SALU_CYCLE_1)
	s_cmp_lg_u32 s3, 0
	s_mov_b32 s3, s17
	s_cselect_b32 s11, s14, s25
	s_cselect_b32 s10, s9, s24
	s_xor_b64 s[12:13], s[12:13], 0
	s_xor_b64 s[10:11], s[10:11], s[12:13]
	s_delay_alu instid0(SALU_CYCLE_1)
	s_sub_nc_u64 s[20:21], s[10:11], s[12:13]
	s_and_not1_b32 vcc_lo, exec_lo, s3
	s_cbranch_vccnz .LBB16_3
.LBB16_2:
	v_cvt_f32_u32_e32 v1, s16
	s_sub_co_i32 s7, 0, s16
	s_mov_b32 s21, 0
	s_delay_alu instid0(VALU_DEP_1) | instskip(SKIP_1) | instid1(TRANS32_DEP_1)
	v_rcp_iflag_f32_e32 v1, v1
	v_nop
	v_mul_f32_e32 v1, 0x4f7ffffe, v1
	s_delay_alu instid0(VALU_DEP_1) | instskip(NEXT) | instid1(VALU_DEP_1)
	v_cvt_u32_f32_e32 v1, v1
	v_readfirstlane_b32 s3, v1
	s_mul_i32 s7, s7, s3
	s_delay_alu instid0(SALU_CYCLE_1) | instskip(NEXT) | instid1(SALU_CYCLE_1)
	s_mul_hi_u32 s7, s3, s7
	s_add_co_i32 s3, s3, s7
	s_delay_alu instid0(SALU_CYCLE_1) | instskip(NEXT) | instid1(SALU_CYCLE_1)
	s_mul_hi_u32 s3, s8, s3
	s_mul_i32 s7, s3, s16
	s_delay_alu instid0(SALU_CYCLE_1)
	s_sub_co_i32 s7, s8, s7
	s_add_co_i32 s8, s3, 1
	s_sub_co_i32 s9, s7, s16
	s_cmp_ge_u32 s7, s16
	s_cselect_b32 s3, s8, s3
	s_cselect_b32 s7, s9, s7
	s_add_co_i32 s8, s3, 1
	s_cmp_ge_u32 s7, s16
	s_cselect_b32 s20, s8, s3
.LBB16_3:
	s_add_co_i32 s8, s2, 1
	s_delay_alu instid0(SALU_CYCLE_1) | instskip(NEXT) | instid1(SALU_CYCLE_1)
	s_ashr_i32 s9, s8, 31
	s_mul_u64 s[8:9], s[18:19], s[8:9]
	s_delay_alu instid0(SALU_CYCLE_1) | instskip(NEXT) | instid1(SALU_CYCLE_1)
	s_and_b64 s[10:11], s[8:9], 0xffffffff00000000
	s_cmp_lg_u64 s[10:11], 0
	s_cbranch_scc0 .LBB16_22
; %bb.4:
	s_add_nc_u64 s[10:11], s[16:17], 0
	s_delay_alu instid0(SALU_CYCLE_1) | instskip(SKIP_4) | instid1(SALU_CYCLE_2)
	s_xor_b64 s[12:13], s[10:11], 0
	s_mov_b32 s11, 0
	s_cvt_f32_u32 s3, s12
	s_cvt_f32_u32 s7, s13
	s_sub_nc_u64 s[24:25], 0, s[12:13]
	s_fmamk_f32 s3, s7, 0x4f800000, s3
	s_delay_alu instid0(SALU_CYCLE_3) | instskip(NEXT) | instid1(TRANS32_DEP_1)
	v_s_rcp_f32 s3, s3
	s_mul_f32 s3, s3, 0x5f7ffffc
	s_delay_alu instid0(SALU_CYCLE_3) | instskip(NEXT) | instid1(SALU_CYCLE_3)
	s_mul_f32 s7, s3, 0x2f800000
	s_trunc_f32 s7, s7
	s_delay_alu instid0(SALU_CYCLE_3) | instskip(SKIP_1) | instid1(SALU_CYCLE_2)
	s_fmamk_f32 s3, s7, 0xcf800000, s3
	s_cvt_u32_f32 s23, s7
	s_cvt_u32_f32 s22, s3
	s_delay_alu instid0(SALU_CYCLE_3) | instskip(NEXT) | instid1(SALU_CYCLE_1)
	s_mul_u64 s[26:27], s[24:25], s[22:23]
	s_mul_hi_u32 s29, s22, s27
	s_mul_i32 s28, s22, s27
	s_mul_hi_u32 s10, s22, s26
	s_mul_i32 s7, s23, s26
	s_add_nc_u64 s[28:29], s[10:11], s[28:29]
	s_mul_hi_u32 s3, s23, s26
	s_mul_hi_u32 s14, s23, s27
	s_add_co_u32 s7, s28, s7
	s_add_co_ci_u32 s10, s29, s3
	s_mul_i32 s26, s23, s27
	s_add_co_ci_u32 s27, s14, 0
	s_delay_alu instid0(SALU_CYCLE_1) | instskip(NEXT) | instid1(SALU_CYCLE_1)
	s_add_nc_u64 s[26:27], s[10:11], s[26:27]
	s_add_co_u32 s22, s22, s26
	s_cselect_b32 s3, -1, 0
	s_delay_alu instid0(SALU_CYCLE_1) | instskip(SKIP_1) | instid1(SALU_CYCLE_1)
	s_cmp_lg_u32 s3, 0
	s_add_co_ci_u32 s23, s23, s27
	s_mul_u64 s[24:25], s[24:25], s[22:23]
	s_delay_alu instid0(SALU_CYCLE_1)
	s_mul_hi_u32 s27, s22, s25
	s_mul_i32 s26, s22, s25
	s_mul_hi_u32 s10, s22, s24
	s_mul_i32 s7, s23, s24
	s_add_nc_u64 s[26:27], s[10:11], s[26:27]
	s_mul_hi_u32 s3, s23, s24
	s_mul_hi_u32 s14, s23, s25
	s_add_co_u32 s7, s26, s7
	s_add_co_ci_u32 s10, s27, s3
	s_mul_i32 s24, s23, s25
	s_add_co_ci_u32 s25, s14, 0
	s_delay_alu instid0(SALU_CYCLE_1) | instskip(NEXT) | instid1(SALU_CYCLE_1)
	s_add_nc_u64 s[24:25], s[10:11], s[24:25]
	s_add_co_u32 s3, s22, s24
	s_cselect_b32 s7, -1, 0
	s_delay_alu instid0(SALU_CYCLE_1) | instskip(SKIP_2) | instid1(SALU_CYCLE_1)
	s_cmp_lg_u32 s7, 0
	s_add_co_ci_u32 s7, s23, s25
	s_ashr_i32 s22, s9, 31
	s_mov_b32 s23, s22
	s_delay_alu instid0(SALU_CYCLE_1) | instskip(NEXT) | instid1(SALU_CYCLE_1)
	s_add_nc_u64 s[24:25], s[8:9], s[22:23]
	s_xor_b64 s[24:25], s[24:25], s[22:23]
	s_delay_alu instid0(SALU_CYCLE_1)
	s_mul_hi_u32 s27, s24, s7
	s_mul_i32 s26, s24, s7
	s_mul_hi_u32 s10, s24, s3
	s_mul_hi_u32 s14, s25, s3
	s_mul_i32 s3, s25, s3
	s_add_nc_u64 s[26:27], s[10:11], s[26:27]
	s_mul_hi_u32 s9, s25, s7
	s_add_co_u32 s3, s26, s3
	s_add_co_ci_u32 s10, s27, s14
	s_mul_i32 s28, s25, s7
	s_add_co_ci_u32 s29, s9, 0
	s_delay_alu instid0(SALU_CYCLE_1) | instskip(NEXT) | instid1(SALU_CYCLE_1)
	s_add_nc_u64 s[26:27], s[10:11], s[28:29]
	s_and_b64 s[28:29], s[26:27], 0xffffffff00000000
	s_delay_alu instid0(SALU_CYCLE_1) | instskip(NEXT) | instid1(SALU_CYCLE_1)
	s_or_b32 s28, s28, s26
	s_mul_u64 s[26:27], s[12:13], s[28:29]
	s_add_nc_u64 s[30:31], s[28:29], 1
	s_sub_co_u32 s3, s24, s26
	s_cselect_b32 s7, -1, 0
	s_sub_co_i32 s9, s25, s27
	s_cmp_lg_u32 s7, 0
	s_add_nc_u64 s[34:35], s[28:29], 2
	s_sub_co_ci_u32 s9, s9, s13
	s_sub_co_u32 s10, s3, s12
	s_cselect_b32 s14, -1, 0
	s_delay_alu instid0(SALU_CYCLE_1) | instskip(SKIP_1) | instid1(SALU_CYCLE_1)
	s_cmp_lg_u32 s14, 0
	s_sub_co_ci_u32 s9, s9, 0
	s_cmp_ge_u32 s9, s13
	s_cselect_b32 s14, -1, 0
	s_cmp_ge_u32 s10, s12
	s_cselect_b32 s10, -1, 0
	s_cmp_eq_u32 s9, s13
	s_cselect_b32 s9, s10, s14
	s_delay_alu instid0(SALU_CYCLE_1) | instskip(SKIP_4) | instid1(SALU_CYCLE_1)
	s_cmp_lg_u32 s9, 0
	s_cselect_b32 s9, s34, s30
	s_cselect_b32 s10, s35, s31
	s_cmp_lg_u32 s7, 0
	s_sub_co_ci_u32 s7, s25, s27
	s_cmp_ge_u32 s7, s13
	s_cselect_b32 s14, -1, 0
	s_cmp_ge_u32 s3, s12
	s_cselect_b32 s3, -1, 0
	s_cmp_eq_u32 s7, s13
	s_cselect_b32 s3, s3, s14
	s_delay_alu instid0(SALU_CYCLE_1) | instskip(SKIP_3) | instid1(SALU_CYCLE_1)
	s_cmp_lg_u32 s3, 0
	s_cselect_b32 s13, s10, s29
	s_cselect_b32 s12, s9, s28
	s_xor_b64 s[22:23], s[22:23], 0
	s_xor_b64 s[12:13], s[12:13], s[22:23]
	s_delay_alu instid0(SALU_CYCLE_1)
	s_sub_nc_u64 s[24:25], s[12:13], s[22:23]
	s_load_b96 s[12:14], s[0:1], 0x44
	s_cbranch_execnz .LBB16_6
.LBB16_5:
	v_cvt_f32_u32_e32 v1, s16
	s_sub_co_i32 s7, 0, s16
	s_delay_alu instid0(VALU_DEP_1) | instskip(SKIP_1) | instid1(TRANS32_DEP_1)
	v_rcp_iflag_f32_e32 v1, v1
	v_nop
	v_mul_f32_e32 v1, 0x4f7ffffe, v1
	s_delay_alu instid0(VALU_DEP_1) | instskip(NEXT) | instid1(VALU_DEP_1)
	v_cvt_u32_f32_e32 v1, v1
	v_readfirstlane_b32 s3, v1
	s_mul_i32 s7, s7, s3
	s_delay_alu instid0(SALU_CYCLE_1) | instskip(NEXT) | instid1(SALU_CYCLE_1)
	s_mul_hi_u32 s7, s3, s7
	s_add_co_i32 s3, s3, s7
	s_delay_alu instid0(SALU_CYCLE_1) | instskip(NEXT) | instid1(SALU_CYCLE_1)
	s_mul_hi_u32 s3, s8, s3
	s_mul_i32 s7, s3, s16
	s_delay_alu instid0(SALU_CYCLE_1)
	s_sub_co_i32 s7, s8, s7
	s_add_co_i32 s8, s3, 1
	s_sub_co_i32 s9, s7, s16
	s_cmp_ge_u32 s7, s16
	s_cselect_b32 s3, s8, s3
	s_cselect_b32 s7, s9, s7
	s_add_co_i32 s8, s3, 1
	s_cmp_ge_u32 s7, s16
	s_cselect_b32 s24, s8, s3
.LBB16_6:
	s_delay_alu instid0(SALU_CYCLE_1)
	s_cmp_eq_u32 s20, s24
	s_mov_b64 s[8:9], 0xffffffff
	s_cselect_b32 s3, -1, 0
	s_and_b64 s[8:9], s[20:21], s[8:9]
	s_mov_b32 s23, 0
	s_wait_kmcnt 0x0
	s_mov_b32 s22, s12
	s_mov_b32 s25, s23
	s_mul_u64 s[10:11], s[8:9], s[22:23]
	s_delay_alu instid0(SALU_CYCLE_1) | instskip(SKIP_2) | instid1(SALU_CYCLE_1)
	s_add_co_i32 s7, s11, s20
	s_mul_u64 s[10:11], s[24:25], s[22:23]
	s_lshr_b32 s12, s7, s13
	s_mul_i32 s7, s12, s14
	s_delay_alu instid0(SALU_CYCLE_1) | instskip(SKIP_2) | instid1(SALU_CYCLE_1)
	s_cmp_eq_u32 s7, s20
	s_cselect_b32 s7, -1, 0
	s_add_co_i32 s10, s11, s24
	s_lshr_b32 s10, s10, s13
	s_delay_alu instid0(SALU_CYCLE_1)
	s_cmp_eq_u32 s12, s10
	s_mul_i32 s10, s10, s14
	s_cselect_b32 s11, -1, 0
	s_cmp_lg_u32 s10, s24
	s_cselect_b32 s10, -1, 0
	s_or_b32 s3, s3, s7
	s_and_b32 s10, s11, s10
	s_delay_alu instid0(SALU_CYCLE_1) | instskip(NEXT) | instid1(SALU_CYCLE_1)
	s_or_b32 s3, s3, s10
	s_and_b32 vcc_lo, exec_lo, s3
	s_cbranch_vccnz .LBB16_24
; %bb.7:
	s_load_b256 s[24:31], s[0:1], 0x20
	s_bfe_u32 s7, ttmp6, 0x40014
	s_bfe_u32 s33, ttmp6, 0x40010
	s_lshr_b32 s3, ttmp7, 16
	s_add_co_i32 s7, s7, 1
	s_and_b32 s21, ttmp7, 0xffff
	s_add_co_i32 s33, s33, 1
	s_bfe_u32 s10, ttmp6, 0x40008
	s_mul_i32 s7, s3, s7
	s_bfe_u32 s34, ttmp6, 0x40004
	s_mul_i32 s33, s21, s33
	s_mov_b32 s11, s23
	s_add_co_i32 s7, s10, s7
	s_add_co_i32 s34, s34, s33
	s_cmp_eq_u32 s15, 0
	s_cselect_b32 s15, s21, s34
	s_cselect_b32 s21, s3, s7
	s_wait_kmcnt 0x0
	s_mov_b32 s10, s24
	s_delay_alu instid0(SALU_CYCLE_1) | instskip(SKIP_2) | instid1(SALU_CYCLE_1)
	s_mul_u64 s[8:9], s[8:9], s[10:11]
	s_load_b32 s8, s[0:1], 0x40
	s_add_co_i32 s3, s9, s20
	s_lshr_b32 s3, s3, s25
	s_delay_alu instid0(SALU_CYCLE_1) | instskip(NEXT) | instid1(SALU_CYCLE_1)
	s_mul_i32 s7, s3, s26
	s_sub_co_i32 s9, s20, s7
	s_delay_alu instid0(SALU_CYCLE_1) | instskip(NEXT) | instid1(SALU_CYCLE_1)
	s_mul_hi_u32 s7, s9, s27
	s_add_co_i32 s7, s9, s7
	s_delay_alu instid0(SALU_CYCLE_1) | instskip(NEXT) | instid1(SALU_CYCLE_1)
	s_lshr_b32 s7, s7, s28
	s_mul_i32 s10, s7, s29
	s_delay_alu instid0(SALU_CYCLE_1) | instskip(NEXT) | instid1(SALU_CYCLE_1)
	s_sub_co_i32 s10, s9, s10
	s_mul_hi_u32 s9, s10, s30
	s_delay_alu instid0(SALU_CYCLE_1) | instskip(NEXT) | instid1(SALU_CYCLE_1)
	s_add_co_i32 s9, s10, s9
	s_lshr_b32 s25, s9, s31
	s_mov_b32 s9, s23
	s_wait_kmcnt 0x0
	s_mul_i32 s8, s25, s8
	s_lshl_b32 s25, s25, 3
	s_sub_co_i32 s8, s10, s8
	s_delay_alu instid0(SALU_CYCLE_1) | instskip(NEXT) | instid1(SALU_CYCLE_1)
	s_mul_u64 s[10:11], s[8:9], s[22:23]
	s_add_co_i32 s8, s8, s11
	s_delay_alu instid0(SALU_CYCLE_1) | instskip(NEXT) | instid1(SALU_CYCLE_1)
	s_lshr_b32 s24, s8, s13
	s_add_co_i32 s24, s24, s15
	s_delay_alu instid0(SALU_CYCLE_1) | instskip(SKIP_2) | instid1(SALU_CYCLE_1)
	s_cmp_lt_i32 s24, s4
	s_cselect_b32 s8, -1, 0
	s_add_co_i32 s25, s25, s21
	s_cmp_lt_i32 s25, s6
	s_cselect_b32 s9, -1, 0
	s_delay_alu instid0(SALU_CYCLE_1) | instskip(NEXT) | instid1(SALU_CYCLE_1)
	s_and_b32 s8, s8, s9
	s_and_not1_b32 vcc_lo, exec_lo, s8
	s_cbranch_vccnz .LBB16_24
; %bb.8:
	s_load_b128 s[8:11], s[0:1], 0x0
	s_mul_i32 s3, s3, s4
	s_mul_i32 s7, s7, s6
	s_wait_xcnt 0x0
	s_add_co_i32 s0, s24, s3
	s_add_co_i32 s1, s25, s7
	s_mul_i32 s0, s0, s5
	s_add_co_i32 s3, s15, s2
	s_add_co_i32 s1, s1, s0
	v_cvt_f32_u32_e32 v4, s16
	v_lshl_or_b32 v2, s1, 6, v0
	s_add_nc_u64 s[0:1], s[16:17], 0
	s_lshl_b32 s24, s16, 5
	s_xor_b64 s[6:7], s[0:1], 0
	s_lshl_b32 s0, s3, 3
	s_cvt_f32_u32 s3, s6
	s_cvt_f32_u32 s4, s7
	s_add_co_i32 s0, s0, s21
	v_rcp_iflag_f32_e32 v4, v4
	s_ashr_i32 s1, s0, 31
	s_fmamk_f32 s3, s4, 0x4f800000, s3
	s_wait_kmcnt 0x0
	global_load_b32 v1, v2, s[8:9] scale_offset
	s_lshl_b64 s[0:1], s[0:1], 3
	s_mov_b32 s25, 0
	v_s_rcp_f32 s3, s3
	s_add_nc_u64 s[0:1], s[10:11], s[0:1]
	v_dual_mul_f32 v4, 0x4f7ffffe, v4 :: v_dual_ashrrev_i32 v3, 31, v2
	s_load_b64 s[28:29], s[0:1], 0x0
	s_wait_xcnt 0x0
	s_lshl_b64 s[0:1], s[24:25], 2
	v_lshl_or_b32 v6, s21, 6, v0
	s_add_nc_u64 s[26:27], s[10:11], s[0:1]
	s_mul_f32 s3, s3, 0x5f7ffffc
	v_lshl_add_u64 v[2:3], v[2:3], 2, s[8:9]
	v_cvt_u32_f32_e32 v7, v4
	s_mov_b64 s[8:9], 0xffffffff
	s_mul_f32 s4, s3, 0x2f800000
	s_add_co_i32 s36, s2, -1
	s_sub_nc_u64 s[34:35], 0, s[6:7]
	s_delay_alu instid0(SALU_CYCLE_1) | instskip(NEXT) | instid1(SALU_CYCLE_3)
	s_trunc_f32 s4, s4
	s_fmamk_f32 s0, s4, 0xcf800000, s3
	s_cvt_u32_f32 s31, s4
	s_wait_kmcnt 0x0
	v_mov_b32_e32 v0, s29
	s_cvt_u32_f32 s30, s0
.LBB16_9:                               ; =>This Inner Loop Header: Depth=1
	s_ashr_i32 s37, s36, 31
                                        ; implicit-def: $sgpr40_sgpr41
	s_delay_alu instid0(SALU_CYCLE_1) | instskip(NEXT) | instid1(SALU_CYCLE_1)
	s_mul_u64 s[0:1], s[36:37], s[18:19]
	s_and_b64 s[2:3], s[0:1], 0xffffffff00000000
	s_delay_alu instid0(SALU_CYCLE_1)
	s_cmp_lg_u64 s[2:3], 0
	s_mov_b32 s2, -1
	s_cbranch_scc0 .LBB16_11
; %bb.10:                               ;   in Loop: Header=BB16_9 Depth=1
	s_mul_u64 s[2:3], s[34:35], s[30:31]
	s_delay_alu instid0(SALU_CYCLE_1)
	s_mul_hi_u32 s5, s30, s3
	s_mul_i32 s4, s30, s3
	s_mul_hi_u32 s24, s30, s2
	s_mul_hi_u32 s17, s31, s2
	s_add_nc_u64 s[4:5], s[24:25], s[4:5]
	s_mul_i32 s2, s31, s2
	s_mul_hi_u32 s29, s31, s3
	s_add_co_u32 s2, s4, s2
	s_add_co_ci_u32 s24, s5, s17
	s_add_co_ci_u32 s5, s29, 0
	s_mul_i32 s4, s31, s3
	s_delay_alu instid0(SALU_CYCLE_1) | instskip(NEXT) | instid1(SALU_CYCLE_1)
	s_add_nc_u64 s[2:3], s[24:25], s[4:5]
	s_add_co_u32 s2, s30, s2
	s_cselect_b32 s4, -1, 0
	s_delay_alu instid0(SALU_CYCLE_1) | instskip(SKIP_1) | instid1(SALU_CYCLE_1)
	s_cmp_lg_u32 s4, 0
	s_add_co_ci_u32 s3, s31, s3
	s_mul_u64 s[4:5], s[34:35], s[2:3]
	s_delay_alu instid0(SALU_CYCLE_1)
	s_mul_hi_u32 s39, s2, s5
	s_mul_i32 s38, s2, s5
	s_mul_hi_u32 s24, s2, s4
	s_mul_hi_u32 s17, s3, s4
	s_mul_i32 s4, s3, s4
	s_add_nc_u64 s[38:39], s[24:25], s[38:39]
	s_mul_hi_u32 s29, s3, s5
	s_add_co_u32 s4, s38, s4
	s_add_co_ci_u32 s24, s39, s17
	s_mul_i32 s4, s3, s5
	s_add_co_ci_u32 s5, s29, 0
	s_delay_alu instid0(SALU_CYCLE_1) | instskip(NEXT) | instid1(SALU_CYCLE_1)
	s_add_nc_u64 s[4:5], s[24:25], s[4:5]
	s_add_co_u32 s17, s2, s4
	s_cselect_b32 s2, -1, 0
	s_delay_alu instid0(SALU_CYCLE_1) | instskip(SKIP_2) | instid1(SALU_CYCLE_1)
	s_cmp_lg_u32 s2, 0
	s_add_co_ci_u32 s29, s3, s5
	s_ashr_i32 s2, s1, 31
	s_mov_b32 s3, s2
	s_delay_alu instid0(SALU_CYCLE_1) | instskip(NEXT) | instid1(SALU_CYCLE_1)
	s_add_nc_u64 s[4:5], s[0:1], s[2:3]
	s_xor_b64 s[4:5], s[4:5], s[2:3]
	s_delay_alu instid0(SALU_CYCLE_1)
	s_mul_hi_u32 s39, s4, s29
	s_mul_i32 s38, s4, s29
	s_mul_hi_u32 s24, s4, s17
	s_mul_hi_u32 s33, s5, s17
	s_mul_i32 s17, s5, s17
	s_add_nc_u64 s[38:39], s[24:25], s[38:39]
	s_mul_hi_u32 s1, s5, s29
	s_add_co_u32 s17, s38, s17
	s_add_co_ci_u32 s24, s39, s33
	s_mul_i32 s40, s5, s29
	s_add_co_ci_u32 s41, s1, 0
	s_delay_alu instid0(SALU_CYCLE_1) | instskip(NEXT) | instid1(SALU_CYCLE_1)
	s_add_nc_u64 s[38:39], s[24:25], s[40:41]
	s_and_b64 s[40:41], s[38:39], 0xffffffff00000000
	s_delay_alu instid0(SALU_CYCLE_1) | instskip(NEXT) | instid1(SALU_CYCLE_1)
	s_or_b32 s40, s40, s38
	s_mul_u64 s[38:39], s[6:7], s[40:41]
	s_add_nc_u64 s[42:43], s[40:41], 1
	s_sub_co_u32 s1, s4, s38
	s_cselect_b32 s4, -1, 0
	s_sub_co_i32 s17, s5, s39
	s_cmp_lg_u32 s4, 0
	s_add_nc_u64 s[44:45], s[40:41], 2
	s_sub_co_ci_u32 s17, s17, s7
	s_sub_co_u32 s24, s1, s6
	s_cselect_b32 s29, -1, 0
	s_delay_alu instid0(SALU_CYCLE_1) | instskip(SKIP_1) | instid1(SALU_CYCLE_1)
	s_cmp_lg_u32 s29, 0
	s_sub_co_ci_u32 s17, s17, 0
	s_cmp_ge_u32 s17, s7
	s_cselect_b32 s29, -1, 0
	s_cmp_ge_u32 s24, s6
	s_cselect_b32 s24, -1, 0
	s_cmp_eq_u32 s17, s7
	s_cselect_b32 s17, s24, s29
	s_delay_alu instid0(SALU_CYCLE_1) | instskip(SKIP_4) | instid1(SALU_CYCLE_1)
	s_cmp_lg_u32 s17, 0
	s_cselect_b32 s17, s44, s42
	s_cselect_b32 s24, s45, s43
	s_cmp_lg_u32 s4, 0
	s_sub_co_ci_u32 s4, s5, s39
	s_cmp_ge_u32 s4, s7
	s_cselect_b32 s5, -1, 0
	s_cmp_ge_u32 s1, s6
	s_cselect_b32 s1, -1, 0
	s_cmp_eq_u32 s4, s7
	s_cselect_b32 s1, s1, s5
	s_delay_alu instid0(SALU_CYCLE_1) | instskip(SKIP_3) | instid1(SALU_CYCLE_1)
	s_cmp_lg_u32 s1, 0
	s_cselect_b32 s5, s24, s41
	s_cselect_b32 s4, s17, s40
	s_xor_b64 s[2:3], s[2:3], 0
	s_xor_b64 s[4:5], s[4:5], s[2:3]
	s_delay_alu instid0(SALU_CYCLE_1)
	s_sub_nc_u64 s[40:41], s[4:5], s[2:3]
	s_mov_b32 s2, 0
.LBB16_11:                              ;   in Loop: Header=BB16_9 Depth=1
	s_delay_alu instid0(SALU_CYCLE_1)
	s_and_not1_b32 vcc_lo, exec_lo, s2
	s_cbranch_vccnz .LBB16_13
; %bb.12:                               ;   in Loop: Header=BB16_9 Depth=1
	v_readfirstlane_b32 s1, v7
	s_sub_co_i32 s2, 0, s16
	s_delay_alu instid0(SALU_CYCLE_1) | instskip(NEXT) | instid1(SALU_CYCLE_1)
	s_mul_i32 s2, s2, s1
	s_mul_hi_u32 s2, s1, s2
	s_delay_alu instid0(SALU_CYCLE_1) | instskip(NEXT) | instid1(SALU_CYCLE_1)
	s_add_co_i32 s1, s1, s2
	s_mul_hi_u32 s1, s0, s1
	s_delay_alu instid0(SALU_CYCLE_1) | instskip(NEXT) | instid1(SALU_CYCLE_1)
	s_mul_i32 s2, s1, s16
	s_sub_co_i32 s0, s0, s2
	s_add_co_i32 s2, s1, 1
	s_sub_co_i32 s3, s0, s16
	s_cmp_ge_u32 s0, s16
	s_cselect_b32 s1, s2, s1
	s_cselect_b32 s0, s3, s0
	s_add_co_i32 s2, s1, 1
	s_cmp_ge_u32 s0, s16
	s_cselect_b32 s24, s2, s1
	s_delay_alu instid0(SALU_CYCLE_1)
	s_mov_b64 s[40:41], s[24:25]
.LBB16_13:                              ;   in Loop: Header=BB16_9 Depth=1
	s_delay_alu instid0(SALU_CYCLE_1)
	s_cmp_lg_u32 s20, s40
	s_mov_b32 s0, -1
                                        ; implicit-def: $vgpr4_vgpr5
                                        ; implicit-def: $sgpr29
                                        ; implicit-def: $sgpr17
                                        ; implicit-def: $sgpr24
                                        ; implicit-def: $sgpr33
	s_cbranch_scc0 .LBB16_18
; %bb.14:                               ;   in Loop: Header=BB16_9 Depth=1
	s_add_co_i32 s42, s36, s15
	v_max_num_f32_e64 v4, s28, s28
	s_add_co_i32 s0, s42, s16
	s_mov_b32 s33, s20
	s_lshl_b32 s0, s0, 3
	s_delay_alu instid0(SALU_CYCLE_1)
	s_add_co_i32 s0, s0, s21
	s_load_b64 s[38:39], s[10:11], s0 offset:0x0 scale_offset
	s_wait_xcnt 0x0
	v_readfirstlane_b32 s0, v4
	s_wait_kmcnt 0x0
	v_max_num_f32_e64 v5, s38, s38
	s_delay_alu instid0(VALU_DEP_1) | instskip(SKIP_1) | instid1(SALU_CYCLE_3)
	v_readfirstlane_b32 s1, v5
	s_max_num_f32 s17, s0, s1
	s_sub_f32 s37, s28, s17
	s_sub_f32 s38, s38, s17
	s_delay_alu instid0(SALU_CYCLE_2)
	s_cmp_nlt_f32 s37, 0xc2ce8ed0
	s_cselect_b32 s1, -1, 0
	s_cmp_ngt_f32 s37, 0x42b17218
	s_cselect_b32 s2, -1, 0
	s_cmp_ge_f32 s37, 0xc1a00000
	s_cselect_b32 s0, -1, 0
	s_cmp_nlt_f32 s38, 0xc2ce8ed0
	s_cselect_b32 s3, -1, 0
	s_cmp_ngt_f32 s38, 0x42b17218
	s_cselect_b32 s4, -1, 0
	s_cmp_ge_f32 s38, 0xc1a00000
	s_cselect_b32 s5, -1, 0
	s_and_b64 s[44:45], s[40:41], s[8:9]
	s_delay_alu instid0(SALU_CYCLE_1) | instskip(NEXT) | instid1(SALU_CYCLE_1)
	s_mul_u64 s[44:45], s[44:45], s[22:23]
	s_add_co_i32 s24, s45, s40
	s_delay_alu instid0(SALU_CYCLE_1) | instskip(NEXT) | instid1(SALU_CYCLE_1)
	s_lshr_b32 s24, s24, s13
	s_mul_i32 s29, s24, s14
	s_delay_alu instid0(SALU_CYCLE_1) | instskip(SKIP_3) | instid1(SALU_CYCLE_1)
	s_cmp_eq_u32 s29, s40
	s_cselect_b32 s29, -1, 0
	s_cmp_lt_u32 s24, s12
	s_cselect_b32 s24, -1, 0
	s_or_b32 s24, s24, s29
	s_mov_b32 s29, -1
	s_and_b32 vcc_lo, exec_lo, s24
	s_mov_b32 s24, s36
	s_cbranch_vccnz .LBB16_16
; %bb.15:                               ;   in Loop: Header=BB16_9 Depth=1
	s_add_co_i32 s24, s36, -1
	s_mov_b32 s29, 0
	s_mov_b32 s33, s40
.LBB16_16:                              ;   in Loop: Header=BB16_9 Depth=1
	v_lshl_add_u32 v4, s42, 9, v6
	s_mul_f32 s41, s37, 0x3fb8aa3b
	s_mul_f32 s40, s38, 0x3fb8aa3b
	s_delay_alu instid0(SALU_CYCLE_2)
	s_xor_b32 s43, s41, 0x80000000
	global_load_b32 v5, v4, s[26:27] scale_offset
	s_fmamk_f32 s43, s37, 0x3fb8aa3b, s43
	s_rndne_f32 s45, s41
	s_xor_b32 s42, s40, 0x80000000
	s_rndne_f32 s44, s40
	s_fmamk_f32 s37, s37, 0x32a5705f, s43
	s_sub_f32 s41, s41, s45
	s_fmamk_f32 s42, s38, 0x3fb8aa3b, s42
	s_sub_f32 s40, s40, s44
	s_delay_alu instid0(SALU_CYCLE_1) | instskip(NEXT) | instid1(SALU_CYCLE_1)
	s_add_f32 s37, s41, s37
	s_fmamk_f32 s38, s38, 0x32a5705f, s42
	s_cvt_i32_f32 s41, s45
	s_delay_alu instid0(SALU_CYCLE_1) | instskip(NEXT) | instid1(SALU_CYCLE_1)
	v_s_exp_f32 s37, s37
	s_add_f32 s38, s40, s38
	s_cvt_i32_f32 s40, s44
	s_delay_alu instid0(SALU_CYCLE_2) | instskip(NEXT) | instid1(TRANS32_DEP_2)
	v_s_exp_f32 s38, s38
	v_ldexp_f32 v8, s37, s41
	s_wait_xcnt 0x0
	s_delay_alu instid0(TRANS32_DEP_1) | instskip(NEXT) | instid1(VALU_DEP_2)
	v_ldexp_f32 v4, s38, s40
	v_cndmask_b32_e64 v8, 0, v8, s1
	s_delay_alu instid0(VALU_DEP_1) | instskip(NEXT) | instid1(VALU_DEP_1)
	v_cndmask_b32_e64 v9, 0x7f800000, v8, s2
	v_dual_cndmask_b32 v4, 0, v4, s3 :: v_dual_cndmask_b32 v10, 0, v9, s0
	s_delay_alu instid0(VALU_DEP_1) | instskip(NEXT) | instid1(VALU_DEP_1)
	v_cndmask_b32_e64 v4, 0x7f800000, v4, s4
	v_dual_cndmask_b32 v8, 0, v4, s5 :: v_dual_mov_b32 v4, s39
	s_wait_loadcnt 0x0
	s_delay_alu instid0(VALU_DEP_1) | instskip(NEXT) | instid1(VALU_DEP_1)
	v_pk_mul_f32 v[4:5], v[4:5], v[8:9] op_sel_hi:[1,0]
	v_pk_fma_f32 v[4:5], v[0:1], v[10:11], v[4:5] op_sel_hi:[1,0,1]
	s_cbranch_execz .LBB16_19
.LBB16_17:                              ;   in Loop: Header=BB16_9 Depth=1
	s_and_not1_b32 vcc_lo, exec_lo, s29
	s_cbranch_vccnz .LBB16_20
	s_branch .LBB16_23
.LBB16_18:                              ;   in Loop: Header=BB16_9 Depth=1
	s_and_not1_b32 vcc_lo, exec_lo, s0
	s_cbranch_vccnz .LBB16_17
.LBB16_19:                              ;   in Loop: Header=BB16_9 Depth=1
	s_wait_loadcnt 0x0
	v_mov_b64_e32 v[4:5], v[0:1]
	s_add_co_i32 s24, s36, -1
	s_mov_b32 s33, s20
	s_mov_b32 s17, s28
	s_cbranch_execz .LBB16_23
.LBB16_20:                              ;   in Loop: Header=BB16_9 Depth=1
	s_wait_loadcnt 0x0
	s_delay_alu instid0(VALU_DEP_1)
	v_mov_b64_e32 v[0:1], v[4:5]
	s_mov_b32 s20, s33
	s_mov_b32 s36, s24
	;; [unrolled: 1-line block ×3, first 2 shown]
	s_branch .LBB16_9
.LBB16_21:
                                        ; implicit-def: $sgpr20_sgpr21
	s_branch .LBB16_2
.LBB16_22:
                                        ; implicit-def: $sgpr24_sgpr25
	s_load_b96 s[12:14], s[0:1], 0x44
	s_branch .LBB16_5
.LBB16_23:
	s_delay_alu instid0(VALU_DEP_1) | instskip(SKIP_1) | instid1(VALU_DEP_1)
	v_div_scale_f32 v0, null, v4, v4, v5
	s_wait_loadcnt 0x0
	v_rcp_f32_e32 v1, v0
	v_nop
	s_delay_alu instid0(TRANS32_DEP_1) | instskip(NEXT) | instid1(VALU_DEP_1)
	v_fma_f32 v6, -v0, v1, 1.0
	v_fmac_f32_e32 v1, v6, v1
	v_div_scale_f32 v6, vcc_lo, v5, v4, v5
	s_delay_alu instid0(VALU_DEP_1) | instskip(NEXT) | instid1(VALU_DEP_1)
	v_mul_f32_e32 v7, v6, v1
	v_fma_f32 v8, -v0, v7, v6
	s_delay_alu instid0(VALU_DEP_1) | instskip(NEXT) | instid1(VALU_DEP_1)
	v_fmac_f32_e32 v7, v8, v1
	v_fma_f32 v0, -v0, v7, v6
	s_delay_alu instid0(VALU_DEP_1) | instskip(NEXT) | instid1(VALU_DEP_1)
	v_div_fmas_f32 v0, v0, v1, v7
	v_div_fixup_f32 v0, v0, v4, v5
	global_store_b32 v[2:3], v0, off
.LBB16_24:
	s_endpgm
	.section	.rodata,"a",@progbits
	.p2align	6, 0x0
	.amdhsa_kernel _ZL33flash_attn_stream_k_fixup_generalILi64ELi1ELi8EEvPfPK15HIP_vector_typeIfLj2EEiiiiS1_IjLj3EES5_S5_S5_
		.amdhsa_group_segment_fixed_size 0
		.amdhsa_private_segment_fixed_size 0
		.amdhsa_kernarg_size 336
		.amdhsa_user_sgpr_count 2
		.amdhsa_user_sgpr_dispatch_ptr 0
		.amdhsa_user_sgpr_queue_ptr 0
		.amdhsa_user_sgpr_kernarg_segment_ptr 1
		.amdhsa_user_sgpr_dispatch_id 0
		.amdhsa_user_sgpr_kernarg_preload_length 0
		.amdhsa_user_sgpr_kernarg_preload_offset 0
		.amdhsa_user_sgpr_private_segment_size 0
		.amdhsa_wavefront_size32 1
		.amdhsa_uses_dynamic_stack 0
		.amdhsa_enable_private_segment 0
		.amdhsa_system_sgpr_workgroup_id_x 1
		.amdhsa_system_sgpr_workgroup_id_y 1
		.amdhsa_system_sgpr_workgroup_id_z 1
		.amdhsa_system_sgpr_workgroup_info 0
		.amdhsa_system_vgpr_workitem_id 0
		.amdhsa_next_free_vgpr 12
		.amdhsa_next_free_sgpr 46
		.amdhsa_named_barrier_count 0
		.amdhsa_reserve_vcc 1
		.amdhsa_float_round_mode_32 0
		.amdhsa_float_round_mode_16_64 0
		.amdhsa_float_denorm_mode_32 3
		.amdhsa_float_denorm_mode_16_64 3
		.amdhsa_fp16_overflow 0
		.amdhsa_memory_ordered 1
		.amdhsa_forward_progress 1
		.amdhsa_inst_pref_size 26
		.amdhsa_round_robin_scheduling 0
		.amdhsa_exception_fp_ieee_invalid_op 0
		.amdhsa_exception_fp_denorm_src 0
		.amdhsa_exception_fp_ieee_div_zero 0
		.amdhsa_exception_fp_ieee_overflow 0
		.amdhsa_exception_fp_ieee_underflow 0
		.amdhsa_exception_fp_ieee_inexact 0
		.amdhsa_exception_int_div_zero 0
	.end_amdhsa_kernel
	.section	.text._ZL33flash_attn_stream_k_fixup_generalILi64ELi1ELi8EEvPfPK15HIP_vector_typeIfLj2EEiiiiS1_IjLj3EES5_S5_S5_,"axG",@progbits,_ZL33flash_attn_stream_k_fixup_generalILi64ELi1ELi8EEvPfPK15HIP_vector_typeIfLj2EEiiiiS1_IjLj3EES5_S5_S5_,comdat
.Lfunc_end16:
	.size	_ZL33flash_attn_stream_k_fixup_generalILi64ELi1ELi8EEvPfPK15HIP_vector_typeIfLj2EEiiiiS1_IjLj3EES5_S5_S5_, .Lfunc_end16-_ZL33flash_attn_stream_k_fixup_generalILi64ELi1ELi8EEvPfPK15HIP_vector_typeIfLj2EEiiiiS1_IjLj3EES5_S5_S5_
                                        ; -- End function
	.set _ZL33flash_attn_stream_k_fixup_generalILi64ELi1ELi8EEvPfPK15HIP_vector_typeIfLj2EEiiiiS1_IjLj3EES5_S5_S5_.num_vgpr, 12
	.set _ZL33flash_attn_stream_k_fixup_generalILi64ELi1ELi8EEvPfPK15HIP_vector_typeIfLj2EEiiiiS1_IjLj3EES5_S5_S5_.num_agpr, 0
	.set _ZL33flash_attn_stream_k_fixup_generalILi64ELi1ELi8EEvPfPK15HIP_vector_typeIfLj2EEiiiiS1_IjLj3EES5_S5_S5_.numbered_sgpr, 46
	.set _ZL33flash_attn_stream_k_fixup_generalILi64ELi1ELi8EEvPfPK15HIP_vector_typeIfLj2EEiiiiS1_IjLj3EES5_S5_S5_.num_named_barrier, 0
	.set _ZL33flash_attn_stream_k_fixup_generalILi64ELi1ELi8EEvPfPK15HIP_vector_typeIfLj2EEiiiiS1_IjLj3EES5_S5_S5_.private_seg_size, 0
	.set _ZL33flash_attn_stream_k_fixup_generalILi64ELi1ELi8EEvPfPK15HIP_vector_typeIfLj2EEiiiiS1_IjLj3EES5_S5_S5_.uses_vcc, 1
	.set _ZL33flash_attn_stream_k_fixup_generalILi64ELi1ELi8EEvPfPK15HIP_vector_typeIfLj2EEiiiiS1_IjLj3EES5_S5_S5_.uses_flat_scratch, 0
	.set _ZL33flash_attn_stream_k_fixup_generalILi64ELi1ELi8EEvPfPK15HIP_vector_typeIfLj2EEiiiiS1_IjLj3EES5_S5_S5_.has_dyn_sized_stack, 0
	.set _ZL33flash_attn_stream_k_fixup_generalILi64ELi1ELi8EEvPfPK15HIP_vector_typeIfLj2EEiiiiS1_IjLj3EES5_S5_S5_.has_recursion, 0
	.set _ZL33flash_attn_stream_k_fixup_generalILi64ELi1ELi8EEvPfPK15HIP_vector_typeIfLj2EEiiiiS1_IjLj3EES5_S5_S5_.has_indirect_call, 0
	.section	.AMDGPU.csdata,"",@progbits
; Kernel info:
; codeLenInByte = 3328
; TotalNumSgprs: 48
; NumVgprs: 12
; ScratchSize: 0
; MemoryBound: 0
; FloatMode: 240
; IeeeMode: 1
; LDSByteSize: 0 bytes/workgroup (compile time only)
; SGPRBlocks: 0
; VGPRBlocks: 0
; NumSGPRsForWavesPerEU: 48
; NumVGPRsForWavesPerEU: 12
; NamedBarCnt: 0
; Occupancy: 16
; WaveLimiterHint : 0
; COMPUTE_PGM_RSRC2:SCRATCH_EN: 0
; COMPUTE_PGM_RSRC2:USER_SGPR: 2
; COMPUTE_PGM_RSRC2:TRAP_HANDLER: 0
; COMPUTE_PGM_RSRC2:TGID_X_EN: 1
; COMPUTE_PGM_RSRC2:TGID_Y_EN: 1
; COMPUTE_PGM_RSRC2:TGID_Z_EN: 1
; COMPUTE_PGM_RSRC2:TIDIG_COMP_CNT: 0
	.section	.text._ZL15flash_attn_tileILi64ELi64ELi16ELi4ELb0EEvPKcS1_S1_S1_S1_PKiPfP15HIP_vector_typeIfLj2EEffffjfiS5_IjLj3EEiiiiiiiiiiiliiliiiiil,"axG",@progbits,_ZL15flash_attn_tileILi64ELi64ELi16ELi4ELb0EEvPKcS1_S1_S1_S1_PKiPfP15HIP_vector_typeIfLj2EEffffjfiS5_IjLj3EEiiiiiiiiiiiliiliiiiil,comdat
	.globl	_ZL15flash_attn_tileILi64ELi64ELi16ELi4ELb0EEvPKcS1_S1_S1_S1_PKiPfP15HIP_vector_typeIfLj2EEffffjfiS5_IjLj3EEiiiiiiiiiiiliiliiiiil ; -- Begin function _ZL15flash_attn_tileILi64ELi64ELi16ELi4ELb0EEvPKcS1_S1_S1_S1_PKiPfP15HIP_vector_typeIfLj2EEffffjfiS5_IjLj3EEiiiiiiiiiiiliiliiiiil
	.p2align	8
	.type	_ZL15flash_attn_tileILi64ELi64ELi16ELi4ELb0EEvPKcS1_S1_S1_S1_PKiPfP15HIP_vector_typeIfLj2EEffffjfiS5_IjLj3EEiiiiiiiiiiiliiliiiiil,@function
_ZL15flash_attn_tileILi64ELi64ELi16ELi4ELb0EEvPKcS1_S1_S1_S1_PKiPfP15HIP_vector_typeIfLj2EEffffjfiS5_IjLj3EEiiiiiiiiiiiliiliiiiil: ; @_ZL15flash_attn_tileILi64ELi64ELi16ELi4ELb0EEvPKcS1_S1_S1_S1_PKiPfP15HIP_vector_typeIfLj2EEffffjfiS5_IjLj3EEiiiiiiiiiiiliiliiiiil
; %bb.0:
	s_clause 0x1
	s_load_b128 s[20:23], s[0:1], 0x5c
	s_load_b64 s[30:31], s[0:1], 0x80
	s_bfe_u32 s5, ttmp6, 0x40014
	s_lshr_b32 s4, ttmp7, 16
	s_add_co_i32 s5, s5, 1
	s_bfe_u32 s6, ttmp6, 0x40008
	s_mul_i32 s5, s4, s5
	s_getreg_b32 s36, hwreg(HW_REG_IB_STS2, 6, 4)
	s_add_co_i32 s6, s6, s5
	s_load_b64 s[38:39], s[0:1], 0xb8
	s_mov_b32 s37, 0
	s_mov_b64 s[34:35], 0
	s_wait_kmcnt 0x0
	s_ashr_i32 s2, s23, 31
	s_delay_alu instid0(SALU_CYCLE_1) | instskip(NEXT) | instid1(SALU_CYCLE_1)
	s_lshr_b32 s2, s2, 30
	s_add_co_i32 s2, s23, s2
	s_delay_alu instid0(SALU_CYCLE_1) | instskip(NEXT) | instid1(SALU_CYCLE_1)
	s_ashr_i32 s2, s2, 2
	s_cvt_f32_u32 s3, s2
	s_sub_co_i32 s7, 0, s2
	s_delay_alu instid0(SALU_CYCLE_2) | instskip(SKIP_1) | instid1(TRANS32_DEP_1)
	v_rcp_iflag_f32_e32 v1, s3
	v_nop
	v_readfirstlane_b32 s3, v1
	s_mul_f32 s3, s3, 0x4f7ffffe
	s_delay_alu instid0(SALU_CYCLE_3) | instskip(NEXT) | instid1(SALU_CYCLE_3)
	s_cvt_u32_f32 s3, s3
	s_mul_i32 s7, s7, s3
	s_delay_alu instid0(SALU_CYCLE_1) | instskip(NEXT) | instid1(SALU_CYCLE_1)
	s_mul_hi_u32 s7, s3, s7
	s_add_co_i32 s3, s3, s7
	s_cmp_eq_u32 s36, 0
	s_cselect_b32 s4, s4, s6
	s_delay_alu instid0(SALU_CYCLE_1) | instskip(NEXT) | instid1(SALU_CYCLE_1)
	s_mul_hi_u32 s3, s4, s3
	s_mul_i32 s5, s3, s2
	s_add_co_i32 s6, s3, 1
	s_sub_co_i32 s5, s4, s5
	s_delay_alu instid0(SALU_CYCLE_1)
	s_sub_co_i32 s7, s5, s2
	s_cmp_ge_u32 s5, s2
	s_cselect_b32 s3, s6, s3
	s_cselect_b32 s5, s7, s5
	s_add_co_i32 s6, s3, 1
	s_cmp_ge_u32 s5, s2
	s_cselect_b32 s28, s6, s3
	s_abs_i32 s3, s31
	s_lshl_b32 s4, s4, 2
	s_cvt_f32_u32 s2, s3
	s_sub_co_i32 s5, 0, s3
	s_mul_i32 s6, s28, s23
	s_abs_i32 s7, s23
	v_rcp_iflag_f32_e32 v1, s2
	v_nop
	s_delay_alu instid0(TRANS32_DEP_1) | instskip(SKIP_1) | instid1(SALU_CYCLE_3)
	v_readfirstlane_b32 s2, v1
	s_mul_f32 s2, s2, 0x4f7ffffe
	s_cvt_u32_f32 s2, s2
	s_delay_alu instid0(SALU_CYCLE_3) | instskip(NEXT) | instid1(SALU_CYCLE_1)
	s_mul_i32 s5, s5, s2
	s_mul_hi_u32 s5, s2, s5
	s_delay_alu instid0(SALU_CYCLE_1)
	s_add_co_i32 s5, s2, s5
	s_sub_co_i32 s2, s4, s6
	s_mul_hi_u32 s4, s7, s5
	s_xor_b32 s5, s23, s31
	s_mul_i32 s6, s4, s3
	s_ashr_i32 s24, s5, 31
	s_sub_co_i32 s5, s7, s6
	s_add_co_i32 s6, s4, 1
	s_sub_co_i32 s7, s5, s3
	s_cmp_ge_u32 s5, s3
	s_cselect_b32 s4, s6, s4
	s_cselect_b32 s5, s7, s5
	s_add_co_i32 s6, s4, 1
	s_cmp_ge_u32 s5, s3
	s_cselect_b32 s3, s6, s4
	s_load_b512 s[4:19], s[0:1], 0x0
	s_xor_b32 s3, s3, s24
	s_delay_alu instid0(SALU_CYCLE_1) | instskip(NEXT) | instid1(SALU_CYCLE_1)
	s_sub_co_i32 s27, s3, s24
	s_abs_i32 s3, s27
	s_delay_alu instid0(SALU_CYCLE_1) | instskip(NEXT) | instid1(SALU_CYCLE_3)
	s_cvt_f32_u32 s24, s3
	v_rcp_iflag_f32_e32 v1, s24
	v_nop
	s_delay_alu instid0(TRANS32_DEP_1)
	v_readfirstlane_b32 s29, v1
	s_wait_kmcnt 0x0
	s_cmp_eq_u64 s[10:11], 0
	s_cbranch_scc1 .LBB17_2
; %bb.1:
	s_abs_i32 s26, s38
	s_abs_i32 s31, s28
	s_cvt_f32_u32 s24, s26
	s_sub_co_i32 s25, 0, s26
	s_delay_alu instid0(SALU_CYCLE_2) | instskip(SKIP_1) | instid1(TRANS32_DEP_1)
	v_rcp_iflag_f32_e32 v1, s24
	v_nop
	v_readfirstlane_b32 s24, v1
	s_mul_f32 s24, s24, 0x4f7ffffe
	s_delay_alu instid0(SALU_CYCLE_3) | instskip(NEXT) | instid1(SALU_CYCLE_3)
	s_cvt_u32_f32 s24, s24
	s_mul_i32 s25, s25, s24
	s_delay_alu instid0(SALU_CYCLE_1) | instskip(NEXT) | instid1(SALU_CYCLE_1)
	s_mul_hi_u32 s25, s24, s25
	s_add_co_i32 s24, s24, s25
	s_delay_alu instid0(SALU_CYCLE_1) | instskip(SKIP_2) | instid1(SALU_CYCLE_1)
	s_mul_hi_u32 s33, s31, s24
	s_load_b64 s[24:25], s[0:1], 0xc8
	s_mul_i32 s33, s33, s26
	s_sub_co_i32 s31, s31, s33
	s_ashr_i32 s33, s28, 31
	s_sub_co_i32 s34, s31, s26
	s_cmp_ge_u32 s31, s26
	s_cselect_b32 s31, s34, s31
	s_delay_alu instid0(SALU_CYCLE_1) | instskip(SKIP_2) | instid1(SALU_CYCLE_1)
	s_sub_co_i32 s34, s31, s26
	s_cmp_ge_u32 s31, s26
	s_cselect_b32 s26, s34, s31
	s_xor_b32 s26, s26, s33
	s_delay_alu instid0(SALU_CYCLE_1) | instskip(NEXT) | instid1(SALU_CYCLE_1)
	s_sub_co_i32 s34, s26, s33
	s_ashr_i32 s35, s34, 31
	s_wait_kmcnt 0x0
	s_mul_u64 s[24:25], s[24:25], s[34:35]
	s_delay_alu instid0(SALU_CYCLE_1)
	s_add_nc_u64 s[34:35], s[10:11], s[24:25]
.LBB17_2:
	s_bfe_u32 s10, ttmp6, 0x4000c
	v_bfe_u32 v10, v0, 10, 10
	s_add_co_i32 s10, s10, 1
	s_and_b32 s11, ttmp6, 15
	s_mul_i32 s10, ttmp9, s10
	s_delay_alu instid0(VALU_DEP_1)
	v_dual_mov_b32 v17, 0 :: v_dual_lshlrev_b32 v175, 2, v10
	s_add_co_i32 s11, s11, s10
	s_cmp_eq_u32 s36, 0
	s_clause 0x1
	s_load_b96 s[24:26], s[0:1], 0x70
	s_load_b32 s38, s[0:1], 0x40
	s_cselect_b32 s31, ttmp9, s11
	v_and_b32_e32 v124, 0x3ff, v0
	s_lshl_b32 s33, s31, 4
	s_delay_alu instid0(SALU_CYCLE_1) | instskip(NEXT) | instid1(VALU_DEP_2)
	v_dual_lshlrev_b32 v1, 4, v10 :: v_dual_add_nc_u32 v177, s33, v175
	v_dual_mov_b32 v7, v17 :: v_dual_lshlrev_b32 v0, 3, v124
	s_delay_alu instid0(VALU_DEP_2) | instskip(NEXT) | instid1(VALU_DEP_3)
	v_dual_mov_b32 v3, v17 :: v_dual_bitop2_b32 v11, 4, v1 bitop3:0x54
	v_mul_hi_u32 v2, v177, s20
	v_or_b32_e32 v12, 5, v1
	v_dual_mov_b32 v5, v17 :: v_dual_bitop2_b32 v13, 6, v1 bitop3:0x54
	s_delay_alu instid0(VALU_DEP_4)
	v_dual_mov_b32 v9, v17 :: v_dual_lshrrev_b32 v174, 2, v11
	v_mov_b32_e32 v41, v17
	s_wait_kmcnt 0x0
	s_mul_i32 s42, s2, s25
	s_ashr_i32 s45, s25, 31
	v_dual_add_nc_u32 v2, v177, v2 :: v_dual_bitop2_b32 v15, 8, v1 bitop3:0x54
	v_dual_lshrrev_b32 v156, 2, v12 :: v_dual_bitop2_b32 v14, 7, v1 bitop3:0x54
	v_add_nc_u32_e32 v181, s33, v174
	s_delay_alu instid0(VALU_DEP_3) | instskip(NEXT) | instid1(VALU_DEP_3)
	v_dual_lshrrev_b32 v2, s21, v2 :: v_dual_bitop2_b32 v18, 9, v1 bitop3:0x54
	v_dual_lshrrev_b32 v151, 2, v14 :: v_dual_bitop2_b32 v19, 10, v1 bitop3:0x54
	v_lshrrev_b32_e32 v148, 2, v15
	s_delay_alu instid0(VALU_DEP_3) | instskip(SKIP_3) | instid1(VALU_DEP_3)
	v_mul_lo_u32 v2, v2, s22
	v_dual_add_nc_u32 v180, s33, v156 :: v_dual_bitop2_b32 v20, 11, v1 bitop3:0x54
	v_dual_lshrrev_b32 v145, 2, v18 :: v_dual_lshrrev_b32 v153, 2, v13
	v_add_nc_u32_e32 v178, s33, v151
	v_mul_hi_u32 v4, v180, s20
	s_delay_alu instid0(VALU_DEP_4) | instskip(NEXT) | instid1(VALU_DEP_4)
	v_dual_lshrrev_b32 v140, 2, v20 :: v_dual_bitop2_b32 v21, 12, v1 bitop3:0x54
	v_dual_lshrrev_b32 v142, 2, v19 :: v_dual_add_nc_u32 v179, s33, v153
	v_dual_sub_nc_u32 v16, v177, v2 :: v_dual_add_nc_u32 v176, s33, v148
	v_mul_hi_u32 v2, v181, s20
	v_mul_hi_u32 v8, v178, s20
	s_delay_alu instid0(VALU_DEP_4) | instskip(SKIP_4) | instid1(VALU_DEP_3)
	v_mul_hi_u32 v6, v179, s20
	v_dual_add_nc_u32 v157, s33, v145 :: v_dual_add_nc_u32 v155, s33, v142
	v_mul_hi_u32 v24, v176, s20
	s_mov_b32 s44, s25
	v_add_nc_u32_e32 v4, v180, v4
	v_mul_hi_u32 v25, v157, s20
	v_mul_hi_u32 v28, v155, s20
	s_ashr_i32 s25, s24, 31
	s_delay_alu instid0(VALU_DEP_3) | instskip(SKIP_2) | instid1(VALU_DEP_2)
	v_dual_add_nc_u32 v2, v181, v2 :: v_dual_lshrrev_b32 v4, s21, v4
	v_dual_add_nc_u32 v6, v179, v6 :: v_dual_add_nc_u32 v8, v178, v8
	s_lshr_b64 s[10:11], s[24:25], 2
	v_dual_lshrrev_b32 v2, s21, v2 :: v_dual_add_nc_u32 v24, v176, v24
	s_delay_alu instid0(VALU_DEP_2) | instskip(SKIP_1) | instid1(VALU_DEP_3)
	v_dual_lshrrev_b32 v6, s21, v6 :: v_dual_lshrrev_b32 v8, s21, v8
	v_add_nc_u32_e32 v25, v157, v25
	v_mul_lo_u32 v2, v2, s22
	s_delay_alu instid0(VALU_DEP_4)
	v_lshrrev_b32_e32 v24, s21, v24
	v_mul_lo_u32 v4, v4, s22
	v_mul_lo_u32 v6, v6, s22
	;; [unrolled: 1-line block ×3, first 2 shown]
	v_lshrrev_b32_e32 v29, s21, v25
	v_mul_u64_e32 v[22:23], s[10:11], v[16:17]
	s_mul_i32 s40, s28, s26
	s_ashr_i32 s43, s42, 31
	s_ashr_i32 s41, s40, 31
	s_lshr_b64 s[24:25], s[44:45], 2
	v_sub_nc_u32_e32 v2, v181, v2
	v_mul_lo_u32 v27, v24, s22
	v_dual_sub_nc_u32 v4, v180, v4 :: v_dual_sub_nc_u32 v8, v179, v6
	v_dual_sub_nc_u32 v6, v178, v26 :: v_dual_lshrrev_b32 v150, 2, v21
	v_mul_lo_u32 v29, v29, s22
	v_add_nc_u32_e32 v154, s33, v140
	v_dual_add_nc_u32 v28, v155, v28 :: v_dual_bitop2_b32 v54, 13, v1 bitop3:0x54
	v_or_b32_e32 v55, 14, v1
	v_dual_sub_nc_u32 v26, v176, v27 :: v_dual_bitop2_b32 v56, 15, v1 bitop3:0x54
	v_mov_b32_e32 v27, v17
	v_mul_hi_u32 v30, v154, s20
	v_dual_add_nc_u32 v152, s33, v150 :: v_dual_lshrrev_b32 v1, s21, v28
	v_dual_lshrrev_b32 v147, 2, v54 :: v_dual_lshrrev_b32 v144, 2, v55
	v_dual_sub_nc_u32 v28, v157, v29 :: v_dual_lshrrev_b32 v141, 2, v56
	s_delay_alu instid0(VALU_DEP_3) | instskip(NEXT) | instid1(VALU_DEP_3)
	v_mul_hi_u32 v31, v152, s20
	v_dual_add_nc_u32 v149, s33, v147 :: v_dual_add_nc_u32 v146, s33, v144
	v_mul_lo_u32 v1, v1, s22
	s_delay_alu instid0(VALU_DEP_4) | instskip(NEXT) | instid1(VALU_DEP_3)
	v_dual_add_nc_u32 v29, v154, v30 :: v_dual_add_nc_u32 v143, s33, v141
	v_mul_hi_u32 v30, v149, s20
	s_delay_alu instid0(VALU_DEP_4) | instskip(SKIP_1) | instid1(VALU_DEP_4)
	v_mul_hi_u32 v32, v146, s20
	v_mul_u64_e32 v[2:3], s[10:11], v[2:3]
	v_lshrrev_b32_e32 v33, s21, v29
	v_mul_hi_u32 v34, v143, s20
	v_dual_add_nc_u32 v31, v152, v31 :: v_dual_mov_b32 v29, v17
	v_mul_u64_e32 v[26:27], s[10:11], v[26:27]
	s_delay_alu instid0(VALU_DEP_4) | instskip(SKIP_1) | instid1(VALU_DEP_4)
	v_mul_lo_u32 v33, v33, s22
	v_mul_u64_e32 v[4:5], s[10:11], v[4:5]
	v_dual_lshrrev_b32 v31, s21, v31 :: v_dual_add_nc_u32 v35, v149, v30
	v_dual_add_nc_u32 v32, v146, v32 :: v_dual_sub_nc_u32 v30, v155, v1
	v_mul_u64_e32 v[28:29], s[10:11], v[28:29]
	v_add_nc_u32_e32 v1, v143, v34
	s_delay_alu instid0(VALU_DEP_4) | instskip(SKIP_2) | instid1(VALU_DEP_4)
	v_mul_lo_u32 v36, v31, s22
	v_dual_mov_b32 v31, v17 :: v_dual_lshrrev_b32 v34, s21, v35
	v_dual_lshrrev_b32 v35, s21, v32 :: v_dual_sub_nc_u32 v32, v154, v33
	v_dual_lshrrev_b32 v1, s21, v1 :: v_dual_mov_b32 v33, v17
	s_delay_alu instid0(VALU_DEP_3) | instskip(NEXT) | instid1(VALU_DEP_3)
	v_mul_lo_u32 v37, v34, s22
	v_mul_lo_u32 v38, v35, s22
	v_mul_u64_e32 v[8:9], s[10:11], v[8:9]
	s_delay_alu instid0(VALU_DEP_4)
	v_mul_lo_u32 v40, v1, s22
	v_mul_u64_e32 v[6:7], s[10:11], v[6:7]
	v_dual_mov_b32 v35, v17 :: v_dual_sub_nc_u32 v34, v152, v36
	v_dual_mov_b32 v1, v17 :: v_dual_mov_b32 v39, v17
	v_mul_u64_e32 v[30:31], s[10:11], v[30:31]
	v_mul_u64_e32 v[32:33], s[10:11], v[32:33]
	v_dual_sub_nc_u32 v36, v149, v37 :: v_dual_sub_nc_u32 v38, v146, v38
	v_dual_mov_b32 v37, v17 :: v_dual_sub_nc_u32 v40, v143, v40
	v_mul_u64_e32 v[34:35], s[10:11], v[34:35]
	s_add_nc_u64 s[4:5], s[4:5], s[40:41]
	s_delay_alu instid0(VALU_DEP_3) | instskip(NEXT) | instid1(VALU_DEP_3)
	v_mul_u64_e32 v[38:39], s[10:11], v[38:39]
	v_mul_u64_e32 v[36:37], s[10:11], v[36:37]
	v_mul_u64_e32 v[40:41], s[10:11], v[40:41]
	s_and_b64 s[44:45], s[44:45], -4
	s_add_nc_u64 s[4:5], s[4:5], s[42:43]
	s_lshl_b64 s[42:43], s[24:25], 3
	s_add_nc_u64 s[40:41], s[4:5], s[44:45]
	s_mul_u64 s[24:25], s[24:25], 12
	s_add_nc_u64 s[10:11], s[4:5], s[42:43]
	v_lshl_add_u64 v[2:3], v[2:3], 2, s[4:5]
	v_lshl_add_u64 v[26:27], v[26:27], 2, s[4:5]
	;; [unrolled: 1-line block ×3, first 2 shown]
	s_add_nc_u64 s[24:25], s[4:5], s[24:25]
	v_lshl_add_u64 v[28:29], v[28:29], 2, s[40:41]
	v_lshlrev_b64_e32 v[22:23], 2, v[22:23]
	v_add_nc_u64_e32 v[2:3], v[2:3], v[0:1]
	v_add_nc_u64_e32 v[26:27], v[26:27], v[0:1]
	v_lshl_add_u64 v[8:9], v[8:9], 2, s[10:11]
	v_add_nc_u64_e32 v[4:5], v[4:5], v[0:1]
	v_lshl_add_u64 v[6:7], v[6:7], 2, s[24:25]
	v_add_nc_u64_e32 v[28:29], v[28:29], v[0:1]
	v_add_nc_u64_e32 v[24:25], s[4:5], v[22:23]
	;; [unrolled: 1-line block ×6, first 2 shown]
	s_clause 0x3
	global_load_b64 v[46:47], v[2:3], off
	global_load_b64 v[48:49], v[4:5], off
	global_load_b64 v[50:51], v[8:9], off
	global_load_b64 v[52:53], v[6:7], off
	s_wait_xcnt 0x3
	v_lshl_add_u64 v[2:3], v[30:31], 2, s[10:11]
	s_wait_xcnt 0x2
	v_lshl_add_u64 v[4:5], v[32:33], 2, s[24:25]
	s_clause 0x1
	global_load_b64 v[6:7], v[26:27], off
	global_load_b64 v[8:9], v[28:29], off
	s_wait_xcnt 0x1
	v_lshl_add_u64 v[26:27], v[34:35], 2, s[4:5]
	s_wait_xcnt 0x0
	v_lshl_add_u64 v[28:29], v[36:37], 2, s[40:41]
	v_lshl_add_u64 v[30:31], v[38:39], 2, s[10:11]
	;; [unrolled: 1-line block ×3, first 2 shown]
	v_add_nc_u64_e32 v[22:23], s[24:25], v[22:23]
	v_add_nc_u64_e32 v[2:3], v[2:3], v[0:1]
	;; [unrolled: 1-line block ×11, first 2 shown]
	s_clause 0x9
	global_load_b64 v[2:3], v[2:3], off
	global_load_b64 v[4:5], v[4:5], off
	;; [unrolled: 1-line block ×10, first 2 shown]
	s_wait_xcnt 0x0
	v_lshl_add_u32 v1, v124, 2, 0x4400
	v_lshlrev_b32_e32 v0, 11, v10
	s_cmp_eq_u64 s[14:15], 0
	s_delay_alu instid0(VALU_DEP_2)
	v_lshl_add_u32 v11, v11, 7, v1
	v_lshl_add_u32 v12, v12, 7, v1
	;; [unrolled: 1-line block ×11, first 2 shown]
	s_wait_loadcnt 0xf
	v_fma_mixlo_f16 v25, s38, v46, 0
	v_fma_mixlo_f16 v34, s38, v47, 0
	s_wait_loadcnt 0xe
	v_fma_mixlo_f16 v35, s38, v48, 0
	v_fma_mixlo_f16 v36, s38, v49, 0
	;; [unrolled: 3-line block ×5, first 2 shown]
	v_dual_add_nc_u32 v10, v1, v0 :: v_dual_lshlrev_b32 v34, 16, v34
	s_wait_loadcnt 0xa
	v_fma_mixlo_f16 v8, s38, v8, 0
	v_fma_mixlo_f16 v9, s38, v9, 0
	v_and_b32_e32 v25, 0xffff, v25
	v_dual_lshlrev_b32 v36, 16, v36 :: v_dual_lshlrev_b32 v46, 16, v46
	v_and_b32_e32 v35, 0xffff, v35
	v_dual_lshlrev_b32 v44, 16, v44 :: v_dual_lshlrev_b32 v7, 16, v7
	v_and_b32_e32 v37, 0xffff, v37
	v_and_b32_e32 v45, 0xffff, v45
	s_wait_loadcnt 0x9
	v_fma_mixlo_f16 v2, s38, v2, 0
	v_fma_mixlo_f16 v3, s38, v3, 0
	s_wait_loadcnt 0x8
	v_fma_mixlo_f16 v4, s38, v4, 0
	v_fma_mixlo_f16 v5, s38, v5, 0
	;; [unrolled: 3-line block ×10, first 2 shown]
	v_and_b32_e32 v6, 0xffff, v6
	v_dual_lshlrev_b32 v9, 16, v9 :: v_dual_lshlrev_b32 v3, 16, v3
	v_and_b32_e32 v8, 0xffff, v8
	v_and_b32_e32 v2, 0xffff, v2
	v_dual_lshlrev_b32 v5, 16, v5 :: v_dual_lshlrev_b32 v27, 16, v27
	v_and_b32_e32 v4, 0xffff, v4
	;; [unrolled: 3-line block ×5, first 2 shown]
	v_and_b32_e32 v40, 0xffff, v40
	v_dual_lshlrev_b32 v43, 16, v43 :: v_dual_bitop2_b32 v25, v34, v25 bitop3:0x54
	v_and_b32_e32 v42, 0xffff, v42
	v_or_b32_e32 v34, v36, v35
	v_or_b32_e32 v35, v44, v37
	;; [unrolled: 1-line block ×4, first 2 shown]
	v_lshl_add_u32 v1, v56, 7, v1
	v_or_b32_e32 v7, v9, v8
	v_or_b32_e32 v2, v3, v2
	;; [unrolled: 1-line block ×11, first 2 shown]
	ds_store_b32 v11, v25
	ds_store_b32 v12, v34
	;; [unrolled: 1-line block ×12, first 2 shown]
	ds_store_2addr_b32 v10, v22, v23 offset1:32
	ds_store_2addr_b32 v10, v26, v27 offset0:64 offset1:96
	s_wait_dscnt 0x0
	s_barrier_signal -1
	s_barrier_wait -1
	s_cbranch_scc1 .LBB17_4
; %bb.3:
	s_load_b32 s4, s[0:1], 0xd0
	s_wait_kmcnt 0x0
	s_mul_i32 s4, s4, s28
	s_delay_alu instid0(SALU_CYCLE_1)
	s_add_co_i32 s4, s4, s31
	s_load_b32 s30, s[14:15], s4 offset:0x0 scale_offset
.LBB17_4:
	s_wait_xcnt 0x0
	s_bfe_u32 s4, ttmp6, 0x40010
	s_and_b32 s5, ttmp7, 0xffff
	s_add_co_i32 s4, s4, 1
	s_bfe_u32 s10, ttmp6, 0x40004
	s_mul_i32 s4, s5, s4
	v_mbcnt_lo_u32_b32 v138, -1, 0
	s_add_co_i32 s10, s10, s4
	s_cmp_eq_u32 s36, 0
	s_cselect_b32 s31, s5, s10
	s_mov_b32 s5, 0
	s_lshl_b32 s4, s31, 6
	s_wait_kmcnt 0x0
	s_cmp_lt_i32 s4, s30
	s_cbranch_scc1 .LBB17_7
; %bb.5:
	v_mbcnt_lo_u32_b32 v18, -1, 0
	s_delay_alu instid0(VALU_DEP_1)
	v_dual_mov_b32 v51, 32 :: v_dual_bitop2_b32 v139, 16, v18 bitop3:0x14
	v_xor_b32_e32 v137, 8, v18
	v_xor_b32_e32 v135, 4, v18
	;; [unrolled: 1-line block ×4, first 2 shown]
	s_and_not1_b32 vcc_lo, exec_lo, s5
	s_cbranch_vccz .LBB17_8
; %bb.6:
	v_dual_mov_b32 v0, 0xfeffffff :: v_dual_mov_b32 v73, 0
	v_dual_mov_b32 v171, 0 :: v_dual_mov_b32 v170, 0
	;; [unrolled: 1-line block ×3, first 2 shown]
	s_delay_alu instid0(VALU_DEP_3)
	v_dual_mov_b32 v1, v0 :: v_dual_mov_b32 v2, v0
	v_dual_mov_b32 v3, v0 :: v_dual_mov_b32 v4, v0
	;; [unrolled: 1-line block ×21, first 2 shown]
	s_branch .LBB17_11
.LBB17_7:
                                        ; implicit-def: $vgpr18
                                        ; implicit-def: $vgpr51
                                        ; implicit-def: $vgpr139
                                        ; implicit-def: $vgpr137
                                        ; implicit-def: $vgpr135
                                        ; implicit-def: $vgpr136
                                        ; implicit-def: $vgpr134
.LBB17_8:
	v_dual_mov_b32 v89, 0 :: v_dual_add_nc_u32 v88, 1, v177
	s_mov_b32 s14, s20
	s_mov_b32 s15, s37
	s_clause 0x17
	scratch_store_b32 off, v181, off offset:112
	scratch_store_b32 off, v180, off offset:108
	;; [unrolled: 1-line block ×24, first 2 shown]
	s_wait_xcnt 0x3
	v_dual_mov_b32 v160, v89 :: v_dual_add_nc_u32 v143, 0x2400, v0
	v_mul_u64_e32 v[2:3], s[14:15], v[88:89]
	s_mul_f32 s20, s29, 0x4f7ffffe
	s_ashr_i32 s46, s27, 31
	s_clause 0x2
	s_load_b64 s[40:41], s[0:1], 0x8c
	s_load_b128 s[24:27], s[0:1], 0x98
	s_load_b64 s[44:45], s[0:1], 0xa8
	s_ashr_i32 s5, s39, 1
	s_cvt_u32_f32 s20, s20
	v_mul_lo_u32 v16, v16, s5
	s_sub_co_i32 s38, 0, s3
	s_ashr_i32 s42, s2, 31
	s_mul_i32 s38, s38, s20
	s_abs_i32 s36, s2
	s_mov_b32 s43, s37
	s_xor_b32 s46, s42, s46
	s_ashr_i32 s29, s28, 31
	v_dual_mov_b32 v158, v89 :: v_dual_add_nc_u32 v141, 0x4400, v0
	v_mul_u32_u24_e32 v142, 0x90, v124
	s_clause 0x1
	scratch_store_b32 off, v16, off
	scratch_store_b32 off, v175, off offset:88
	v_mov_b32_e32 v0, 0xfeffffff
	v_dual_mov_b32 v159, v89 :: v_dual_bitop2_b32 v134, 1, v138 bitop3:0x14
	s_wait_kmcnt 0x0
	s_mul_u64 s[24:25], s[24:25], s[28:29]
	v_mov_b32_e32 v2, 0xfeffffff
	s_add_nc_u64 s[6:7], s[6:7], s[24:25]
	v_dual_mov_b32 v4, 0xfeffffff :: v_dual_mov_b32 v5, 0xfeffffff
	v_dual_mov_b32 v6, 0xfeffffff :: v_dual_mov_b32 v7, 0xfeffffff
	;; [unrolled: 1-line block ×3, first 2 shown]
	v_dual_lshrrev_b32 v17, 3, v124 :: v_dual_add_nc_u32 v1, v88, v3
	v_xor_b32_e32 v137, 8, v138
	v_dual_mov_b32 v3, 0xfeffffff :: v_dual_lshlrev_b32 v140, 2, v124
	s_delay_alu instid0(VALU_DEP_3) | instskip(SKIP_2) | instid1(VALU_DEP_3)
	v_dual_add_nc_u32 v17, v17, v175 :: v_dual_lshrrev_b32 v1, s21, v1
	v_dual_mov_b32 v10, 0xfeffffff :: v_dual_mov_b32 v11, 0xfeffffff
	s_wait_xcnt 0x1
	v_dual_mov_b32 v161, v89 :: v_dual_bitop2_b32 v16, 28, v140 bitop3:0x40
	s_delay_alu instid0(VALU_DEP_3)
	v_mul_lo_u32 v1, v1, s22
	v_dual_mov_b32 v75, v89 :: v_dual_lshlrev_b32 v20, 4, v124
	v_dual_mov_b32 v12, 0xfeffffff :: v_dual_mov_b32 v13, 0xfeffffff
	v_dual_mov_b32 v14, 0xfeffffff :: v_dual_mov_b32 v15, 0xfeffffff
	v_dual_mov_b32 v163, v89 :: v_dual_add_nc_u32 v146, 0x400, v140
	v_xor_b32_e32 v139, 16, v138
	v_dual_mov_b32 v162, v89 :: v_dual_add_nc_u32 v147, 0x800, v140
	v_sub_nc_u32_e32 v21, v88, v1
	v_dual_add_nc_u32 v88, 2, v177 :: v_dual_bitop2_b32 v135, 4, v138 bitop3:0x14
	v_add_nc_u32_e32 v145, v143, v20
	v_mov_b32_e32 v1, 0xfeffffff
	v_dual_mov_b32 v165, v89 :: v_dual_add_nc_u32 v148, 0xc00, v140
	s_delay_alu instid0(VALU_DEP_4)
	v_mul_u64_e32 v[18:19], s[14:15], v[88:89]
	v_xor_b32_e32 v136, 2, v138
	v_dual_mov_b32 v164, v89 :: v_dual_add_nc_u32 v149, 0x1000, v140
	v_dual_mov_b32 v87, v89 :: v_dual_add_nc_u32 v150, 0x1400, v140
	;; [unrolled: 1-line block ×4, first 2 shown]
	v_dual_mov_b32 v84, v89 :: v_dual_mov_b32 v82, v89
	v_dual_mov_b32 v83, v89 :: v_dual_mov_b32 v80, v89
	;; [unrolled: 1-line block ×7, first 2 shown]
	v_mov_b32_e32 v173, v89
	s_add_nc_u64 s[10:11], s[0:1], 0xd0
	v_dual_mov_b32 v86, v89 :: v_dual_mov_b32 v78, v89
	v_dual_mov_b32 v167, v89 :: v_dual_mov_b32 v168, v89
	v_add_nc_u32_e32 v18, v88, v19
	s_delay_alu instid0(VALU_DEP_1) | instskip(NEXT) | instid1(VALU_DEP_1)
	v_lshrrev_b32_e32 v18, s21, v18
	v_mul_lo_u32 v18, v18, s22
	s_delay_alu instid0(VALU_DEP_1) | instskip(SKIP_1) | instid1(VALU_DEP_1)
	v_dual_mov_b32 v77, v89 :: v_dual_sub_nc_u32 v20, v88, v18
	v_add_nc_u32_e32 v88, 3, v177
	v_mul_u64_e32 v[18:19], s[14:15], v[88:89]
	s_mul_hi_u32 s14, s20, s38
	v_lshlrev_b32_e32 v18, 2, v16
	s_add_co_i32 s42, s20, s14
	s_mul_u64 s[38:39], s[44:45], s[28:29]
	s_mul_u64 s[14:15], s[36:37], s[42:43]
	s_add_nc_u64 s[8:9], s[8:9], s[38:39]
	s_mul_i32 s14, s15, s3
	s_add_co_i32 s20, s15, 1
	s_sub_co_i32 s37, s36, s14
	s_ashr_i32 s36, s40, 2
	s_ashr_i32 s14, s26, 2
	v_mul_lo_u32 v90, s36, v17
	s_sub_co_i32 s26, s37, s3
	s_cmp_ge_u32 s37, s3
	v_mad_u32_u24 v153, 0x90, v17, v18
	s_cselect_b32 s15, s20, s15
	s_cselect_b32 s20, s26, s37
	v_lshl_or_b32 v154, v17, 7, v18
	s_add_co_i32 s24, s15, 1
	v_mul_lo_u32 v92, s14, v17
	s_cmp_ge_u32 s20, s3
	v_mul_lo_u32 v18, v21, s5
	s_cselect_b32 s3, s24, s15
	s_lshl_b32 s25, s36, 4
	v_ashrrev_i32_e32 v91, 31, v90
	s_lshl_b32 s26, s14, 4
	scratch_store_b32 off, v177, off offset:96 ; 4-byte Folded Spill
	s_xor_b32 s3, s3, s46
	s_ashr_i32 s37, s36, 31
	s_sub_co_i32 s3, s3, s46
	v_dual_ashrrev_i32 v93, 31, v92 :: v_dual_add_nc_u32 v96, s26, v92
	v_dual_add_nc_u32 v17, v88, v19 :: v_dual_add_nc_u32 v94, s25, v90
	scratch_store_b32 off, v18, off offset:4 ; 4-byte Folded Spill
	s_wait_xcnt 0x0
	v_mul_lo_u32 v18, v20, s5
	v_dual_add_nc_u32 v100, s26, v96 :: v_dual_lshrrev_b32 v17, s21, v17
	v_add_nc_u32_e32 v98, s25, v94
	s_mul_i32 s20, s3, s41
	s_mul_i32 s24, s3, s27
	s_delay_alu instid0(VALU_DEP_2) | instskip(SKIP_4) | instid1(VALU_DEP_3)
	v_add_nc_u32_e32 v104, s26, v100
	v_mul_lo_u32 v17, v17, s22
	v_add_nc_u32_e32 v102, s25, v98
	v_dual_ashrrev_i32 v95, 31, v94 :: v_dual_ashrrev_i32 v97, 31, v96
	v_dual_ashrrev_i32 v99, 31, v98 :: v_dual_ashrrev_i32 v101, 31, v100
	v_dual_ashrrev_i32 v103, 31, v102 :: v_dual_ashrrev_i32 v105, 31, v104
	s_ashr_i32 s21, s20, 31
	s_ashr_i32 s25, s24, 31
	;; [unrolled: 1-line block ×3, first 2 shown]
	v_dual_sub_nc_u32 v17, v88, v17 :: v_dual_lshlrev_b32 v88, 2, v16
	s_add_nc_u64 s[6:7], s[6:7], s[20:21]
	s_add_nc_u64 s[8:9], s[8:9], s[24:25]
	scratch_store_b32 off, v18, off offset:8 ; 4-byte Folded Spill
	v_mul_lo_u32 v157, v17, s5
.LBB17_9:                               ; =>This Inner Loop Header: Depth=1
	s_ashr_i32 s5, s4, 31
	v_dual_mov_b32 v188, v1 :: v_dual_mov_b32 v189, v0
	s_mul_u64 s[20:21], s[4:5], s[36:37]
	v_dual_mov_b32 v186, v3 :: v_dual_mov_b32 v187, v2
	s_lshl_b64 s[20:21], s[20:21], 2
	v_dual_mov_b32 v184, v5 :: v_dual_mov_b32 v185, v4
	s_add_nc_u64 s[20:21], s[6:7], s[20:21]
	v_dual_mov_b32 v109, 0 :: v_dual_add_nc_u32 v4, 0x900, v153
	v_lshl_add_u64 v[0:1], v[90:91], 2, s[20:21]
	v_dual_mov_b32 v174, v15 :: v_dual_mov_b32 v175, v14
	v_dual_mov_b32 v176, v13 :: v_dual_mov_b32 v177, v12
	s_delay_alu instid0(VALU_DEP_3)
	v_add_nc_u64_e32 v[0:1], v[0:1], v[88:89]
	v_dual_mov_b32 v178, v11 :: v_dual_mov_b32 v179, v10
	v_dual_mov_b32 v180, v9 :: v_dual_mov_b32 v181, v8
	;; [unrolled: 1-line block ×3, first 2 shown]
	global_load_b128 v[0:3], v[0:1], off
	v_dual_mov_b32 v122, 0 :: v_dual_mov_b32 v126, 0
	v_dual_mov_b32 v114, 0 :: v_dual_mov_b32 v117, 0
	;; [unrolled: 1-line block ×14, first 2 shown]
	v_mov_b32_e32 v125, 0
	v_cmp_gt_i32_e32 vcc_lo, 32, v139
	v_dual_mov_b32 v115, 0 :: v_dual_mov_b32 v111, 0
	s_wait_loadcnt 0x0
	ds_store_b128 v153, v[0:3]
	s_wait_xcnt 0x0
	v_lshl_add_u64 v[0:1], v[94:95], 2, s[20:21]
	s_delay_alu instid0(VALU_DEP_1)
	v_add_nc_u64_e32 v[0:1], v[0:1], v[88:89]
	global_load_b128 v[0:3], v[0:1], off
	s_wait_loadcnt 0x0
	ds_store_b128 v4, v[0:3]
	s_wait_xcnt 0x0
	v_lshl_add_u64 v[0:1], v[98:99], 2, s[20:21]
	v_add_nc_u32_e32 v4, 0x1200, v153
	s_delay_alu instid0(VALU_DEP_2)
	v_add_nc_u64_e32 v[0:1], v[0:1], v[88:89]
	global_load_b128 v[0:3], v[0:1], off
	s_wait_loadcnt 0x0
	ds_store_b128 v4, v[0:3]
	s_wait_xcnt 0x0
	v_lshl_add_u64 v[0:1], v[102:103], 2, s[20:21]
	v_add_nc_u32_e32 v4, 0x1b00, v153
	s_mul_u64 s[20:21], s[4:5], s[14:15]
	s_delay_alu instid0(SALU_CYCLE_1) | instskip(NEXT) | instid1(VALU_DEP_2)
	s_lshl_b64 s[20:21], s[20:21], 2
	v_add_nc_u64_e32 v[0:1], v[0:1], v[88:89]
	s_add_nc_u64 s[20:21], s[8:9], s[20:21]
	global_load_b128 v[0:3], v[0:1], off
	s_wait_loadcnt 0x0
	ds_store_b128 v4, v[0:3]
	s_wait_storecnt_dscnt 0x0
	s_barrier_signal -1
	s_barrier_wait -1
	ds_load_b128 v[68:71], v142
	s_wait_xcnt 0x0
	ds_load_b128 v[0:3], v142 offset:4608
	ds_load_b128 v[64:67], v141
	ds_load_b128 v[60:63], v141 offset:128
	ds_load_b128 v[56:59], v141 offset:256
	;; [unrolled: 1-line block ×15, first 2 shown]
	s_wait_dscnt 0xf
	;;#ASMSTART
	v_dot2_f32_f16 v122, v68, v64, v122
	;;#ASMEND
	;;#ASMSTART
	v_dot2_f32_f16 v122, v69, v65, v122
	;;#ASMEND
	;;#ASMSTART
	v_dot2_f32_f16 v122, v70, v66, v122
	;;#ASMEND
	;;#ASMSTART
	v_dot2_f32_f16 v122, v71, v67, v122
	;;#ASMEND
	s_wait_dscnt 0xe
	;;#ASMSTART
	v_dot2_f32_f16 v126, v68, v60, v126
	;;#ASMEND
	;;#ASMSTART
	v_dot2_f32_f16 v126, v69, v61, v126
	;;#ASMEND
	;;#ASMSTART
	v_dot2_f32_f16 v126, v70, v62, v126
	;;#ASMEND
	;;#ASMSTART
	v_dot2_f32_f16 v126, v71, v63, v126
	;;#ASMEND
	;; [unrolled: 13-line block ×16, first 2 shown]
	;;#ASMSTART
	v_dot2_f32_f16 v128, v0, v64, v128
	;;#ASMEND
	;;#ASMSTART
	v_dot2_f32_f16 v128, v1, v65, v128
	;;#ASMEND
	;; [unrolled: 3-line block ×64, first 2 shown]
	ds_load_b128 v[64:67], v142 offset:16
	ds_load_b128 v[0:3], v142 offset:4624
	;; [unrolled: 1-line block ×18, first 2 shown]
	s_wait_dscnt 0xf
	;;#ASMSTART
	v_dot2_f32_f16 v122, v64, v68, v122
	;;#ASMEND
	;;#ASMSTART
	v_dot2_f32_f16 v122, v65, v69, v122
	;;#ASMEND
	;;#ASMSTART
	v_dot2_f32_f16 v122, v66, v70, v122
	;;#ASMEND
	;;#ASMSTART
	v_dot2_f32_f16 v122, v67, v71, v122
	;;#ASMEND
	s_wait_dscnt 0xe
	;;#ASMSTART
	v_dot2_f32_f16 v126, v64, v60, v126
	;;#ASMEND
	;;#ASMSTART
	v_dot2_f32_f16 v126, v65, v61, v126
	;;#ASMEND
	;;#ASMSTART
	v_dot2_f32_f16 v126, v66, v62, v126
	;;#ASMEND
	;;#ASMSTART
	v_dot2_f32_f16 v126, v67, v63, v126
	;;#ASMEND
	;; [unrolled: 13-line block ×16, first 2 shown]
	;;#ASMSTART
	v_dot2_f32_f16 v128, v0, v68, v128
	;;#ASMEND
	;;#ASMSTART
	v_dot2_f32_f16 v128, v1, v69, v128
	;;#ASMEND
	;; [unrolled: 3-line block ×64, first 2 shown]
	ds_load_b128 v[64:67], v142 offset:32
	ds_load_b128 v[0:3], v142 offset:4640
	;; [unrolled: 1-line block ×18, first 2 shown]
	s_wait_dscnt 0xf
	;;#ASMSTART
	v_dot2_f32_f16 v122, v64, v68, v122
	;;#ASMEND
	;;#ASMSTART
	v_dot2_f32_f16 v122, v65, v69, v122
	;;#ASMEND
	;;#ASMSTART
	v_dot2_f32_f16 v122, v66, v70, v122
	;;#ASMEND
	;;#ASMSTART
	v_dot2_f32_f16 v122, v67, v71, v122
	;;#ASMEND
	s_wait_dscnt 0xe
	;;#ASMSTART
	v_dot2_f32_f16 v126, v64, v60, v126
	;;#ASMEND
	;;#ASMSTART
	v_dot2_f32_f16 v126, v65, v61, v126
	;;#ASMEND
	;;#ASMSTART
	v_dot2_f32_f16 v126, v66, v62, v126
	;;#ASMEND
	;;#ASMSTART
	v_dot2_f32_f16 v126, v67, v63, v126
	;;#ASMEND
	;; [unrolled: 13-line block ×16, first 2 shown]
	;;#ASMSTART
	v_dot2_f32_f16 v128, v0, v68, v128
	;;#ASMEND
	;;#ASMSTART
	v_dot2_f32_f16 v128, v1, v69, v128
	;;#ASMEND
	;; [unrolled: 3-line block ×64, first 2 shown]
	ds_load_b128 v[64:67], v142 offset:48
	ds_load_b128 v[0:3], v142 offset:4656
	;; [unrolled: 1-line block ×18, first 2 shown]
	s_wait_dscnt 0xf
	;;#ASMSTART
	v_dot2_f32_f16 v122, v64, v68, v122
	;;#ASMEND
	;;#ASMSTART
	v_dot2_f32_f16 v122, v65, v69, v122
	;;#ASMEND
	;;#ASMSTART
	v_dot2_f32_f16 v122, v66, v70, v122
	;;#ASMEND
	;;#ASMSTART
	v_dot2_f32_f16 v122, v67, v71, v122
	;;#ASMEND
	s_wait_dscnt 0xe
	;;#ASMSTART
	v_dot2_f32_f16 v126, v64, v60, v126
	;;#ASMEND
	;;#ASMSTART
	v_dot2_f32_f16 v126, v65, v61, v126
	;;#ASMEND
	;;#ASMSTART
	v_dot2_f32_f16 v126, v66, v62, v126
	;;#ASMEND
	;;#ASMSTART
	v_dot2_f32_f16 v126, v67, v63, v126
	;;#ASMEND
	;; [unrolled: 13-line block ×16, first 2 shown]
	;;#ASMSTART
	v_dot2_f32_f16 v128, v0, v68, v128
	;;#ASMEND
	;;#ASMSTART
	v_dot2_f32_f16 v128, v1, v69, v128
	;;#ASMEND
	;; [unrolled: 3-line block ×64, first 2 shown]
	ds_load_b128 v[64:67], v142 offset:64
	ds_load_b128 v[0:3], v142 offset:4672
	;; [unrolled: 1-line block ×18, first 2 shown]
	s_wait_dscnt 0xf
	;;#ASMSTART
	v_dot2_f32_f16 v122, v64, v68, v122
	;;#ASMEND
	;;#ASMSTART
	v_dot2_f32_f16 v122, v65, v69, v122
	;;#ASMEND
	;;#ASMSTART
	v_dot2_f32_f16 v122, v66, v70, v122
	;;#ASMEND
	;;#ASMSTART
	v_dot2_f32_f16 v122, v67, v71, v122
	;;#ASMEND
	s_wait_dscnt 0xe
	;;#ASMSTART
	v_dot2_f32_f16 v126, v64, v60, v126
	;;#ASMEND
	;;#ASMSTART
	v_dot2_f32_f16 v126, v65, v61, v126
	;;#ASMEND
	;;#ASMSTART
	v_dot2_f32_f16 v126, v66, v62, v126
	;;#ASMEND
	;;#ASMSTART
	v_dot2_f32_f16 v126, v67, v63, v126
	;;#ASMEND
	;; [unrolled: 13-line block ×16, first 2 shown]
	;;#ASMSTART
	v_dot2_f32_f16 v128, v0, v68, v128
	;;#ASMEND
	;;#ASMSTART
	v_dot2_f32_f16 v128, v1, v69, v128
	;;#ASMEND
	;;#ASMSTART
	v_dot2_f32_f16 v128, v2, v70, v128
	;;#ASMEND
	;;#ASMSTART
	v_dot2_f32_f16 v128, v3, v71, v128
	;;#ASMEND
	;;#ASMSTART
	v_dot2_f32_f16 v144, v0, v60, v144
	;;#ASMEND
	;;#ASMSTART
	v_dot2_f32_f16 v144, v1, v61, v144
	;;#ASMEND
	;;#ASMSTART
	v_dot2_f32_f16 v144, v2, v62, v144
	;;#ASMEND
	;;#ASMSTART
	v_dot2_f32_f16 v144, v3, v63, v144
	;;#ASMEND
	;;#ASMSTART
	v_dot2_f32_f16 v155, v0, v56, v155
	;;#ASMEND
	;;#ASMSTART
	v_dot2_f32_f16 v155, v1, v57, v155
	;;#ASMEND
	;;#ASMSTART
	v_dot2_f32_f16 v155, v2, v58, v155
	;;#ASMEND
	;;#ASMSTART
	v_dot2_f32_f16 v155, v3, v59, v155
	;;#ASMEND
	;;#ASMSTART
	v_dot2_f32_f16 v156, v0, v52, v156
	;;#ASMEND
	;;#ASMSTART
	v_dot2_f32_f16 v156, v1, v53, v156
	;;#ASMEND
	;;#ASMSTART
	v_dot2_f32_f16 v156, v2, v54, v156
	;;#ASMEND
	;;#ASMSTART
	v_dot2_f32_f16 v156, v3, v55, v156
	;;#ASMEND
	;;#ASMSTART
	v_dot2_f32_f16 v130, v0, v48, v130
	;;#ASMEND
	;;#ASMSTART
	v_dot2_f32_f16 v130, v1, v49, v130
	;;#ASMEND
	;;#ASMSTART
	v_dot2_f32_f16 v130, v2, v50, v130
	;;#ASMEND
	;;#ASMSTART
	v_dot2_f32_f16 v130, v3, v51, v130
	;;#ASMEND
	;;#ASMSTART
	v_dot2_f32_f16 v131, v0, v44, v131
	;;#ASMEND
	;;#ASMSTART
	v_dot2_f32_f16 v131, v1, v45, v131
	;;#ASMEND
	;;#ASMSTART
	v_dot2_f32_f16 v131, v2, v46, v131
	;;#ASMEND
	;;#ASMSTART
	v_dot2_f32_f16 v131, v3, v47, v131
	;;#ASMEND
	;;#ASMSTART
	v_dot2_f32_f16 v132, v0, v40, v132
	;;#ASMEND
	;;#ASMSTART
	v_dot2_f32_f16 v132, v1, v41, v132
	;;#ASMEND
	;;#ASMSTART
	v_dot2_f32_f16 v132, v2, v42, v132
	;;#ASMEND
	;;#ASMSTART
	v_dot2_f32_f16 v132, v3, v43, v132
	;;#ASMEND
	;;#ASMSTART
	v_dot2_f32_f16 v133, v0, v36, v133
	;;#ASMEND
	;;#ASMSTART
	v_dot2_f32_f16 v133, v1, v37, v133
	;;#ASMEND
	;;#ASMSTART
	v_dot2_f32_f16 v133, v2, v38, v133
	;;#ASMEND
	;;#ASMSTART
	v_dot2_f32_f16 v133, v3, v39, v133
	;;#ASMEND
	;;#ASMSTART
	v_dot2_f32_f16 v121, v0, v32, v121
	;;#ASMEND
	;;#ASMSTART
	v_dot2_f32_f16 v121, v1, v33, v121
	;;#ASMEND
	;;#ASMSTART
	v_dot2_f32_f16 v121, v2, v34, v121
	;;#ASMEND
	;;#ASMSTART
	v_dot2_f32_f16 v121, v3, v35, v121
	;;#ASMEND
	;;#ASMSTART
	v_dot2_f32_f16 v123, v0, v28, v123
	;;#ASMEND
	;;#ASMSTART
	v_dot2_f32_f16 v123, v1, v29, v123
	;;#ASMEND
	;;#ASMSTART
	v_dot2_f32_f16 v123, v2, v30, v123
	;;#ASMEND
	;;#ASMSTART
	v_dot2_f32_f16 v123, v3, v31, v123
	;;#ASMEND
	;;#ASMSTART
	v_dot2_f32_f16 v127, v0, v24, v127
	;;#ASMEND
	;;#ASMSTART
	v_dot2_f32_f16 v127, v1, v25, v127
	;;#ASMEND
	;;#ASMSTART
	v_dot2_f32_f16 v127, v2, v26, v127
	;;#ASMEND
	;;#ASMSTART
	v_dot2_f32_f16 v127, v3, v27, v127
	;;#ASMEND
	;;#ASMSTART
	v_dot2_f32_f16 v129, v0, v20, v129
	;;#ASMEND
	;;#ASMSTART
	v_dot2_f32_f16 v129, v1, v21, v129
	;;#ASMEND
	;;#ASMSTART
	v_dot2_f32_f16 v129, v2, v22, v129
	;;#ASMEND
	;;#ASMSTART
	v_dot2_f32_f16 v129, v3, v23, v129
	;;#ASMEND
	;;#ASMSTART
	v_dot2_f32_f16 v120, v0, v16, v120
	;;#ASMEND
	;;#ASMSTART
	v_dot2_f32_f16 v120, v1, v17, v120
	;;#ASMEND
	;;#ASMSTART
	v_dot2_f32_f16 v120, v2, v18, v120
	;;#ASMEND
	;;#ASMSTART
	v_dot2_f32_f16 v120, v3, v19, v120
	;;#ASMEND
	;;#ASMSTART
	v_dot2_f32_f16 v118, v0, v12, v118
	;;#ASMEND
	;;#ASMSTART
	v_dot2_f32_f16 v118, v1, v13, v118
	;;#ASMEND
	;;#ASMSTART
	v_dot2_f32_f16 v118, v2, v14, v118
	;;#ASMEND
	;;#ASMSTART
	v_dot2_f32_f16 v118, v3, v15, v118
	;;#ASMEND
	;;#ASMSTART
	v_dot2_f32_f16 v112, v0, v8, v112
	;;#ASMEND
	;;#ASMSTART
	v_dot2_f32_f16 v112, v1, v9, v112
	;;#ASMEND
	;;#ASMSTART
	v_dot2_f32_f16 v112, v2, v10, v112
	;;#ASMEND
	;;#ASMSTART
	v_dot2_f32_f16 v112, v3, v11, v112
	;;#ASMEND
	;;#ASMSTART
	v_dot2_f32_f16 v125, v0, v4, v125
	;;#ASMEND
	;;#ASMSTART
	v_dot2_f32_f16 v125, v1, v5, v125
	;;#ASMEND
	;;#ASMSTART
	v_dot2_f32_f16 v125, v2, v6, v125
	;;#ASMEND
	;;#ASMSTART
	v_dot2_f32_f16 v125, v3, v7, v125
	;;#ASMEND
	ds_load_b128 v[64:67], v142 offset:80
	ds_load_b128 v[0:3], v142 offset:4688
	;; [unrolled: 1-line block ×18, first 2 shown]
	s_wait_dscnt 0xf
	;;#ASMSTART
	v_dot2_f32_f16 v122, v64, v68, v122
	;;#ASMEND
	;;#ASMSTART
	v_dot2_f32_f16 v122, v65, v69, v122
	;;#ASMEND
	;;#ASMSTART
	v_dot2_f32_f16 v122, v66, v70, v122
	;;#ASMEND
	;;#ASMSTART
	v_dot2_f32_f16 v122, v67, v71, v122
	;;#ASMEND
	s_wait_dscnt 0xe
	;;#ASMSTART
	v_dot2_f32_f16 v126, v64, v60, v126
	;;#ASMEND
	;;#ASMSTART
	v_dot2_f32_f16 v126, v65, v61, v126
	;;#ASMEND
	;;#ASMSTART
	v_dot2_f32_f16 v126, v66, v62, v126
	;;#ASMEND
	;;#ASMSTART
	v_dot2_f32_f16 v126, v67, v63, v126
	;;#ASMEND
	s_wait_dscnt 0xd
	;;#ASMSTART
	v_dot2_f32_f16 v109, v64, v56, v109
	;;#ASMEND
	;;#ASMSTART
	v_dot2_f32_f16 v109, v65, v57, v109
	;;#ASMEND
	;;#ASMSTART
	v_dot2_f32_f16 v109, v66, v58, v109
	;;#ASMEND
	;;#ASMSTART
	v_dot2_f32_f16 v109, v67, v59, v109
	;;#ASMEND
	s_wait_dscnt 0xc
	;;#ASMSTART
	v_dot2_f32_f16 v115, v64, v52, v115
	;;#ASMEND
	;;#ASMSTART
	v_dot2_f32_f16 v115, v65, v53, v115
	;;#ASMEND
	;;#ASMSTART
	v_dot2_f32_f16 v115, v66, v54, v115
	;;#ASMEND
	;;#ASMSTART
	v_dot2_f32_f16 v115, v67, v55, v115
	;;#ASMEND
	s_wait_dscnt 0xb
	;;#ASMSTART
	v_dot2_f32_f16 v111, v64, v48, v111
	;;#ASMEND
	;;#ASMSTART
	v_dot2_f32_f16 v111, v65, v49, v111
	;;#ASMEND
	;;#ASMSTART
	v_dot2_f32_f16 v111, v66, v50, v111
	;;#ASMEND
	;;#ASMSTART
	v_dot2_f32_f16 v111, v67, v51, v111
	;;#ASMEND
	s_wait_dscnt 0xa
	;;#ASMSTART
	v_dot2_f32_f16 v114, v64, v44, v114
	;;#ASMEND
	;;#ASMSTART
	v_dot2_f32_f16 v114, v65, v45, v114
	;;#ASMEND
	;;#ASMSTART
	v_dot2_f32_f16 v114, v66, v46, v114
	;;#ASMEND
	;;#ASMSTART
	v_dot2_f32_f16 v114, v67, v47, v114
	;;#ASMEND
	s_wait_dscnt 0x9
	;;#ASMSTART
	v_dot2_f32_f16 v117, v64, v40, v117
	;;#ASMEND
	;;#ASMSTART
	v_dot2_f32_f16 v117, v65, v41, v117
	;;#ASMEND
	;;#ASMSTART
	v_dot2_f32_f16 v117, v66, v42, v117
	;;#ASMEND
	;;#ASMSTART
	v_dot2_f32_f16 v117, v67, v43, v117
	;;#ASMEND
	s_wait_dscnt 0x8
	;;#ASMSTART
	v_dot2_f32_f16 v119, v64, v36, v119
	;;#ASMEND
	;;#ASMSTART
	v_dot2_f32_f16 v119, v65, v37, v119
	;;#ASMEND
	;;#ASMSTART
	v_dot2_f32_f16 v119, v66, v38, v119
	;;#ASMEND
	;;#ASMSTART
	v_dot2_f32_f16 v119, v67, v39, v119
	;;#ASMEND
	s_wait_dscnt 0x7
	;;#ASMSTART
	v_dot2_f32_f16 v110, v64, v32, v110
	;;#ASMEND
	;;#ASMSTART
	v_dot2_f32_f16 v110, v65, v33, v110
	;;#ASMEND
	;;#ASMSTART
	v_dot2_f32_f16 v110, v66, v34, v110
	;;#ASMEND
	;;#ASMSTART
	v_dot2_f32_f16 v110, v67, v35, v110
	;;#ASMEND
	s_wait_dscnt 0x6
	;;#ASMSTART
	v_dot2_f32_f16 v108, v64, v28, v108
	;;#ASMEND
	;;#ASMSTART
	v_dot2_f32_f16 v108, v65, v29, v108
	;;#ASMEND
	;;#ASMSTART
	v_dot2_f32_f16 v108, v66, v30, v108
	;;#ASMEND
	;;#ASMSTART
	v_dot2_f32_f16 v108, v67, v31, v108
	;;#ASMEND
	s_wait_dscnt 0x5
	;;#ASMSTART
	v_dot2_f32_f16 v113, v64, v24, v113
	;;#ASMEND
	;;#ASMSTART
	v_dot2_f32_f16 v113, v65, v25, v113
	;;#ASMEND
	;;#ASMSTART
	v_dot2_f32_f16 v113, v66, v26, v113
	;;#ASMEND
	;;#ASMSTART
	v_dot2_f32_f16 v113, v67, v27, v113
	;;#ASMEND
	s_wait_dscnt 0x4
	;;#ASMSTART
	v_dot2_f32_f16 v116, v64, v20, v116
	;;#ASMEND
	;;#ASMSTART
	v_dot2_f32_f16 v116, v65, v21, v116
	;;#ASMEND
	;;#ASMSTART
	v_dot2_f32_f16 v116, v66, v22, v116
	;;#ASMEND
	;;#ASMSTART
	v_dot2_f32_f16 v116, v67, v23, v116
	;;#ASMEND
	s_wait_dscnt 0x3
	;;#ASMSTART
	v_dot2_f32_f16 v191, v64, v16, v191
	;;#ASMEND
	;;#ASMSTART
	v_dot2_f32_f16 v191, v65, v17, v191
	;;#ASMEND
	;;#ASMSTART
	v_dot2_f32_f16 v191, v66, v18, v191
	;;#ASMEND
	;;#ASMSTART
	v_dot2_f32_f16 v191, v67, v19, v191
	;;#ASMEND
	s_wait_dscnt 0x2
	;;#ASMSTART
	v_dot2_f32_f16 v107, v64, v12, v107
	;;#ASMEND
	;;#ASMSTART
	v_dot2_f32_f16 v107, v65, v13, v107
	;;#ASMEND
	;;#ASMSTART
	v_dot2_f32_f16 v107, v66, v14, v107
	;;#ASMEND
	;;#ASMSTART
	v_dot2_f32_f16 v107, v67, v15, v107
	;;#ASMEND
	s_wait_dscnt 0x1
	;;#ASMSTART
	v_dot2_f32_f16 v106, v64, v8, v106
	;;#ASMEND
	;;#ASMSTART
	v_dot2_f32_f16 v106, v65, v9, v106
	;;#ASMEND
	;;#ASMSTART
	v_dot2_f32_f16 v106, v66, v10, v106
	;;#ASMEND
	;;#ASMSTART
	v_dot2_f32_f16 v106, v67, v11, v106
	;;#ASMEND
	s_wait_dscnt 0x0
	;;#ASMSTART
	v_dot2_f32_f16 v190, v64, v4, v190
	;;#ASMEND
	;;#ASMSTART
	v_dot2_f32_f16 v190, v65, v5, v190
	;;#ASMEND
	;;#ASMSTART
	v_dot2_f32_f16 v190, v66, v6, v190
	;;#ASMEND
	;;#ASMSTART
	v_dot2_f32_f16 v190, v67, v7, v190
	;;#ASMEND
	;;#ASMSTART
	v_dot2_f32_f16 v128, v0, v68, v128
	;;#ASMEND
	;;#ASMSTART
	v_dot2_f32_f16 v128, v1, v69, v128
	;;#ASMEND
	;; [unrolled: 3-line block ×64, first 2 shown]
	ds_load_b128 v[64:67], v142 offset:96
	ds_load_b128 v[0:3], v142 offset:4704
	;; [unrolled: 1-line block ×18, first 2 shown]
	s_wait_dscnt 0xf
	;;#ASMSTART
	v_dot2_f32_f16 v122, v64, v68, v122
	;;#ASMEND
	;;#ASMSTART
	v_dot2_f32_f16 v122, v65, v69, v122
	;;#ASMEND
	;;#ASMSTART
	v_dot2_f32_f16 v122, v66, v70, v122
	;;#ASMEND
	;;#ASMSTART
	v_dot2_f32_f16 v122, v67, v71, v122
	;;#ASMEND
	s_wait_dscnt 0xe
	;;#ASMSTART
	v_dot2_f32_f16 v126, v64, v60, v126
	;;#ASMEND
	;;#ASMSTART
	v_dot2_f32_f16 v126, v65, v61, v126
	;;#ASMEND
	;;#ASMSTART
	v_dot2_f32_f16 v126, v66, v62, v126
	;;#ASMEND
	;;#ASMSTART
	v_dot2_f32_f16 v126, v67, v63, v126
	;;#ASMEND
	;; [unrolled: 13-line block ×16, first 2 shown]
	;;#ASMSTART
	v_dot2_f32_f16 v128, v0, v68, v128
	;;#ASMEND
	;;#ASMSTART
	v_dot2_f32_f16 v128, v1, v69, v128
	;;#ASMEND
	;; [unrolled: 3-line block ×64, first 2 shown]
	ds_load_b128 v[4:7], v142 offset:112
	ds_load_b128 v[0:3], v142 offset:4720
	;; [unrolled: 1-line block ×18, first 2 shown]
	s_wait_dscnt 0xf
	;;#ASMSTART
	v_dot2_f32_f16 v122, v4, v8, v122
	;;#ASMEND
	;;#ASMSTART
	v_dot2_f32_f16 v122, v5, v9, v122
	;;#ASMEND
	;;#ASMSTART
	v_dot2_f32_f16 v122, v6, v10, v122
	;;#ASMEND
	;;#ASMSTART
	v_dot2_f32_f16 v122, v7, v11, v122
	;;#ASMEND
	s_wait_dscnt 0xe
	;;#ASMSTART
	v_dot2_f32_f16 v126, v4, v12, v126
	;;#ASMEND
	;;#ASMSTART
	v_dot2_f32_f16 v126, v5, v13, v126
	;;#ASMEND
	;;#ASMSTART
	v_dot2_f32_f16 v126, v6, v14, v126
	;;#ASMEND
	;;#ASMSTART
	v_dot2_f32_f16 v126, v7, v15, v126
	;;#ASMEND
	;; [unrolled: 13-line block ×16, first 2 shown]
	;;#ASMSTART
	v_dot2_f32_f16 v128, v0, v8, v128
	;;#ASMEND
	;;#ASMSTART
	v_dot2_f32_f16 v128, v1, v9, v128
	;;#ASMEND
	;; [unrolled: 3-line block ×61, first 2 shown]
	v_cndmask_b32_e32 v0, v138, v139, vcc_lo
	v_cmp_gt_i32_e32 vcc_lo, 32, v137
	;;#ASMSTART
	v_dot2_f32_f16 v125, v1, v69, v125
	;;#ASMEND
	;;#ASMSTART
	v_dot2_f32_f16 v125, v2, v70, v125
	;;#ASMEND
	;; [unrolled: 3-line block ×3, first 2 shown]
	v_dual_cndmask_b32 v0, v138, v137 :: v_dual_lshlrev_b32 v27, 2, v0
	v_cmp_gt_i32_e32 vcc_lo, 32, v135
	v_add_nc_u32_e32 v12, s4, v124
	s_delay_alu instid0(VALU_DEP_3) | instskip(SKIP_1) | instid1(VALU_DEP_2)
	v_dual_lshlrev_b32 v26, 2, v0 :: v_dual_cndmask_b32 v0, v138, v135, vcc_lo
	v_cmp_gt_i32_e32 vcc_lo, 32, v136
	v_lshlrev_b32_e32 v21, 2, v0
	v_cndmask_b32_e32 v0, v138, v136, vcc_lo
	v_cmp_gt_i32_e32 vcc_lo, 32, v134
	s_delay_alu instid0(VALU_DEP_2) | instskip(NEXT) | instid1(VALU_DEP_1)
	v_dual_lshlrev_b32 v20, 2, v0 :: v_dual_cndmask_b32 v0, v138, v134, vcc_lo
	v_lshlrev_b32_e32 v15, 2, v0
	scratch_load_b32 v0, off, off           ; 4-byte Folded Reload
	s_wait_loadcnt 0x0
	v_add_nc_u32_e32 v0, v12, v0
	s_clause 0x1
	global_load_u16 v1, v0, s[34:35] scale_offset
	global_load_u16 v0, v0, s[34:35] offset:64 scale_offset
	s_wait_loadcnt 0x1
	v_cvt_f32_f16_e32 v3, v1
	s_wait_loadcnt 0x0
	v_cvt_f32_f16_e32 v4, v0
	s_delay_alu instid0(VALU_DEP_1) | instskip(SKIP_2) | instid1(VALU_DEP_3)
	v_dual_add_f32 v16, v122, v3 :: v_dual_add_f32 v18, v128, v4
	v_dual_add_f32 v17, v126, v3 :: v_dual_add_f32 v19, v144, v4
	v_add_f32_e32 v25, v156, v4
	v_dual_add_f32 v1, 0x40051340, v16 :: v_dual_add_f32 v0, 0x40051340, v18
	v_add_f32_e32 v24, v155, v4
	s_delay_alu instid0(VALU_DEP_4) | instskip(SKIP_1) | instid1(VALU_DEP_4)
	v_add_f32_e32 v2, 0x40051340, v19
	v_dual_add_f32 v22, v109, v3 :: v_dual_add_f32 v23, v115, v3
	v_max3_num_f32 v0, v189, v1, v0
	s_delay_alu instid0(VALU_DEP_4) | instskip(NEXT) | instid1(VALU_DEP_3)
	v_dual_add_f32 v5, 0x40051340, v24 :: v_dual_add_f32 v4, 0x40051340, v25
	v_add_f32_e32 v3, 0x40051340, v23
	ds_bpermute_b32 v1, v27, v0
	v_max3_num_f32 v3, v186, v3, v4
	ds_bpermute_b32 v4, v27, v3
	s_wait_dscnt 0x1
	v_max_num_f32_e32 v1, v1, v1
	s_delay_alu instid0(VALU_DEP_1)
	v_max_num_f32_e32 v0, v0, v1
	s_wait_dscnt 0x0
	v_max_num_f32_e32 v4, v4, v4
	ds_bpermute_b32 v1, v26, v0
	v_max_num_f32_e32 v3, v3, v4
	ds_bpermute_b32 v4, v26, v3
	s_wait_dscnt 0x1
	v_max_num_f32_e32 v1, v1, v1
	s_delay_alu instid0(VALU_DEP_1)
	v_max_num_f32_e32 v0, v0, v1
	s_wait_dscnt 0x0
	v_max_num_f32_e32 v4, v4, v4
	ds_bpermute_b32 v1, v21, v0
	v_max_num_f32_e32 v3, v3, v4
	;; [unrolled: 9-line block ×4, first 2 shown]
	ds_bpermute_b32 v4, v15, v3
	s_wait_dscnt 0x1
	v_max_num_f32_e32 v1, v1, v1
	s_delay_alu instid0(VALU_DEP_1) | instskip(SKIP_2) | instid1(VALU_DEP_2)
	v_max_num_f32_e32 v0, v0, v1
	s_wait_dscnt 0x0
	v_dual_add_f32 v1, 0x40051340, v17 :: v_dual_max_num_f32 v4, v4, v4
	v_sub_f32_e32 v16, v16, v0
	s_delay_alu instid0(VALU_DEP_2) | instskip(SKIP_1) | instid1(VALU_DEP_4)
	v_max3_num_f32 v1, v188, v1, v2
	v_sub_f32_e32 v18, v18, v0
	v_max_num_f32_e32 v3, v3, v4
	scratch_load_b32 v4, off, off offset:4  ; 4-byte Folded Reload
	ds_bpermute_b32 v2, v27, v1
	v_cmp_ngt_f32_e32 vcc_lo, 0xc2ce8ed0, v16
	s_wait_dscnt 0x0
	v_max_num_f32_e32 v2, v2, v2
	s_delay_alu instid0(VALU_DEP_1) | instskip(SKIP_3) | instid1(VALU_DEP_1)
	v_max_num_f32_e32 v1, v1, v2
	ds_bpermute_b32 v2, v26, v1
	s_wait_dscnt 0x0
	v_max_num_f32_e32 v2, v2, v2
	v_max_num_f32_e32 v1, v1, v2
	ds_bpermute_b32 v2, v21, v1
	s_wait_dscnt 0x0
	v_max_num_f32_e32 v2, v2, v2
	s_delay_alu instid0(VALU_DEP_1) | instskip(SKIP_3) | instid1(VALU_DEP_1)
	v_max_num_f32_e32 v1, v1, v2
	ds_bpermute_b32 v2, v20, v1
	s_wait_dscnt 0x0
	v_max_num_f32_e32 v2, v2, v2
	v_max_num_f32_e32 v1, v1, v2
	ds_bpermute_b32 v2, v15, v1
	s_wait_dscnt 0x0
	v_max_num_f32_e32 v2, v2, v2
	s_delay_alu instid0(VALU_DEP_1) | instskip(NEXT) | instid1(VALU_DEP_1)
	v_max_num_f32_e32 v1, v1, v2
	v_dual_add_f32 v2, 0x40051340, v22 :: v_dual_sub_f32 v17, v17, v1
	s_delay_alu instid0(VALU_DEP_1) | instskip(SKIP_4) | instid1(VALU_DEP_1)
	v_max3_num_f32 v2, v187, v2, v5
	v_sub_f32_e32 v19, v19, v1
	ds_bpermute_b32 v5, v27, v2
	s_wait_dscnt 0x0
	v_max_num_f32_e32 v5, v5, v5
	v_max_num_f32_e32 v2, v2, v5
	ds_bpermute_b32 v5, v26, v2
	s_wait_dscnt 0x0
	v_max_num_f32_e32 v5, v5, v5
	s_delay_alu instid0(VALU_DEP_1) | instskip(SKIP_3) | instid1(VALU_DEP_1)
	v_max_num_f32_e32 v2, v2, v5
	ds_bpermute_b32 v5, v21, v2
	s_wait_dscnt 0x0
	v_max_num_f32_e32 v5, v5, v5
	v_max_num_f32_e32 v2, v2, v5
	ds_bpermute_b32 v5, v20, v2
	s_wait_dscnt 0x0
	v_max_num_f32_e32 v5, v5, v5
	s_delay_alu instid0(VALU_DEP_1) | instskip(SKIP_3) | instid1(VALU_DEP_1)
	v_max_num_f32_e32 v2, v2, v5
	ds_bpermute_b32 v5, v15, v2
	s_wait_dscnt 0x0
	v_max_num_f32_e32 v5, v5, v5
	v_max_num_f32_e32 v2, v2, v5
	s_delay_alu instid0(VALU_DEP_1)
	v_dual_sub_f32 v22, v22, v2 :: v_dual_sub_f32 v24, v24, v2
	s_wait_loadcnt 0x0
	v_dual_sub_f32 v23, v23, v3 :: v_dual_add_nc_u32 v4, v12, v4
	v_sub_f32_e32 v25, v25, v3
	s_clause 0x1
	global_load_u16 v5, v4, s[34:35] scale_offset
	global_load_u16 v4, v4, s[34:35] offset:64 scale_offset
	s_wait_loadcnt 0x1
	v_cvt_f32_f16_e32 v7, v5
	s_wait_loadcnt 0x0
	v_cvt_f32_f16_e32 v8, v4
	s_delay_alu instid0(VALU_DEP_1) | instskip(SKIP_1) | instid1(VALU_DEP_2)
	v_dual_add_f32 v28, v111, v7 :: v_dual_add_f32 v30, v130, v8
	v_dual_add_f32 v29, v114, v7 :: v_dual_add_f32 v31, v131, v8
	;; [unrolled: 1-line block ×3, first 2 shown]
	s_delay_alu instid0(VALU_DEP_3) | instskip(SKIP_1) | instid1(VALU_DEP_4)
	v_add_f32_e32 v4, 0x40051340, v30
	v_add_f32_e32 v36, v132, v8
	;; [unrolled: 1-line block ×3, first 2 shown]
	v_dual_add_f32 v35, v119, v7 :: v_dual_add_f32 v37, v133, v8
	s_delay_alu instid0(VALU_DEP_4) | instskip(NEXT) | instid1(VALU_DEP_4)
	v_max3_num_f32 v4, v185, v5, v4
	v_add_f32_e32 v9, 0x40051340, v36
	s_delay_alu instid0(VALU_DEP_3)
	v_dual_add_f32 v7, 0x40051340, v35 :: v_dual_add_f32 v8, 0x40051340, v37
	ds_bpermute_b32 v5, v27, v4
	v_max3_num_f32 v7, v182, v7, v8
	ds_bpermute_b32 v8, v27, v7
	s_wait_dscnt 0x1
	v_max_num_f32_e32 v5, v5, v5
	s_delay_alu instid0(VALU_DEP_1)
	v_max_num_f32_e32 v4, v4, v5
	s_wait_dscnt 0x0
	v_max_num_f32_e32 v8, v8, v8
	ds_bpermute_b32 v5, v26, v4
	v_max_num_f32_e32 v7, v7, v8
	ds_bpermute_b32 v8, v26, v7
	s_wait_dscnt 0x1
	v_max_num_f32_e32 v5, v5, v5
	s_delay_alu instid0(VALU_DEP_1)
	v_max_num_f32_e32 v4, v4, v5
	s_wait_dscnt 0x0
	v_max_num_f32_e32 v8, v8, v8
	ds_bpermute_b32 v5, v21, v4
	v_max_num_f32_e32 v7, v7, v8
	ds_bpermute_b32 v8, v21, v7
	s_wait_dscnt 0x1
	v_max_num_f32_e32 v5, v5, v5
	s_delay_alu instid0(VALU_DEP_1)
	v_max_num_f32_e32 v4, v4, v5
	s_wait_dscnt 0x0
	v_max_num_f32_e32 v8, v8, v8
	ds_bpermute_b32 v5, v20, v4
	v_max_num_f32_e32 v7, v7, v8
	ds_bpermute_b32 v8, v20, v7
	s_wait_dscnt 0x1
	v_max_num_f32_e32 v5, v5, v5
	s_delay_alu instid0(VALU_DEP_1)
	v_max_num_f32_e32 v4, v4, v5
	s_wait_dscnt 0x0
	v_max_num_f32_e32 v8, v8, v8
	ds_bpermute_b32 v5, v15, v4
	v_max_num_f32_e32 v7, v7, v8
	ds_bpermute_b32 v8, v15, v7
	s_wait_dscnt 0x1
	v_max_num_f32_e32 v5, v5, v5
	s_delay_alu instid0(VALU_DEP_1) | instskip(SKIP_2) | instid1(VALU_DEP_2)
	v_max_num_f32_e32 v4, v4, v5
	s_wait_dscnt 0x0
	v_dual_add_f32 v5, 0x40051340, v29 :: v_dual_max_num_f32 v8, v8, v8
	v_sub_f32_e32 v30, v30, v4
	s_delay_alu instid0(VALU_DEP_2) | instskip(SKIP_1) | instid1(VALU_DEP_4)
	v_max3_num_f32 v5, v184, v5, v6
	v_sub_f32_e32 v28, v28, v4
	v_max_num_f32_e32 v7, v7, v8
	scratch_load_b32 v8, off, off offset:8  ; 4-byte Folded Reload
	ds_bpermute_b32 v6, v27, v5
	s_wait_dscnt 0x0
	v_max_num_f32_e32 v6, v6, v6
	s_delay_alu instid0(VALU_DEP_1) | instskip(SKIP_3) | instid1(VALU_DEP_1)
	v_max_num_f32_e32 v5, v5, v6
	ds_bpermute_b32 v6, v26, v5
	s_wait_dscnt 0x0
	v_max_num_f32_e32 v6, v6, v6
	v_max_num_f32_e32 v5, v5, v6
	ds_bpermute_b32 v6, v21, v5
	s_wait_dscnt 0x0
	v_max_num_f32_e32 v6, v6, v6
	s_delay_alu instid0(VALU_DEP_1) | instskip(SKIP_3) | instid1(VALU_DEP_1)
	v_max_num_f32_e32 v5, v5, v6
	ds_bpermute_b32 v6, v20, v5
	s_wait_dscnt 0x0
	v_max_num_f32_e32 v6, v6, v6
	v_max_num_f32_e32 v5, v5, v6
	ds_bpermute_b32 v6, v15, v5
	s_wait_dscnt 0x0
	v_max_num_f32_e32 v6, v6, v6
	s_delay_alu instid0(VALU_DEP_1) | instskip(NEXT) | instid1(VALU_DEP_1)
	v_max_num_f32_e32 v5, v5, v6
	v_dual_add_f32 v6, 0x40051340, v34 :: v_dual_sub_f32 v29, v29, v5
	v_sub_f32_e32 v31, v31, v5
	s_delay_alu instid0(VALU_DEP_2) | instskip(SKIP_3) | instid1(VALU_DEP_1)
	v_max3_num_f32 v6, v183, v6, v9
	ds_bpermute_b32 v9, v27, v6
	s_wait_dscnt 0x0
	v_max_num_f32_e32 v9, v9, v9
	v_max_num_f32_e32 v6, v6, v9
	ds_bpermute_b32 v9, v26, v6
	s_wait_dscnt 0x0
	v_max_num_f32_e32 v9, v9, v9
	s_delay_alu instid0(VALU_DEP_1) | instskip(SKIP_3) | instid1(VALU_DEP_1)
	v_max_num_f32_e32 v6, v6, v9
	ds_bpermute_b32 v9, v21, v6
	s_wait_dscnt 0x0
	v_max_num_f32_e32 v9, v9, v9
	v_max_num_f32_e32 v6, v6, v9
	ds_bpermute_b32 v9, v20, v6
	s_wait_dscnt 0x0
	v_max_num_f32_e32 v9, v9, v9
	s_delay_alu instid0(VALU_DEP_1) | instskip(SKIP_3) | instid1(VALU_DEP_1)
	v_max_num_f32_e32 v6, v6, v9
	ds_bpermute_b32 v9, v15, v6
	s_wait_dscnt 0x0
	v_max_num_f32_e32 v9, v9, v9
	v_max_num_f32_e32 v6, v6, v9
	s_delay_alu instid0(VALU_DEP_1)
	v_dual_sub_f32 v34, v34, v6 :: v_dual_sub_f32 v36, v36, v6
	s_wait_loadcnt 0x0
	v_dual_add_nc_u32 v8, v12, v8 :: v_dual_add_nc_u32 v12, v12, v157
	v_dual_sub_f32 v35, v35, v7 :: v_dual_sub_f32 v37, v37, v7
	s_clause 0x1
	global_load_u16 v9, v8, s[34:35] scale_offset
	global_load_u16 v8, v8, s[34:35] offset:64 scale_offset
	s_wait_loadcnt 0x1
	v_cvt_f32_f16_e32 v11, v9
	s_wait_loadcnt 0x0
	v_cvt_f32_f16_e32 v13, v8
	s_delay_alu instid0(VALU_DEP_1) | instskip(SKIP_1) | instid1(VALU_DEP_2)
	v_dual_add_f32 v40, v110, v11 :: v_dual_add_f32 v42, v121, v13
	v_dual_add_f32 v41, v108, v11 :: v_dual_add_f32 v43, v123, v13
	;; [unrolled: 1-line block ×3, first 2 shown]
	s_delay_alu instid0(VALU_DEP_3) | instskip(SKIP_1) | instid1(VALU_DEP_4)
	v_add_f32_e32 v8, 0x40051340, v42
	v_add_f32_e32 v48, v127, v13
	;; [unrolled: 1-line block ×3, first 2 shown]
	v_dual_add_f32 v47, v116, v11 :: v_dual_add_f32 v49, v129, v13
	s_delay_alu instid0(VALU_DEP_4) | instskip(NEXT) | instid1(VALU_DEP_2)
	v_max3_num_f32 v8, v181, v9, v8
	v_dual_add_f32 v14, 0x40051340, v48 :: v_dual_add_f32 v11, 0x40051340, v47
	s_delay_alu instid0(VALU_DEP_3)
	v_add_f32_e32 v13, 0x40051340, v49
	ds_bpermute_b32 v9, v27, v8
	v_max3_num_f32 v11, v178, v11, v13
	ds_bpermute_b32 v13, v27, v11
	s_wait_dscnt 0x1
	v_max_num_f32_e32 v9, v9, v9
	s_delay_alu instid0(VALU_DEP_1)
	v_max_num_f32_e32 v8, v8, v9
	s_wait_dscnt 0x0
	v_max_num_f32_e32 v13, v13, v13
	ds_bpermute_b32 v9, v26, v8
	v_max_num_f32_e32 v11, v11, v13
	ds_bpermute_b32 v13, v26, v11
	s_wait_dscnt 0x1
	v_max_num_f32_e32 v9, v9, v9
	s_delay_alu instid0(VALU_DEP_1)
	v_max_num_f32_e32 v8, v8, v9
	s_wait_dscnt 0x0
	v_max_num_f32_e32 v13, v13, v13
	ds_bpermute_b32 v9, v21, v8
	v_max_num_f32_e32 v11, v11, v13
	;; [unrolled: 9-line block ×4, first 2 shown]
	ds_bpermute_b32 v13, v15, v11
	s_wait_dscnt 0x1
	v_max_num_f32_e32 v9, v9, v9
	s_delay_alu instid0(VALU_DEP_1) | instskip(SKIP_3) | instid1(VALU_DEP_2)
	v_max_num_f32_e32 v8, v8, v9
	v_add_f32_e32 v9, 0x40051340, v41
	s_wait_dscnt 0x0
	v_max_num_f32_e32 v13, v13, v13
	v_max3_num_f32 v9, v180, v9, v10
	s_delay_alu instid0(VALU_DEP_2) | instskip(SKIP_4) | instid1(VALU_DEP_1)
	v_max_num_f32_e32 v11, v11, v13
	global_load_u16 v13, v12, s[34:35] scale_offset
	ds_bpermute_b32 v10, v27, v9
	s_wait_dscnt 0x0
	v_dual_max_num_f32 v10, v10, v10 :: v_dual_sub_f32 v40, v40, v8
	v_dual_sub_f32 v42, v42, v8 :: v_dual_max_num_f32 v9, v9, v10
	ds_bpermute_b32 v10, v26, v9
	s_wait_dscnt 0x0
	v_max_num_f32_e32 v10, v10, v10
	s_delay_alu instid0(VALU_DEP_1) | instskip(SKIP_3) | instid1(VALU_DEP_1)
	v_max_num_f32_e32 v9, v9, v10
	ds_bpermute_b32 v10, v21, v9
	s_wait_dscnt 0x0
	v_max_num_f32_e32 v10, v10, v10
	v_max_num_f32_e32 v9, v9, v10
	ds_bpermute_b32 v10, v20, v9
	s_wait_dscnt 0x0
	v_max_num_f32_e32 v10, v10, v10
	s_delay_alu instid0(VALU_DEP_1) | instskip(SKIP_3) | instid1(VALU_DEP_1)
	v_max_num_f32_e32 v9, v9, v10
	ds_bpermute_b32 v10, v15, v9
	s_wait_dscnt 0x0
	v_max_num_f32_e32 v10, v10, v10
	v_max_num_f32_e32 v9, v9, v10
	s_delay_alu instid0(VALU_DEP_1) | instskip(SKIP_1) | instid1(VALU_DEP_2)
	v_dual_add_f32 v10, 0x40051340, v46 :: v_dual_sub_f32 v41, v41, v9
	v_sub_f32_e32 v43, v43, v9
	v_max3_num_f32 v10, v179, v10, v14
	ds_bpermute_b32 v14, v27, v10
	s_wait_dscnt 0x0
	v_max_num_f32_e32 v14, v14, v14
	s_delay_alu instid0(VALU_DEP_1) | instskip(SKIP_3) | instid1(VALU_DEP_1)
	v_max_num_f32_e32 v10, v10, v14
	ds_bpermute_b32 v14, v26, v10
	s_wait_dscnt 0x0
	v_max_num_f32_e32 v14, v14, v14
	v_max_num_f32_e32 v10, v10, v14
	ds_bpermute_b32 v14, v21, v10
	s_wait_dscnt 0x0
	v_max_num_f32_e32 v14, v14, v14
	s_delay_alu instid0(VALU_DEP_1) | instskip(SKIP_3) | instid1(VALU_DEP_1)
	v_max_num_f32_e32 v10, v10, v14
	ds_bpermute_b32 v14, v20, v10
	s_wait_dscnt 0x0
	v_max_num_f32_e32 v14, v14, v14
	v_max_num_f32_e32 v10, v10, v14
	ds_bpermute_b32 v14, v15, v10
	s_wait_dscnt 0x0
	v_max_num_f32_e32 v14, v14, v14
	s_delay_alu instid0(VALU_DEP_1) | instskip(NEXT) | instid1(VALU_DEP_1)
	v_max_num_f32_e32 v10, v10, v14
	v_dual_sub_f32 v46, v46, v10 :: v_dual_sub_f32 v48, v48, v10
	s_wait_loadcnt 0x0
	v_cvt_f32_f16_e32 v32, v13
	s_delay_alu instid0(VALU_DEP_1)
	v_add_f32_e32 v52, v191, v32
	global_load_u16 v12, v12, s[34:35] offset:64 scale_offset
	v_dual_add_f32 v53, v107, v32 :: v_dual_add_f32 v106, v106, v32
	v_add_f32_e32 v191, v190, v32
	s_wait_loadcnt 0x0
	s_barrier_signal -1
	s_barrier_wait -1
	s_delay_alu instid0(VALU_DEP_1) | instskip(SKIP_1) | instid1(VALU_DEP_1)
	v_add_f32_e32 v32, 0x40051340, v191
	v_cvt_f32_f16_e32 v33, v12
	v_dual_add_f32 v13, 0x40051340, v52 :: v_dual_add_f32 v54, v120, v33
	v_dual_add_f32 v55, v118, v33 :: v_dual_add_f32 v107, v112, v33
	v_add_f32_e32 v190, v125, v33
	s_wait_xcnt 0x0
	s_delay_alu instid0(VALU_DEP_3) | instskip(NEXT) | instid1(VALU_DEP_3)
	v_add_f32_e32 v12, 0x40051340, v54
	v_add_f32_e32 v14, 0x40051340, v55
	s_delay_alu instid0(VALU_DEP_3) | instskip(SKIP_1) | instid1(VALU_DEP_4)
	v_dual_add_f32 v38, 0x40051340, v107 :: v_dual_add_f32 v33, 0x40051340, v190
	v_sub_f32_e32 v47, v47, v11
	v_max3_num_f32 v12, v177, v13, v12
	v_sub_f32_e32 v49, v49, v11
	s_delay_alu instid0(VALU_DEP_4) | instskip(SKIP_3) | instid1(VALU_DEP_1)
	v_max3_num_f32 v32, v174, v32, v33
	ds_bpermute_b32 v13, v27, v12
	s_wait_dscnt 0x0
	v_max_num_f32_e32 v13, v13, v13
	v_max_num_f32_e32 v12, v12, v13
	ds_bpermute_b32 v13, v26, v12
	s_wait_dscnt 0x0
	v_max_num_f32_e32 v13, v13, v13
	s_delay_alu instid0(VALU_DEP_1) | instskip(SKIP_3) | instid1(VALU_DEP_1)
	v_max_num_f32_e32 v12, v12, v13
	ds_bpermute_b32 v13, v21, v12
	s_wait_dscnt 0x0
	v_max_num_f32_e32 v13, v13, v13
	v_max_num_f32_e32 v12, v12, v13
	ds_bpermute_b32 v13, v20, v12
	s_wait_dscnt 0x0
	v_max_num_f32_e32 v13, v13, v13
	s_delay_alu instid0(VALU_DEP_1) | instskip(SKIP_3) | instid1(VALU_DEP_1)
	v_max_num_f32_e32 v12, v12, v13
	ds_bpermute_b32 v13, v15, v12
	s_wait_dscnt 0x0
	v_max_num_f32_e32 v13, v13, v13
	v_max_num_f32_e32 v12, v12, v13
	v_add_f32_e32 v13, 0x40051340, v53
	s_delay_alu instid0(VALU_DEP_1) | instskip(SKIP_3) | instid1(VALU_DEP_1)
	v_max3_num_f32 v13, v176, v13, v14
	ds_bpermute_b32 v14, v27, v13
	s_wait_dscnt 0x0
	v_dual_max_num_f32 v14, v14, v14 :: v_dual_sub_f32 v52, v52, v12
	v_dual_sub_f32 v54, v54, v12 :: v_dual_max_num_f32 v13, v13, v14
	ds_bpermute_b32 v14, v26, v13
	s_wait_dscnt 0x0
	v_max_num_f32_e32 v14, v14, v14
	s_delay_alu instid0(VALU_DEP_1) | instskip(SKIP_3) | instid1(VALU_DEP_1)
	v_max_num_f32_e32 v13, v13, v14
	ds_bpermute_b32 v14, v21, v13
	s_wait_dscnt 0x0
	v_max_num_f32_e32 v14, v14, v14
	v_max_num_f32_e32 v13, v13, v14
	ds_bpermute_b32 v14, v20, v13
	s_wait_dscnt 0x0
	v_max_num_f32_e32 v14, v14, v14
	s_delay_alu instid0(VALU_DEP_1) | instskip(SKIP_3) | instid1(VALU_DEP_1)
	v_max_num_f32_e32 v13, v13, v14
	ds_bpermute_b32 v14, v15, v13
	s_wait_dscnt 0x0
	v_max_num_f32_e32 v14, v14, v14
	v_max_num_f32_e32 v13, v13, v14
	s_delay_alu instid0(VALU_DEP_1) | instskip(SKIP_1) | instid1(VALU_DEP_2)
	v_dual_add_f32 v14, 0x40051340, v106 :: v_dual_sub_f32 v53, v53, v13
	v_sub_f32_e32 v55, v55, v13
	v_max3_num_f32 v14, v175, v14, v38
	ds_bpermute_b32 v38, v27, v14
	ds_bpermute_b32 v27, v27, v32
	s_wait_dscnt 0x0
	v_dual_max_num_f32 v38, v38, v38 :: v_dual_max_num_f32 v27, v27, v27
	s_delay_alu instid0(VALU_DEP_1)
	v_dual_max_num_f32 v14, v14, v38 :: v_dual_max_num_f32 v27, v32, v27
	ds_bpermute_b32 v38, v26, v14
	ds_bpermute_b32 v26, v26, v27
	s_wait_dscnt 0x1
	v_max_num_f32_e32 v38, v38, v38
	s_wait_dscnt 0x0
	v_max_num_f32_e32 v26, v26, v26
	s_delay_alu instid0(VALU_DEP_2) | instskip(NEXT) | instid1(VALU_DEP_2)
	v_max_num_f32_e32 v14, v14, v38
	v_max_num_f32_e32 v26, v27, v26
	ds_bpermute_b32 v38, v21, v14
	ds_bpermute_b32 v21, v21, v26
	s_wait_dscnt 0x0
	v_max_num_f32_e32 v21, v21, v21
	s_delay_alu instid0(VALU_DEP_1) | instskip(SKIP_1) | instid1(VALU_DEP_1)
	v_max_num_f32_e32 v21, v26, v21
	v_max_num_f32_e32 v38, v38, v38
	;; [unrolled: 1-line block ×3, first 2 shown]
	ds_bpermute_b32 v38, v20, v14
	ds_bpermute_b32 v20, v20, v21
	s_wait_dscnt 0x0
	v_max_num_f32_e32 v20, v20, v20
	s_delay_alu instid0(VALU_DEP_1) | instskip(NEXT) | instid1(VALU_DEP_1)
	v_dual_max_num_f32 v20, v21, v20 :: v_dual_max_num_f32 v38, v38, v38
	v_dual_sub_f32 v21, v189, v0 :: v_dual_max_num_f32 v14, v14, v38
	ds_bpermute_b32 v38, v15, v14
	ds_bpermute_b32 v15, v15, v20
	s_wait_dscnt 0x0
	v_dual_max_num_f32 v38, v38, v38 :: v_dual_max_num_f32 v15, v15, v15
	s_delay_alu instid0(VALU_DEP_1) | instskip(NEXT) | instid1(VALU_DEP_1)
	v_dual_max_num_f32 v15, v20, v15 :: v_dual_mul_f32 v20, 0x3fb8aa3b, v16
	v_fma_f32 v26, 0x3fb8aa3b, v16, -v20
	v_rndne_f32_e32 v27, v20
	s_delay_alu instid0(VALU_DEP_4) | instskip(NEXT) | instid1(VALU_DEP_3)
	v_max_num_f32_e32 v14, v14, v38
	v_fmac_f32_e32 v26, 0x32a5705f, v16
	s_delay_alu instid0(VALU_DEP_2) | instskip(SKIP_1) | instid1(VALU_DEP_2)
	v_dual_sub_f32 v20, v20, v27 :: v_dual_sub_f32 v107, v107, v14
	v_sub_f32_e32 v106, v106, v14
	v_add_f32_e32 v20, v20, v26
	v_cvt_i32_f32_e32 v26, v27
	s_delay_alu instid0(VALU_DEP_2) | instskip(SKIP_1) | instid1(TRANS32_DEP_1)
	v_exp_f32_e32 v20, v20
	v_nop
	v_ldexp_f32 v20, v20, v26
	s_delay_alu instid0(VALU_DEP_1) | instskip(SKIP_1) | instid1(VALU_DEP_2)
	v_cndmask_b32_e32 v20, 0, v20, vcc_lo
	v_cmp_nlt_f32_e32 vcc_lo, 0x42b17218, v16
	v_cndmask_b32_e32 v16, 0x7f800000, v20, vcc_lo
	v_mul_f32_e32 v20, 0x3fb8aa3b, v18
	v_cmp_ngt_f32_e32 vcc_lo, 0xc2ce8ed0, v18
	s_delay_alu instid0(VALU_DEP_2) | instskip(SKIP_1) | instid1(VALU_DEP_2)
	v_fma_f32 v26, 0x3fb8aa3b, v18, -v20
	v_rndne_f32_e32 v27, v20
	v_fmac_f32_e32 v26, 0x32a5705f, v18
	s_delay_alu instid0(VALU_DEP_2) | instskip(NEXT) | instid1(VALU_DEP_1)
	v_sub_f32_e32 v20, v20, v27
	v_add_f32_e32 v20, v20, v26
	v_cvt_i32_f32_e32 v26, v27
	s_delay_alu instid0(VALU_DEP_2) | instskip(SKIP_1) | instid1(TRANS32_DEP_1)
	v_exp_f32_e32 v20, v20
	v_nop
	v_ldexp_f32 v20, v20, v26
	s_delay_alu instid0(VALU_DEP_1) | instskip(SKIP_2) | instid1(VALU_DEP_3)
	v_cndmask_b32_e32 v20, 0, v20, vcc_lo
	v_cmp_nlt_f32_e32 vcc_lo, 0x42b17218, v18
	v_mul_f32_e32 v18, 0x3fb8aa3b, v21
	v_cndmask_b32_e32 v20, 0x7f800000, v20, vcc_lo
	s_delay_alu instid0(VALU_DEP_2) | instskip(SKIP_2) | instid1(VALU_DEP_3)
	v_fma_f32 v26, 0x3fb8aa3b, v21, -v18
	v_rndne_f32_e32 v27, v18
	v_cmp_ngt_f32_e32 vcc_lo, 0xc2ce8ed0, v21
	v_fmac_f32_e32 v26, 0x32a5705f, v21
	s_delay_alu instid0(VALU_DEP_3) | instskip(NEXT) | instid1(VALU_DEP_1)
	v_sub_f32_e32 v18, v18, v27
	v_add_f32_e32 v18, v18, v26
	v_cvt_i32_f32_e32 v26, v27
	s_delay_alu instid0(VALU_DEP_2) | instskip(SKIP_1) | instid1(TRANS32_DEP_1)
	v_exp_f32_e32 v18, v18
	v_nop
	v_ldexp_f32 v18, v18, v26
	s_delay_alu instid0(VALU_DEP_1) | instskip(SKIP_1) | instid1(VALU_DEP_2)
	v_dual_sub_f32 v26, v188, v1 :: v_dual_cndmask_b32 v18, 0, v18, vcc_lo
	v_cmp_nlt_f32_e32 vcc_lo, 0x42b17218, v21
	v_cndmask_b32_e32 v18, 0x7f800000, v18, vcc_lo
	v_cmp_ngt_f32_e32 vcc_lo, 0xc2ce8ed0, v17
	s_delay_alu instid0(VALU_DEP_2) | instskip(NEXT) | instid1(VALU_DEP_1)
	v_cvt_f16_f32_e32 v21, v18
	v_and_b32_e32 v21, 0xffff, v21
	s_delay_alu instid0(VALU_DEP_1) | instskip(NEXT) | instid1(VALU_DEP_1)
	v_mul_u32_u24_e32 v21, 0x10001, v21
	v_pk_mul_f16 v58, v173, v21
	v_mul_f32_e32 v21, 0x3fb8aa3b, v17
	s_delay_alu instid0(VALU_DEP_1) | instskip(SKIP_1) | instid1(VALU_DEP_2)
	v_fma_f32 v27, 0x3fb8aa3b, v17, -v21
	v_rndne_f32_e32 v32, v21
	v_fmac_f32_e32 v27, 0x32a5705f, v17
	s_delay_alu instid0(VALU_DEP_2) | instskip(NEXT) | instid1(VALU_DEP_1)
	v_sub_f32_e32 v21, v21, v32
	v_add_f32_e32 v21, v21, v27
	v_cvt_i32_f32_e32 v27, v32
	s_delay_alu instid0(VALU_DEP_2) | instskip(SKIP_1) | instid1(TRANS32_DEP_1)
	v_exp_f32_e32 v21, v21
	v_nop
	v_ldexp_f32 v21, v21, v27
	s_delay_alu instid0(VALU_DEP_1) | instskip(SKIP_1) | instid1(VALU_DEP_2)
	v_cndmask_b32_e32 v21, 0, v21, vcc_lo
	v_cmp_nlt_f32_e32 vcc_lo, 0x42b17218, v17
	v_cndmask_b32_e32 v17, 0x7f800000, v21, vcc_lo
	v_mul_f32_e32 v21, 0x3fb8aa3b, v19
	v_cmp_ngt_f32_e32 vcc_lo, 0xc2ce8ed0, v19
	s_delay_alu instid0(VALU_DEP_3) | instskip(NEXT) | instid1(VALU_DEP_3)
	v_cvt_pk_f16_f32 v66, v16, v17
	v_fma_f32 v27, 0x3fb8aa3b, v19, -v21
	v_rndne_f32_e32 v32, v21
	s_delay_alu instid0(VALU_DEP_2) | instskip(NEXT) | instid1(VALU_DEP_2)
	v_fmac_f32_e32 v27, 0x32a5705f, v19
	v_sub_f32_e32 v21, v21, v32
	s_delay_alu instid0(VALU_DEP_1) | instskip(SKIP_1) | instid1(VALU_DEP_2)
	v_add_f32_e32 v21, v21, v27
	v_cvt_i32_f32_e32 v27, v32
	v_exp_f32_e32 v21, v21
	v_nop
	s_delay_alu instid0(TRANS32_DEP_1) | instskip(NEXT) | instid1(VALU_DEP_1)
	v_ldexp_f32 v21, v21, v27
	v_cndmask_b32_e32 v21, 0, v21, vcc_lo
	v_cmp_nlt_f32_e32 vcc_lo, 0x42b17218, v19
	v_mul_f32_e32 v19, 0x3fb8aa3b, v26
	s_delay_alu instid0(VALU_DEP_1) | instskip(SKIP_1) | instid1(VALU_DEP_2)
	v_fma_f32 v27, 0x3fb8aa3b, v26, -v19
	v_rndne_f32_e32 v32, v19
	v_fmac_f32_e32 v27, 0x32a5705f, v26
	s_delay_alu instid0(VALU_DEP_2) | instskip(NEXT) | instid1(VALU_DEP_1)
	v_sub_f32_e32 v19, v19, v32
	v_add_f32_e32 v19, v19, v27
	v_cvt_i32_f32_e32 v27, v32
	v_cndmask_b32_e32 v21, 0x7f800000, v21, vcc_lo
	v_cmp_ngt_f32_e32 vcc_lo, 0xc2ce8ed0, v26
	s_delay_alu instid0(VALU_DEP_4) | instskip(SKIP_1) | instid1(TRANS32_DEP_1)
	v_exp_f32_e32 v19, v19
	v_nop
	v_ldexp_f32 v19, v19, v27
	s_delay_alu instid0(VALU_DEP_1) | instskip(SKIP_1) | instid1(VALU_DEP_2)
	v_dual_sub_f32 v27, v187, v2 :: v_dual_cndmask_b32 v19, 0, v19, vcc_lo
	v_cmp_nlt_f32_e32 vcc_lo, 0x42b17218, v26
	v_cndmask_b32_e32 v19, 0x7f800000, v19, vcc_lo
	v_cmp_ngt_f32_e32 vcc_lo, 0xc2ce8ed0, v22
	s_delay_alu instid0(VALU_DEP_2) | instskip(NEXT) | instid1(VALU_DEP_1)
	v_cvt_f16_f32_e32 v26, v19
	v_and_b32_e32 v26, 0xffff, v26
	s_delay_alu instid0(VALU_DEP_1) | instskip(NEXT) | instid1(VALU_DEP_1)
	v_mul_u32_u24_e32 v26, 0x10001, v26
	v_pk_mul_f16 v59, v172, v26
	v_mul_f32_e32 v26, 0x3fb8aa3b, v22
	s_delay_alu instid0(VALU_DEP_1) | instskip(SKIP_1) | instid1(VALU_DEP_2)
	v_fma_f32 v32, 0x3fb8aa3b, v22, -v26
	v_rndne_f32_e32 v33, v26
	v_fmac_f32_e32 v32, 0x32a5705f, v22
	s_delay_alu instid0(VALU_DEP_2) | instskip(NEXT) | instid1(VALU_DEP_1)
	v_sub_f32_e32 v26, v26, v33
	v_add_f32_e32 v26, v26, v32
	v_cvt_i32_f32_e32 v32, v33
	v_pk_add_f32 v[16:17], v[16:17], v[20:21]
	s_delay_alu instid0(VALU_DEP_3) | instskip(NEXT) | instid1(VALU_DEP_1)
	v_exp_f32_e32 v26, v26
	v_pk_fma_f32 v[86:87], v[86:87], v[18:19], v[16:17]
	s_delay_alu instid0(TRANS32_DEP_1) | instskip(NEXT) | instid1(VALU_DEP_1)
	v_ldexp_f32 v26, v26, v32
	v_cndmask_b32_e32 v26, 0, v26, vcc_lo
	v_cmp_nlt_f32_e32 vcc_lo, 0x42b17218, v22
	s_delay_alu instid0(VALU_DEP_2) | instskip(SKIP_2) | instid1(VALU_DEP_2)
	v_cndmask_b32_e32 v22, 0x7f800000, v26, vcc_lo
	v_mul_f32_e32 v26, 0x3fb8aa3b, v24
	v_cmp_ngt_f32_e32 vcc_lo, 0xc2ce8ed0, v24
	v_fma_f32 v32, 0x3fb8aa3b, v24, -v26
	v_rndne_f32_e32 v33, v26
	s_delay_alu instid0(VALU_DEP_2) | instskip(NEXT) | instid1(VALU_DEP_2)
	v_fmac_f32_e32 v32, 0x32a5705f, v24
	v_sub_f32_e32 v26, v26, v33
	s_delay_alu instid0(VALU_DEP_1) | instskip(SKIP_1) | instid1(VALU_DEP_2)
	v_add_f32_e32 v26, v26, v32
	v_cvt_i32_f32_e32 v32, v33
	v_exp_f32_e32 v26, v26
	v_nop
	s_delay_alu instid0(TRANS32_DEP_1) | instskip(NEXT) | instid1(VALU_DEP_1)
	v_ldexp_f32 v26, v26, v32
	v_cndmask_b32_e32 v26, 0, v26, vcc_lo
	v_cmp_nlt_f32_e32 vcc_lo, 0x42b17218, v24
	v_mul_f32_e32 v24, 0x3fb8aa3b, v27
	s_delay_alu instid0(VALU_DEP_3) | instskip(NEXT) | instid1(VALU_DEP_2)
	v_cndmask_b32_e32 v26, 0x7f800000, v26, vcc_lo
	v_fma_f32 v32, 0x3fb8aa3b, v27, -v24
	v_rndne_f32_e32 v33, v24
	v_cmp_ngt_f32_e32 vcc_lo, 0xc2ce8ed0, v27
	s_delay_alu instid0(VALU_DEP_3) | instskip(NEXT) | instid1(VALU_DEP_3)
	v_fmac_f32_e32 v32, 0x32a5705f, v27
	v_sub_f32_e32 v24, v24, v33
	s_delay_alu instid0(VALU_DEP_1) | instskip(SKIP_1) | instid1(VALU_DEP_2)
	v_add_f32_e32 v24, v24, v32
	v_cvt_i32_f32_e32 v32, v33
	v_exp_f32_e32 v24, v24
	v_nop
	s_delay_alu instid0(TRANS32_DEP_1) | instskip(NEXT) | instid1(VALU_DEP_1)
	v_ldexp_f32 v24, v24, v32
	v_dual_sub_f32 v32, v186, v3 :: v_dual_cndmask_b32 v24, 0, v24, vcc_lo
	v_cmp_nlt_f32_e32 vcc_lo, 0x42b17218, v27
	s_delay_alu instid0(VALU_DEP_2) | instskip(SKIP_1) | instid1(VALU_DEP_2)
	v_cndmask_b32_e32 v24, 0x7f800000, v24, vcc_lo
	v_cmp_ngt_f32_e32 vcc_lo, 0xc2ce8ed0, v23
	v_cvt_f16_f32_e32 v27, v24
	s_delay_alu instid0(VALU_DEP_1) | instskip(NEXT) | instid1(VALU_DEP_1)
	v_and_b32_e32 v27, 0xffff, v27
	v_mul_u32_u24_e32 v27, 0x10001, v27
	s_delay_alu instid0(VALU_DEP_1) | instskip(SKIP_1) | instid1(VALU_DEP_1)
	v_pk_mul_f16 v60, v171, v27
	v_mul_f32_e32 v27, 0x3fb8aa3b, v23
	v_fma_f32 v33, 0x3fb8aa3b, v23, -v27
	v_rndne_f32_e32 v38, v27
	s_delay_alu instid0(VALU_DEP_2) | instskip(NEXT) | instid1(VALU_DEP_2)
	v_fmac_f32_e32 v33, 0x32a5705f, v23
	v_sub_f32_e32 v27, v27, v38
	s_delay_alu instid0(VALU_DEP_1) | instskip(SKIP_1) | instid1(VALU_DEP_2)
	v_add_f32_e32 v27, v27, v33
	v_cvt_i32_f32_e32 v33, v38
	v_exp_f32_e32 v27, v27
	v_nop
	s_delay_alu instid0(TRANS32_DEP_1) | instskip(NEXT) | instid1(VALU_DEP_1)
	v_ldexp_f32 v27, v27, v33
	v_cndmask_b32_e32 v27, 0, v27, vcc_lo
	v_cmp_nlt_f32_e32 vcc_lo, 0x42b17218, v23
	s_delay_alu instid0(VALU_DEP_2) | instskip(SKIP_2) | instid1(VALU_DEP_2)
	v_cndmask_b32_e32 v23, 0x7f800000, v27, vcc_lo
	v_mul_f32_e32 v27, 0x3fb8aa3b, v25
	v_cmp_ngt_f32_e32 vcc_lo, 0xc2ce8ed0, v25
	v_fma_f32 v33, 0x3fb8aa3b, v25, -v27
	v_rndne_f32_e32 v38, v27
	s_delay_alu instid0(VALU_DEP_2) | instskip(NEXT) | instid1(VALU_DEP_2)
	v_fmac_f32_e32 v33, 0x32a5705f, v25
	v_sub_f32_e32 v27, v27, v38
	s_delay_alu instid0(VALU_DEP_1) | instskip(SKIP_1) | instid1(VALU_DEP_2)
	v_add_f32_e32 v27, v27, v33
	v_cvt_i32_f32_e32 v33, v38
	v_exp_f32_e32 v27, v27
	v_nop
	s_delay_alu instid0(TRANS32_DEP_1) | instskip(NEXT) | instid1(VALU_DEP_1)
	v_ldexp_f32 v27, v27, v33
	v_cndmask_b32_e32 v27, 0, v27, vcc_lo
	v_cmp_nlt_f32_e32 vcc_lo, 0x42b17218, v25
	v_mul_f32_e32 v25, 0x3fb8aa3b, v32
	s_delay_alu instid0(VALU_DEP_1) | instskip(SKIP_1) | instid1(VALU_DEP_2)
	v_fma_f32 v33, 0x3fb8aa3b, v32, -v25
	v_rndne_f32_e32 v38, v25
	v_fmac_f32_e32 v33, 0x32a5705f, v32
	s_delay_alu instid0(VALU_DEP_2) | instskip(NEXT) | instid1(VALU_DEP_1)
	v_sub_f32_e32 v25, v25, v38
	v_add_f32_e32 v25, v25, v33
	v_cndmask_b32_e32 v27, 0x7f800000, v27, vcc_lo
	v_cvt_i32_f32_e32 v33, v38
	v_cmp_ngt_f32_e32 vcc_lo, 0xc2ce8ed0, v32
	s_delay_alu instid0(VALU_DEP_4) | instskip(SKIP_1) | instid1(TRANS32_DEP_1)
	v_exp_f32_e32 v25, v25
	v_nop
	v_ldexp_f32 v25, v25, v33
	v_mul_f32_e32 v33, 0x3fb8aa3b, v28
	s_delay_alu instid0(VALU_DEP_1) | instskip(NEXT) | instid1(VALU_DEP_3)
	v_fma_f32 v38, 0x3fb8aa3b, v28, -v33
	v_cndmask_b32_e32 v25, 0, v25, vcc_lo
	v_cmp_nlt_f32_e32 vcc_lo, 0x42b17218, v32
	v_rndne_f32_e32 v39, v33
	s_delay_alu instid0(VALU_DEP_4) | instskip(NEXT) | instid1(VALU_DEP_4)
	v_fmac_f32_e32 v38, 0x32a5705f, v28
	v_cndmask_b32_e32 v25, 0x7f800000, v25, vcc_lo
	v_cmp_ngt_f32_e32 vcc_lo, 0xc2ce8ed0, v28
	s_delay_alu instid0(VALU_DEP_2) | instskip(NEXT) | instid1(VALU_DEP_1)
	v_cvt_f16_f32_e32 v32, v25
	v_and_b32_e32 v32, 0xffff, v32
	s_delay_alu instid0(VALU_DEP_1) | instskip(NEXT) | instid1(VALU_DEP_1)
	v_mul_u32_u24_e32 v32, 0x10001, v32
	v_pk_mul_f16 v61, v170, v32
	v_sub_f32_e32 v32, v185, v4
	v_sub_f32_e32 v33, v33, v39
	v_cvt_pk_f16_f32 v67, v22, v23
	s_delay_alu instid0(VALU_DEP_2) | instskip(SKIP_1) | instid1(VALU_DEP_2)
	v_add_f32_e32 v33, v33, v38
	v_cvt_i32_f32_e32 v38, v39
	v_exp_f32_e32 v33, v33
	v_nop
	s_delay_alu instid0(TRANS32_DEP_1) | instskip(NEXT) | instid1(VALU_DEP_1)
	v_ldexp_f32 v33, v33, v38
	v_cndmask_b32_e32 v33, 0, v33, vcc_lo
	v_cmp_nlt_f32_e32 vcc_lo, 0x42b17218, v28
	s_delay_alu instid0(VALU_DEP_2) | instskip(SKIP_1) | instid1(VALU_DEP_1)
	v_cndmask_b32_e32 v28, 0x7f800000, v33, vcc_lo
	v_mul_f32_e32 v33, 0x3fb8aa3b, v30
	v_fma_f32 v38, 0x3fb8aa3b, v30, -v33
	v_rndne_f32_e32 v39, v33
	s_delay_alu instid0(VALU_DEP_1) | instskip(NEXT) | instid1(VALU_DEP_1)
	v_dual_fmac_f32 v38, 0x32a5705f, v30 :: v_dual_sub_f32 v33, v33, v39
	v_add_f32_e32 v33, v33, v38
	v_cvt_i32_f32_e32 v38, v39
	v_cmp_ngt_f32_e32 vcc_lo, 0xc2ce8ed0, v30
	s_delay_alu instid0(VALU_DEP_3) | instskip(SKIP_1) | instid1(TRANS32_DEP_1)
	v_exp_f32_e32 v33, v33
	v_nop
	v_ldexp_f32 v33, v33, v38
	s_delay_alu instid0(VALU_DEP_1) | instskip(SKIP_1) | instid1(VALU_DEP_2)
	v_cndmask_b32_e32 v33, 0, v33, vcc_lo
	v_cmp_nlt_f32_e32 vcc_lo, 0x42b17218, v30
	v_cndmask_b32_e32 v30, 0x7f800000, v33, vcc_lo
	v_mul_f32_e32 v33, 0x3fb8aa3b, v32
	v_cmp_ngt_f32_e32 vcc_lo, 0xc2ce8ed0, v32
	s_delay_alu instid0(VALU_DEP_2) | instskip(SKIP_1) | instid1(VALU_DEP_1)
	v_fma_f32 v38, 0x3fb8aa3b, v32, -v33
	v_rndne_f32_e32 v39, v33
	v_dual_fmac_f32 v38, 0x32a5705f, v32 :: v_dual_sub_f32 v33, v33, v39
	s_delay_alu instid0(VALU_DEP_1) | instskip(SKIP_1) | instid1(VALU_DEP_2)
	v_add_f32_e32 v33, v33, v38
	v_cvt_i32_f32_e32 v38, v39
	v_exp_f32_e32 v33, v33
	v_nop
	s_delay_alu instid0(TRANS32_DEP_1) | instskip(SKIP_1) | instid1(VALU_DEP_2)
	v_ldexp_f32 v33, v33, v38
	v_mul_f32_e32 v38, 0x3fb8aa3b, v29
	v_cndmask_b32_e32 v33, 0, v33, vcc_lo
	s_delay_alu instid0(VALU_DEP_2) | instskip(SKIP_2) | instid1(VALU_DEP_2)
	v_fma_f32 v39, 0x3fb8aa3b, v29, -v38
	v_rndne_f32_e32 v44, v38
	v_cmp_nlt_f32_e32 vcc_lo, 0x42b17218, v32
	v_dual_fmac_f32 v39, 0x32a5705f, v29 :: v_dual_sub_f32 v38, v38, v44
	v_cndmask_b32_e32 v32, 0x7f800000, v33, vcc_lo
	v_cmp_ngt_f32_e32 vcc_lo, 0xc2ce8ed0, v29
	s_delay_alu instid0(VALU_DEP_3) | instskip(SKIP_1) | instid1(VALU_DEP_4)
	v_add_f32_e32 v38, v38, v39
	v_cvt_i32_f32_e32 v39, v44
	v_cvt_f16_f32_e32 v33, v32
	s_delay_alu instid0(VALU_DEP_3) | instskip(NEXT) | instid1(VALU_DEP_1)
	v_exp_f32_e32 v38, v38
	v_and_b32_e32 v33, 0xffff, v33
	s_delay_alu instid0(TRANS32_DEP_1) | instskip(NEXT) | instid1(VALU_DEP_2)
	v_ldexp_f32 v38, v38, v39
	v_mul_u32_u24_e32 v33, 0x10001, v33
	s_delay_alu instid0(VALU_DEP_2) | instskip(SKIP_1) | instid1(VALU_DEP_3)
	v_cndmask_b32_e32 v38, 0, v38, vcc_lo
	v_cmp_nlt_f32_e32 vcc_lo, 0x42b17218, v29
	v_pk_mul_f16 v62, v169, v33
	v_sub_f32_e32 v33, v184, v5
	s_delay_alu instid0(VALU_DEP_4) | instskip(SKIP_2) | instid1(VALU_DEP_2)
	v_cndmask_b32_e32 v29, 0x7f800000, v38, vcc_lo
	v_mul_f32_e32 v38, 0x3fb8aa3b, v31
	v_cmp_ngt_f32_e32 vcc_lo, 0xc2ce8ed0, v31
	v_fma_f32 v39, 0x3fb8aa3b, v31, -v38
	v_rndne_f32_e32 v44, v38
	s_delay_alu instid0(VALU_DEP_1) | instskip(NEXT) | instid1(VALU_DEP_1)
	v_dual_fmac_f32 v39, 0x32a5705f, v31 :: v_dual_sub_f32 v38, v38, v44
	v_add_f32_e32 v38, v38, v39
	v_cvt_i32_f32_e32 v39, v44
	s_delay_alu instid0(VALU_DEP_2) | instskip(SKIP_1) | instid1(TRANS32_DEP_1)
	v_exp_f32_e32 v38, v38
	v_nop
	v_ldexp_f32 v38, v38, v39
	s_delay_alu instid0(VALU_DEP_1) | instskip(SKIP_1) | instid1(VALU_DEP_2)
	v_cndmask_b32_e32 v38, 0, v38, vcc_lo
	v_cmp_nlt_f32_e32 vcc_lo, 0x42b17218, v31
	v_cndmask_b32_e32 v31, 0x7f800000, v38, vcc_lo
	v_mul_f32_e32 v38, 0x3fb8aa3b, v33
	v_cmp_ngt_f32_e32 vcc_lo, 0xc2ce8ed0, v33
	s_delay_alu instid0(VALU_DEP_2) | instskip(SKIP_1) | instid1(VALU_DEP_1)
	v_fma_f32 v39, 0x3fb8aa3b, v33, -v38
	v_rndne_f32_e32 v44, v38
	v_dual_fmac_f32 v39, 0x32a5705f, v33 :: v_dual_sub_f32 v38, v38, v44
	s_delay_alu instid0(VALU_DEP_1) | instskip(SKIP_1) | instid1(VALU_DEP_2)
	v_add_f32_e32 v38, v38, v39
	v_cvt_i32_f32_e32 v39, v44
	v_exp_f32_e32 v38, v38
	v_nop
	s_delay_alu instid0(TRANS32_DEP_1) | instskip(SKIP_1) | instid1(VALU_DEP_2)
	v_ldexp_f32 v38, v38, v39
	v_mul_f32_e32 v39, 0x3fb8aa3b, v34
	v_cndmask_b32_e32 v38, 0, v38, vcc_lo
	s_delay_alu instid0(VALU_DEP_2) | instskip(SKIP_2) | instid1(VALU_DEP_2)
	v_fma_f32 v44, 0x3fb8aa3b, v34, -v39
	v_rndne_f32_e32 v45, v39
	v_cmp_nlt_f32_e32 vcc_lo, 0x42b17218, v33
	v_dual_fmac_f32 v44, 0x32a5705f, v34 :: v_dual_sub_f32 v39, v39, v45
	v_cndmask_b32_e32 v33, 0x7f800000, v38, vcc_lo
	v_cmp_ngt_f32_e32 vcc_lo, 0xc2ce8ed0, v34
	s_delay_alu instid0(VALU_DEP_3) | instskip(SKIP_1) | instid1(VALU_DEP_4)
	v_add_f32_e32 v39, v39, v44
	v_cvt_i32_f32_e32 v44, v45
	v_cvt_f16_f32_e32 v38, v33
	s_delay_alu instid0(VALU_DEP_3) | instskip(NEXT) | instid1(VALU_DEP_1)
	v_exp_f32_e32 v39, v39
	v_and_b32_e32 v38, 0xffff, v38
	s_delay_alu instid0(TRANS32_DEP_1) | instskip(NEXT) | instid1(VALU_DEP_2)
	v_ldexp_f32 v39, v39, v44
	v_mul_u32_u24_e32 v38, 0x10001, v38
	s_delay_alu instid0(VALU_DEP_2) | instskip(SKIP_1) | instid1(VALU_DEP_3)
	v_cndmask_b32_e32 v39, 0, v39, vcc_lo
	v_cmp_nlt_f32_e32 vcc_lo, 0x42b17218, v34
	v_pk_mul_f16 v63, v168, v38
	v_sub_f32_e32 v38, v183, v6
	s_delay_alu instid0(VALU_DEP_4) | instskip(SKIP_2) | instid1(VALU_DEP_2)
	v_cndmask_b32_e32 v34, 0x7f800000, v39, vcc_lo
	v_mul_f32_e32 v39, 0x3fb8aa3b, v36
	v_cmp_ngt_f32_e32 vcc_lo, 0xc2ce8ed0, v36
	v_fma_f32 v44, 0x3fb8aa3b, v36, -v39
	v_rndne_f32_e32 v45, v39
	s_delay_alu instid0(VALU_DEP_1) | instskip(NEXT) | instid1(VALU_DEP_1)
	v_dual_fmac_f32 v44, 0x32a5705f, v36 :: v_dual_sub_f32 v39, v39, v45
	v_add_f32_e32 v39, v39, v44
	v_cvt_i32_f32_e32 v44, v45
	s_delay_alu instid0(VALU_DEP_2) | instskip(SKIP_1) | instid1(TRANS32_DEP_1)
	v_exp_f32_e32 v39, v39
	v_nop
	v_ldexp_f32 v39, v39, v44
	s_delay_alu instid0(VALU_DEP_1) | instskip(SKIP_1) | instid1(VALU_DEP_2)
	v_cndmask_b32_e32 v39, 0, v39, vcc_lo
	v_cmp_nlt_f32_e32 vcc_lo, 0x42b17218, v36
	v_cndmask_b32_e32 v36, 0x7f800000, v39, vcc_lo
	v_mul_f32_e32 v39, 0x3fb8aa3b, v38
	v_cmp_ngt_f32_e32 vcc_lo, 0xc2ce8ed0, v38
	s_delay_alu instid0(VALU_DEP_2) | instskip(SKIP_1) | instid1(VALU_DEP_1)
	v_fma_f32 v44, 0x3fb8aa3b, v38, -v39
	v_rndne_f32_e32 v45, v39
	v_dual_fmac_f32 v44, 0x32a5705f, v38 :: v_dual_sub_f32 v39, v39, v45
	s_delay_alu instid0(VALU_DEP_1) | instskip(SKIP_1) | instid1(VALU_DEP_2)
	v_add_f32_e32 v39, v39, v44
	v_cvt_i32_f32_e32 v44, v45
	v_exp_f32_e32 v39, v39
	v_nop
	s_delay_alu instid0(TRANS32_DEP_1) | instskip(SKIP_1) | instid1(VALU_DEP_2)
	v_ldexp_f32 v39, v39, v44
	v_mul_f32_e32 v44, 0x3fb8aa3b, v35
	v_cndmask_b32_e32 v39, 0, v39, vcc_lo
	s_delay_alu instid0(VALU_DEP_2) | instskip(SKIP_2) | instid1(VALU_DEP_2)
	v_fma_f32 v45, 0x3fb8aa3b, v35, -v44
	v_rndne_f32_e32 v50, v44
	v_cmp_nlt_f32_e32 vcc_lo, 0x42b17218, v38
	v_dual_fmac_f32 v45, 0x32a5705f, v35 :: v_dual_sub_f32 v44, v44, v50
	v_cndmask_b32_e32 v38, 0x7f800000, v39, vcc_lo
	v_cmp_ngt_f32_e32 vcc_lo, 0xc2ce8ed0, v35
	s_delay_alu instid0(VALU_DEP_3) | instskip(SKIP_1) | instid1(VALU_DEP_4)
	v_add_f32_e32 v44, v44, v45
	v_cvt_i32_f32_e32 v45, v50
	v_cvt_f16_f32_e32 v39, v38
	v_cvt_pk_f16_f32 v68, v28, v29
	s_delay_alu instid0(VALU_DEP_4) | instskip(NEXT) | instid1(VALU_DEP_2)
	v_exp_f32_e32 v44, v44
	v_and_b32_e32 v39, 0xffff, v39
	s_delay_alu instid0(TRANS32_DEP_1) | instskip(NEXT) | instid1(VALU_DEP_2)
	v_ldexp_f32 v44, v44, v45
	v_mul_u32_u24_e32 v39, 0x10001, v39
	s_delay_alu instid0(VALU_DEP_2) | instskip(SKIP_1) | instid1(VALU_DEP_3)
	v_cndmask_b32_e32 v44, 0, v44, vcc_lo
	v_cmp_nlt_f32_e32 vcc_lo, 0x42b17218, v35
	v_pk_mul_f16 v64, v167, v39
	s_delay_alu instid0(VALU_DEP_3) | instskip(SKIP_2) | instid1(VALU_DEP_2)
	v_cndmask_b32_e32 v35, 0x7f800000, v44, vcc_lo
	v_mul_f32_e32 v44, 0x3fb8aa3b, v37
	v_cmp_ngt_f32_e32 vcc_lo, 0xc2ce8ed0, v37
	v_fma_f32 v45, 0x3fb8aa3b, v37, -v44
	v_rndne_f32_e32 v50, v44
	v_sub_f32_e32 v39, v182, v7
	s_delay_alu instid0(VALU_DEP_2) | instskip(NEXT) | instid1(VALU_DEP_1)
	v_dual_fmac_f32 v45, 0x32a5705f, v37 :: v_dual_sub_f32 v44, v44, v50
	v_add_f32_e32 v44, v44, v45
	v_cvt_i32_f32_e32 v45, v50
	s_delay_alu instid0(VALU_DEP_2) | instskip(SKIP_1) | instid1(TRANS32_DEP_1)
	v_exp_f32_e32 v44, v44
	v_nop
	v_ldexp_f32 v44, v44, v45
	s_delay_alu instid0(VALU_DEP_1) | instskip(SKIP_1) | instid1(VALU_DEP_2)
	v_cndmask_b32_e32 v44, 0, v44, vcc_lo
	v_cmp_nlt_f32_e32 vcc_lo, 0x42b17218, v37
	v_cndmask_b32_e32 v37, 0x7f800000, v44, vcc_lo
	v_mul_f32_e32 v44, 0x3fb8aa3b, v39
	v_cmp_ngt_f32_e32 vcc_lo, 0xc2ce8ed0, v39
	s_delay_alu instid0(VALU_DEP_2) | instskip(SKIP_1) | instid1(VALU_DEP_1)
	v_fma_f32 v45, 0x3fb8aa3b, v39, -v44
	v_rndne_f32_e32 v50, v44
	v_dual_fmac_f32 v45, 0x32a5705f, v39 :: v_dual_sub_f32 v44, v44, v50
	s_delay_alu instid0(VALU_DEP_1) | instskip(SKIP_1) | instid1(VALU_DEP_2)
	v_add_f32_e32 v44, v44, v45
	v_cvt_i32_f32_e32 v45, v50
	v_exp_f32_e32 v44, v44
	v_nop
	s_delay_alu instid0(TRANS32_DEP_1) | instskip(SKIP_1) | instid1(VALU_DEP_2)
	v_ldexp_f32 v44, v44, v45
	v_mul_f32_e32 v45, 0x3fb8aa3b, v40
	v_cndmask_b32_e32 v44, 0, v44, vcc_lo
	v_cmp_nlt_f32_e32 vcc_lo, 0x42b17218, v39
	s_delay_alu instid0(VALU_DEP_3) | instskip(SKIP_1) | instid1(VALU_DEP_4)
	v_fma_f32 v50, 0x3fb8aa3b, v40, -v45
	v_rndne_f32_e32 v51, v45
	v_cndmask_b32_e32 v39, 0x7f800000, v44, vcc_lo
	s_delay_alu instid0(VALU_DEP_2) | instskip(SKIP_2) | instid1(VALU_DEP_4)
	v_sub_f32_e32 v45, v45, v51
	v_cmp_ngt_f32_e32 vcc_lo, 0xc2ce8ed0, v40
	v_fmac_f32_e32 v50, 0x32a5705f, v40
	v_cvt_f16_f32_e32 v44, v39
	s_delay_alu instid0(VALU_DEP_2) | instskip(SKIP_1) | instid1(VALU_DEP_3)
	v_add_f32_e32 v45, v45, v50
	v_cvt_i32_f32_e32 v50, v51
	v_and_b32_e32 v44, 0xffff, v44
	s_delay_alu instid0(VALU_DEP_3) | instskip(NEXT) | instid1(VALU_DEP_1)
	v_exp_f32_e32 v45, v45
	v_mul_u32_u24_e32 v44, 0x10001, v44
	s_delay_alu instid0(TRANS32_DEP_1) | instskip(NEXT) | instid1(VALU_DEP_2)
	v_ldexp_f32 v45, v45, v50
	v_pk_mul_f16 v65, v166, v44
	s_delay_alu instid0(VALU_DEP_2) | instskip(SKIP_1) | instid1(VALU_DEP_2)
	v_dual_sub_f32 v44, v181, v8 :: v_dual_cndmask_b32 v45, 0, v45
	v_cmp_nlt_f32_e32 vcc_lo, 0x42b17218, v40
	v_cndmask_b32_e32 v40, 0x7f800000, v45, vcc_lo
	v_mul_f32_e32 v45, 0x3fb8aa3b, v42
	s_delay_alu instid0(VALU_DEP_1) | instskip(SKIP_1) | instid1(VALU_DEP_1)
	v_fma_f32 v50, 0x3fb8aa3b, v42, -v45
	v_rndne_f32_e32 v51, v45
	v_dual_fmac_f32 v50, 0x32a5705f, v42 :: v_dual_sub_f32 v45, v45, v51
	s_delay_alu instid0(VALU_DEP_1) | instskip(SKIP_2) | instid1(VALU_DEP_3)
	v_add_f32_e32 v45, v45, v50
	v_cvt_i32_f32_e32 v50, v51
	v_cmp_ngt_f32_e32 vcc_lo, 0xc2ce8ed0, v42
	v_exp_f32_e32 v45, v45
	v_nop
	s_delay_alu instid0(TRANS32_DEP_1) | instskip(NEXT) | instid1(VALU_DEP_1)
	v_ldexp_f32 v45, v45, v50
	v_cndmask_b32_e32 v45, 0, v45, vcc_lo
	v_cmp_nlt_f32_e32 vcc_lo, 0x42b17218, v42
	s_delay_alu instid0(VALU_DEP_2) | instskip(SKIP_2) | instid1(VALU_DEP_2)
	v_cndmask_b32_e32 v42, 0x7f800000, v45, vcc_lo
	v_mul_f32_e32 v45, 0x3fb8aa3b, v44
	v_cmp_ngt_f32_e32 vcc_lo, 0xc2ce8ed0, v44
	v_fma_f32 v50, 0x3fb8aa3b, v44, -v45
	v_rndne_f32_e32 v51, v45
	s_delay_alu instid0(VALU_DEP_1) | instskip(NEXT) | instid1(VALU_DEP_1)
	v_dual_fmac_f32 v50, 0x32a5705f, v44 :: v_dual_sub_f32 v45, v45, v51
	v_add_f32_e32 v45, v45, v50
	v_cvt_i32_f32_e32 v50, v51
	s_delay_alu instid0(VALU_DEP_2) | instskip(SKIP_1) | instid1(TRANS32_DEP_1)
	v_exp_f32_e32 v45, v45
	v_nop
	v_ldexp_f32 v45, v45, v50
	v_mul_f32_e32 v50, 0x3fb8aa3b, v41
	s_delay_alu instid0(VALU_DEP_2) | instskip(NEXT) | instid1(VALU_DEP_2)
	v_cndmask_b32_e32 v45, 0, v45, vcc_lo
	v_fma_f32 v51, 0x3fb8aa3b, v41, -v50
	v_rndne_f32_e32 v56, v50
	v_cmp_nlt_f32_e32 vcc_lo, 0x42b17218, v44
	s_delay_alu instid0(VALU_DEP_2) | instskip(SKIP_2) | instid1(VALU_DEP_3)
	v_dual_fmac_f32 v51, 0x32a5705f, v41 :: v_dual_sub_f32 v50, v50, v56
	v_cndmask_b32_e32 v44, 0x7f800000, v45, vcc_lo
	v_cmp_ngt_f32_e32 vcc_lo, 0xc2ce8ed0, v41
	v_add_f32_e32 v50, v50, v51
	v_cvt_i32_f32_e32 v51, v56
	s_delay_alu instid0(VALU_DEP_4) | instskip(SKIP_1) | instid1(VALU_DEP_4)
	v_cvt_f16_f32_e32 v45, v44
	v_cvt_pk_f16_f32 v69, v34, v35
	v_exp_f32_e32 v50, v50
	s_delay_alu instid0(VALU_DEP_2)
	v_and_b32_e32 v45, 0xffff, v45
	ds_store_b128 v145, v[66:69]
	v_cvt_pk_f16_f32 v68, v30, v31
	v_cvt_pk_f16_f32 v67, v26, v27
	;; [unrolled: 1-line block ×3, first 2 shown]
	v_ldexp_f32 v50, v50, v51
	v_mul_u32_u24_e32 v45, 0x10001, v45
	v_pk_add_f32 v[20:21], v[22:23], v[26:27]
	v_pk_add_f32 v[22:23], v[28:29], v[30:31]
	s_delay_alu instid0(VALU_DEP_4) | instskip(SKIP_1) | instid1(VALU_DEP_4)
	v_cndmask_b32_e32 v50, 0, v50, vcc_lo
	v_cmp_nlt_f32_e32 vcc_lo, 0x42b17218, v41
	v_pk_fma_f32 v[84:85], v[84:85], v[24:25], v[20:21]
	s_delay_alu instid0(VALU_DEP_4) | instskip(NEXT) | instid1(VALU_DEP_4)
	v_pk_fma_f32 v[82:83], v[82:83], v[32:33], v[22:23]
	v_cndmask_b32_e32 v41, 0x7f800000, v50, vcc_lo
	v_mul_f32_e32 v50, 0x3fb8aa3b, v43
	v_cmp_ngt_f32_e32 vcc_lo, 0xc2ce8ed0, v43
	s_delay_alu instid0(VALU_DEP_2) | instskip(SKIP_1) | instid1(VALU_DEP_1)
	v_fma_f32 v51, 0x3fb8aa3b, v43, -v50
	v_rndne_f32_e32 v56, v50
	v_dual_fmac_f32 v51, 0x32a5705f, v43 :: v_dual_sub_f32 v50, v50, v56
	s_delay_alu instid0(VALU_DEP_1) | instskip(SKIP_3) | instid1(VALU_DEP_4)
	v_add_f32_e32 v50, v50, v51
	v_cvt_i32_f32_e32 v51, v56
	v_cvt_pk_f16_f32 v69, v36, v37
	v_pk_add_f32 v[26:27], v[34:35], v[36:37]
	v_exp_f32_e32 v50, v50
	ds_store_b128 v145, v[66:69] offset:512
	v_pk_mul_f16 v66, v165, v45
	v_ldexp_f32 v50, v50, v51
	s_delay_alu instid0(VALU_DEP_1) | instskip(SKIP_1) | instid1(VALU_DEP_2)
	v_dual_sub_f32 v45, v180, v9 :: v_dual_cndmask_b32 v50, 0, v50
	v_cmp_nlt_f32_e32 vcc_lo, 0x42b17218, v43
	v_cndmask_b32_e32 v43, 0x7f800000, v50, vcc_lo
	s_delay_alu instid0(VALU_DEP_3) | instskip(SKIP_1) | instid1(VALU_DEP_2)
	v_mul_f32_e32 v50, 0x3fb8aa3b, v45
	v_cmp_ngt_f32_e32 vcc_lo, 0xc2ce8ed0, v45
	v_fma_f32 v51, 0x3fb8aa3b, v45, -v50
	v_rndne_f32_e32 v56, v50
	s_delay_alu instid0(VALU_DEP_1) | instskip(NEXT) | instid1(VALU_DEP_1)
	v_dual_fmac_f32 v51, 0x32a5705f, v45 :: v_dual_sub_f32 v50, v50, v56
	v_add_f32_e32 v50, v50, v51
	v_cvt_i32_f32_e32 v51, v56
	v_pk_fma_f32 v[80:81], v[80:81], v[38:39], v[26:27]
	s_delay_alu instid0(VALU_DEP_3) | instskip(SKIP_1) | instid1(TRANS32_DEP_1)
	v_exp_f32_e32 v50, v50
	v_nop
	v_ldexp_f32 v50, v50, v51
	v_mul_f32_e32 v51, 0x3fb8aa3b, v46
	s_delay_alu instid0(VALU_DEP_2) | instskip(NEXT) | instid1(VALU_DEP_2)
	v_cndmask_b32_e32 v50, 0, v50, vcc_lo
	v_fma_f32 v56, 0x3fb8aa3b, v46, -v51
	v_rndne_f32_e32 v57, v51
	v_cmp_nlt_f32_e32 vcc_lo, 0x42b17218, v45
	s_delay_alu instid0(VALU_DEP_2) | instskip(SKIP_2) | instid1(VALU_DEP_3)
	v_dual_sub_f32 v51, v51, v57 :: v_dual_fmac_f32 v56, 0x32a5705f, v46
	v_cndmask_b32_e32 v45, 0x7f800000, v50, vcc_lo
	v_cmp_ngt_f32_e32 vcc_lo, 0xc2ce8ed0, v46
	v_add_f32_e32 v51, v51, v56
	v_cvt_i32_f32_e32 v56, v57
	s_delay_alu instid0(VALU_DEP_4) | instskip(NEXT) | instid1(VALU_DEP_3)
	v_cvt_f16_f32_e32 v50, v45
	v_exp_f32_e32 v51, v51
	s_delay_alu instid0(VALU_DEP_1) | instskip(NEXT) | instid1(TRANS32_DEP_1)
	v_and_b32_e32 v50, 0xffff, v50
	v_ldexp_f32 v51, v51, v56
	s_delay_alu instid0(VALU_DEP_2) | instskip(NEXT) | instid1(VALU_DEP_2)
	v_mul_u32_u24_e32 v50, 0x10001, v50
	v_cndmask_b32_e32 v51, 0, v51, vcc_lo
	v_cmp_nlt_f32_e32 vcc_lo, 0x42b17218, v46
	s_delay_alu instid0(VALU_DEP_3) | instskip(SKIP_1) | instid1(VALU_DEP_4)
	v_pk_mul_f16 v67, v164, v50
	v_sub_f32_e32 v50, v179, v10
	v_cndmask_b32_e32 v46, 0x7f800000, v51, vcc_lo
	v_mul_f32_e32 v51, 0x3fb8aa3b, v48
	v_cmp_ngt_f32_e32 vcc_lo, 0xc2ce8ed0, v48
	s_delay_alu instid0(VALU_DEP_2) | instskip(SKIP_1) | instid1(VALU_DEP_1)
	v_fma_f32 v56, 0x3fb8aa3b, v48, -v51
	v_rndne_f32_e32 v57, v51
	v_dual_fmac_f32 v56, 0x32a5705f, v48 :: v_dual_sub_f32 v51, v51, v57
	s_delay_alu instid0(VALU_DEP_1) | instskip(SKIP_1) | instid1(VALU_DEP_2)
	v_add_f32_e32 v51, v51, v56
	v_cvt_i32_f32_e32 v56, v57
	v_exp_f32_e32 v51, v51
	v_nop
	s_delay_alu instid0(TRANS32_DEP_1) | instskip(NEXT) | instid1(VALU_DEP_1)
	v_ldexp_f32 v51, v51, v56
	v_cndmask_b32_e32 v51, 0, v51, vcc_lo
	v_cmp_nlt_f32_e32 vcc_lo, 0x42b17218, v48
	s_delay_alu instid0(VALU_DEP_2) | instskip(SKIP_2) | instid1(VALU_DEP_2)
	v_cndmask_b32_e32 v48, 0x7f800000, v51, vcc_lo
	v_mul_f32_e32 v51, 0x3fb8aa3b, v50
	v_cmp_ngt_f32_e32 vcc_lo, 0xc2ce8ed0, v50
	v_fma_f32 v56, 0x3fb8aa3b, v50, -v51
	v_rndne_f32_e32 v57, v51
	s_delay_alu instid0(VALU_DEP_1) | instskip(NEXT) | instid1(VALU_DEP_1)
	v_dual_fmac_f32 v56, 0x32a5705f, v50 :: v_dual_sub_f32 v51, v51, v57
	v_add_f32_e32 v51, v51, v56
	v_cvt_i32_f32_e32 v56, v57
	s_delay_alu instid0(VALU_DEP_2) | instskip(SKIP_1) | instid1(TRANS32_DEP_1)
	v_exp_f32_e32 v51, v51
	v_nop
	v_ldexp_f32 v51, v51, v56
	v_mul_f32_e32 v56, 0x3fb8aa3b, v47
	s_delay_alu instid0(VALU_DEP_2) | instskip(NEXT) | instid1(VALU_DEP_2)
	v_cndmask_b32_e32 v51, 0, v51, vcc_lo
	v_fma_f32 v57, 0x3fb8aa3b, v47, -v56
	v_rndne_f32_e32 v69, v56
	v_cmp_nlt_f32_e32 vcc_lo, 0x42b17218, v50
	s_delay_alu instid0(VALU_DEP_2) | instskip(SKIP_3) | instid1(VALU_DEP_4)
	v_dual_fmac_f32 v57, 0x32a5705f, v47 :: v_dual_sub_f32 v56, v56, v69
	v_cndmask_b32_e32 v50, 0x7f800000, v51, vcc_lo
	v_cmp_ngt_f32_e32 vcc_lo, 0xc2ce8ed0, v47
	v_pk_add_f32 v[28:29], v[40:41], v[42:43]
	v_add_f32_e32 v56, v56, v57
	s_delay_alu instid0(VALU_DEP_4) | instskip(SKIP_1) | instid1(VALU_DEP_4)
	v_cvt_f16_f32_e32 v51, v50
	v_cvt_i32_f32_e32 v57, v69
	v_pk_fma_f32 v[76:77], v[76:77], v[44:45], v[28:29]
	s_delay_alu instid0(VALU_DEP_4) | instskip(NEXT) | instid1(VALU_DEP_3)
	v_exp_f32_e32 v56, v56
	v_and_b32_e32 v51, 0xffff, v51
	s_delay_alu instid0(VALU_DEP_1) | instskip(NEXT) | instid1(TRANS32_DEP_1)
	v_mul_u32_u24_e32 v51, 0x10001, v51
	v_ldexp_f32 v56, v56, v57
	s_delay_alu instid0(VALU_DEP_2) | instskip(NEXT) | instid1(VALU_DEP_2)
	v_pk_mul_f16 v68, v163, v51
	v_dual_sub_f32 v51, v178, v11 :: v_dual_cndmask_b32 v56, 0, v56
	v_cmp_nlt_f32_e32 vcc_lo, 0x42b17218, v47
	s_delay_alu instid0(VALU_DEP_2) | instskip(SKIP_2) | instid1(VALU_DEP_2)
	v_cndmask_b32_e32 v47, 0x7f800000, v56, vcc_lo
	v_mul_f32_e32 v56, 0x3fb8aa3b, v49
	v_cmp_ngt_f32_e32 vcc_lo, 0xc2ce8ed0, v49
	v_fma_f32 v57, 0x3fb8aa3b, v49, -v56
	v_rndne_f32_e32 v69, v56
	s_delay_alu instid0(VALU_DEP_2) | instskip(NEXT) | instid1(VALU_DEP_2)
	v_fmac_f32_e32 v57, 0x32a5705f, v49
	v_sub_f32_e32 v56, v56, v69
	s_delay_alu instid0(VALU_DEP_1) | instskip(SKIP_2) | instid1(VALU_DEP_3)
	v_add_f32_e32 v56, v56, v57
	v_cvt_i32_f32_e32 v57, v69
	v_cvt_pk_f16_f32 v17, v46, v47
	v_exp_f32_e32 v56, v56
	v_nop
	s_delay_alu instid0(TRANS32_DEP_1) | instskip(NEXT) | instid1(VALU_DEP_1)
	v_ldexp_f32 v56, v56, v57
	v_cndmask_b32_e32 v56, 0, v56, vcc_lo
	v_cmp_nlt_f32_e32 vcc_lo, 0x42b17218, v49
	s_delay_alu instid0(VALU_DEP_2) | instskip(SKIP_2) | instid1(VALU_DEP_2)
	v_cndmask_b32_e32 v49, 0x7f800000, v56, vcc_lo
	v_mul_f32_e32 v56, 0x3fb8aa3b, v51
	v_cmp_ngt_f32_e32 vcc_lo, 0xc2ce8ed0, v51
	v_fma_f32 v57, 0x3fb8aa3b, v51, -v56
	v_rndne_f32_e32 v69, v56
	s_delay_alu instid0(VALU_DEP_1) | instskip(SKIP_1) | instid1(VALU_DEP_2)
	v_dual_fmac_f32 v57, 0x32a5705f, v51 :: v_dual_sub_f32 v56, v56, v69
	v_pk_add_f32 v[30:31], v[46:47], v[48:49]
	v_add_f32_e32 v56, v56, v57
	v_cvt_i32_f32_e32 v57, v69
	s_delay_alu instid0(VALU_DEP_2) | instskip(SKIP_1) | instid1(TRANS32_DEP_1)
	v_exp_f32_e32 v56, v56
	v_nop
	v_ldexp_f32 v56, v56, v57
	v_mul_f32_e32 v57, 0x3fb8aa3b, v52
	s_delay_alu instid0(VALU_DEP_2) | instskip(NEXT) | instid1(VALU_DEP_2)
	v_cndmask_b32_e32 v56, 0, v56, vcc_lo
	v_fma_f32 v70, 0x3fb8aa3b, v52, -v57
	v_rndne_f32_e32 v71, v57
	v_cmp_nlt_f32_e32 vcc_lo, 0x42b17218, v51
	s_delay_alu instid0(VALU_DEP_2) | instskip(SKIP_2) | instid1(VALU_DEP_3)
	v_dual_fmac_f32 v70, 0x32a5705f, v52 :: v_dual_sub_f32 v57, v57, v71
	v_cndmask_b32_e32 v51, 0x7f800000, v56, vcc_lo
	v_cmp_ngt_f32_e32 vcc_lo, 0xc2ce8ed0, v52
	v_add_f32_e32 v57, v57, v70
	s_delay_alu instid0(VALU_DEP_3) | instskip(SKIP_2) | instid1(VALU_DEP_4)
	v_cvt_f16_f32_e32 v56, v51
	v_cvt_i32_f32_e32 v70, v71
	v_pk_fma_f32 v[78:79], v[78:79], v[50:51], v[30:31]
	v_exp_f32_e32 v57, v57
	s_delay_alu instid0(VALU_DEP_3) | instskip(NEXT) | instid1(VALU_DEP_1)
	v_and_b32_e32 v56, 0xffff, v56
	v_mul_u32_u24_e32 v56, 0x10001, v56
	s_delay_alu instid0(TRANS32_DEP_1) | instskip(NEXT) | instid1(VALU_DEP_2)
	v_ldexp_f32 v57, v57, v70
	v_pk_mul_f16 v69, v162, v56
	s_delay_alu instid0(VALU_DEP_2) | instskip(SKIP_1) | instid1(VALU_DEP_2)
	v_dual_sub_f32 v56, v177, v12 :: v_dual_cndmask_b32 v57, 0, v57
	v_cmp_nlt_f32_e32 vcc_lo, 0x42b17218, v52
	v_cndmask_b32_e32 v52, 0x7f800000, v57, vcc_lo
	v_mul_f32_e32 v57, 0x3fb8aa3b, v54
	v_cmp_ngt_f32_e32 vcc_lo, 0xc2ce8ed0, v54
	s_delay_alu instid0(VALU_DEP_2) | instskip(SKIP_1) | instid1(VALU_DEP_1)
	v_fma_f32 v70, 0x3fb8aa3b, v54, -v57
	v_rndne_f32_e32 v71, v57
	v_dual_fmac_f32 v70, 0x32a5705f, v54 :: v_dual_sub_f32 v57, v57, v71
	s_delay_alu instid0(VALU_DEP_1) | instskip(SKIP_1) | instid1(VALU_DEP_2)
	v_add_f32_e32 v57, v57, v70
	v_cvt_i32_f32_e32 v70, v71
	v_exp_f32_e32 v57, v57
	v_nop
	s_delay_alu instid0(TRANS32_DEP_1) | instskip(NEXT) | instid1(VALU_DEP_1)
	v_ldexp_f32 v57, v57, v70
	v_cndmask_b32_e32 v57, 0, v57, vcc_lo
	v_cmp_nlt_f32_e32 vcc_lo, 0x42b17218, v54
	s_delay_alu instid0(VALU_DEP_2) | instskip(SKIP_2) | instid1(VALU_DEP_2)
	v_cndmask_b32_e32 v54, 0x7f800000, v57, vcc_lo
	v_mul_f32_e32 v57, 0x3fb8aa3b, v56
	v_cmp_ngt_f32_e32 vcc_lo, 0xc2ce8ed0, v56
	v_fma_f32 v70, 0x3fb8aa3b, v56, -v57
	v_rndne_f32_e32 v71, v57
	s_delay_alu instid0(VALU_DEP_1) | instskip(NEXT) | instid1(VALU_DEP_1)
	v_dual_fmac_f32 v70, 0x32a5705f, v56 :: v_dual_sub_f32 v57, v57, v71
	v_add_f32_e32 v57, v57, v70
	v_cvt_i32_f32_e32 v70, v71
	v_mul_f32_e32 v71, 0x3fb8aa3b, v53
	s_delay_alu instid0(VALU_DEP_1) | instskip(SKIP_1) | instid1(VALU_DEP_2)
	v_fma_f32 v108, 0x3fb8aa3b, v53, -v71
	v_rndne_f32_e32 v109, v71
	v_fmac_f32_e32 v108, 0x32a5705f, v53
	v_exp_f32_e32 v57, v57
	s_delay_alu instid0(VALU_DEP_2) | instskip(NEXT) | instid1(VALU_DEP_1)
	v_sub_f32_e32 v71, v71, v109
	v_add_f32_e32 v71, v71, v108
	s_delay_alu instid0(TRANS32_DEP_1) | instskip(SKIP_1) | instid1(VALU_DEP_3)
	v_ldexp_f32 v57, v57, v70
	v_cvt_i32_f32_e32 v108, v109
	v_exp_f32_e32 v71, v71
	s_delay_alu instid0(VALU_DEP_2) | instskip(SKIP_1) | instid1(VALU_DEP_2)
	v_cndmask_b32_e32 v57, 0, v57, vcc_lo
	v_cmp_nlt_f32_e32 vcc_lo, 0x42b17218, v56
	v_cndmask_b32_e32 v56, 0x7f800000, v57, vcc_lo
	v_cmp_ngt_f32_e32 vcc_lo, 0xc2ce8ed0, v53
	s_delay_alu instid0(TRANS32_DEP_1) | instskip(NEXT) | instid1(VALU_DEP_3)
	v_ldexp_f32 v71, v71, v108
	v_cvt_f16_f32_e32 v57, v56
	s_delay_alu instid0(VALU_DEP_2) | instskip(SKIP_1) | instid1(VALU_DEP_3)
	v_cndmask_b32_e32 v71, 0, v71, vcc_lo
	v_cmp_nlt_f32_e32 vcc_lo, 0x42b17218, v53
	v_and_b32_e32 v57, 0xffff, v57
	s_delay_alu instid0(VALU_DEP_3) | instskip(SKIP_1) | instid1(VALU_DEP_3)
	v_cndmask_b32_e32 v53, 0x7f800000, v71, vcc_lo
	v_mul_f32_e32 v71, 0x3fb8aa3b, v55
	v_mul_u32_u24_e32 v57, 0x10001, v57
	v_cmp_ngt_f32_e32 vcc_lo, 0xc2ce8ed0, v55
	s_delay_alu instid0(VALU_DEP_3) | instskip(NEXT) | instid1(VALU_DEP_3)
	v_fma_f32 v108, 0x3fb8aa3b, v55, -v71
	v_pk_mul_f16 v70, v161, v57
	v_sub_f32_e32 v57, v176, v13
	v_rndne_f32_e32 v109, v71
	s_delay_alu instid0(VALU_DEP_1) | instskip(NEXT) | instid1(VALU_DEP_1)
	v_dual_fmac_f32 v108, 0x32a5705f, v55 :: v_dual_sub_f32 v71, v71, v109
	v_add_f32_e32 v71, v71, v108
	v_cvt_i32_f32_e32 v108, v109
	s_delay_alu instid0(VALU_DEP_2) | instskip(SKIP_1) | instid1(TRANS32_DEP_1)
	v_exp_f32_e32 v71, v71
	v_nop
	v_ldexp_f32 v71, v71, v108
	s_delay_alu instid0(VALU_DEP_1) | instskip(SKIP_1) | instid1(VALU_DEP_2)
	v_cndmask_b32_e32 v71, 0, v71, vcc_lo
	v_cmp_nlt_f32_e32 vcc_lo, 0x42b17218, v55
	v_cndmask_b32_e32 v55, 0x7f800000, v71, vcc_lo
	v_mul_f32_e32 v71, 0x3fb8aa3b, v57
	v_cmp_ngt_f32_e32 vcc_lo, 0xc2ce8ed0, v57
	s_delay_alu instid0(VALU_DEP_2) | instskip(SKIP_1) | instid1(VALU_DEP_2)
	v_fma_f32 v108, 0x3fb8aa3b, v57, -v71
	v_rndne_f32_e32 v109, v71
	v_fmac_f32_e32 v108, 0x32a5705f, v57
	s_delay_alu instid0(VALU_DEP_2) | instskip(NEXT) | instid1(VALU_DEP_1)
	v_sub_f32_e32 v71, v71, v109
	v_add_f32_e32 v71, v71, v108
	v_cvt_i32_f32_e32 v108, v109
	v_sub_f32_e32 v109, v175, v14
	s_delay_alu instid0(VALU_DEP_3) | instskip(SKIP_1) | instid1(TRANS32_DEP_1)
	v_exp_f32_e32 v71, v71
	v_nop
	v_ldexp_f32 v71, v71, v108
	s_delay_alu instid0(VALU_DEP_1) | instskip(NEXT) | instid1(VALU_DEP_1)
	v_dual_mul_f32 v108, 0x3fb8aa3b, v106 :: v_dual_cndmask_b32 v71, 0, v71
	v_fma_f32 v110, 0x3fb8aa3b, v106, -v108
	v_rndne_f32_e32 v111, v108
	v_cmp_nlt_f32_e32 vcc_lo, 0x42b17218, v57
	s_delay_alu instid0(VALU_DEP_3) | instskip(NEXT) | instid1(VALU_DEP_3)
	v_fmac_f32_e32 v110, 0x32a5705f, v106
	v_sub_f32_e32 v108, v108, v111
	v_cndmask_b32_e32 v57, 0x7f800000, v71, vcc_lo
	v_cmp_ngt_f32_e32 vcc_lo, 0xc2ce8ed0, v106
	s_delay_alu instid0(VALU_DEP_3) | instskip(SKIP_1) | instid1(VALU_DEP_2)
	v_add_f32_e32 v108, v108, v110
	v_cvt_i32_f32_e32 v110, v111
	v_exp_f32_e32 v108, v108
	v_nop
	s_delay_alu instid0(TRANS32_DEP_1) | instskip(NEXT) | instid1(VALU_DEP_1)
	v_ldexp_f32 v108, v108, v110
	v_cndmask_b32_e32 v108, 0, v108, vcc_lo
	v_cmp_nlt_f32_e32 vcc_lo, 0x42b17218, v106
	s_delay_alu instid0(VALU_DEP_2) | instskip(SKIP_1) | instid1(VALU_DEP_1)
	v_cndmask_b32_e32 v106, 0x7f800000, v108, vcc_lo
	v_mul_f32_e32 v108, 0x3fb8aa3b, v107
	v_fma_f32 v110, 0x3fb8aa3b, v107, -v108
	v_rndne_f32_e32 v111, v108
	s_delay_alu instid0(VALU_DEP_1) | instskip(NEXT) | instid1(VALU_DEP_3)
	v_sub_f32_e32 v108, v108, v111
	v_fmac_f32_e32 v110, 0x32a5705f, v107
	v_cmp_ngt_f32_e32 vcc_lo, 0xc2ce8ed0, v107
	s_delay_alu instid0(VALU_DEP_2) | instskip(SKIP_2) | instid1(VALU_DEP_3)
	v_add_f32_e32 v108, v108, v110
	v_cvt_i32_f32_e32 v110, v111
	v_cvt_pk_f16_f32 v18, v52, v53
	v_exp_f32_e32 v108, v108
	v_nop
	s_delay_alu instid0(TRANS32_DEP_1) | instskip(NEXT) | instid1(VALU_DEP_1)
	v_ldexp_f32 v108, v108, v110
	v_cndmask_b32_e32 v108, 0, v108, vcc_lo
	v_cmp_nlt_f32_e32 vcc_lo, 0x42b17218, v107
	v_mul_f32_e32 v107, 0x3fb8aa3b, v109
	s_delay_alu instid0(VALU_DEP_1) | instskip(SKIP_3) | instid1(VALU_DEP_3)
	v_fma_f32 v110, 0x3fb8aa3b, v109, -v107
	v_rndne_f32_e32 v111, v107
	v_cndmask_b32_e32 v108, 0x7f800000, v108, vcc_lo
	v_cmp_ngt_f32_e32 vcc_lo, 0xc2ce8ed0, v109
	v_dual_fmac_f32 v110, 0x32a5705f, v109 :: v_dual_sub_f32 v107, v107, v111
	s_delay_alu instid0(VALU_DEP_1) | instskip(SKIP_2) | instid1(VALU_DEP_3)
	v_add_f32_e32 v107, v107, v110
	v_cvt_i32_f32_e32 v110, v111
	v_sub_f32_e32 v111, v174, v15
	v_exp_f32_e32 v107, v107
	v_nop
	s_delay_alu instid0(TRANS32_DEP_1) | instskip(NEXT) | instid1(VALU_DEP_1)
	v_ldexp_f32 v107, v107, v110
	v_cndmask_b32_e32 v107, 0, v107, vcc_lo
	v_cmp_nlt_f32_e32 vcc_lo, 0x42b17218, v109
	s_delay_alu instid0(VALU_DEP_2) | instskip(NEXT) | instid1(VALU_DEP_1)
	v_cndmask_b32_e32 v110, 0x7f800000, v107, vcc_lo
	v_cvt_f16_f32_e32 v107, v110
	s_delay_alu instid0(VALU_DEP_1) | instskip(NEXT) | instid1(VALU_DEP_1)
	v_and_b32_e32 v107, 0xffff, v107
	v_mul_u32_u24_e32 v107, 0x10001, v107
	s_delay_alu instid0(VALU_DEP_1) | instskip(SKIP_1) | instid1(VALU_DEP_1)
	v_pk_mul_f16 v159, v159, v107
	v_sub_f32_e32 v107, v191, v15
	v_mul_f32_e32 v109, 0x3fb8aa3b, v107
	s_delay_alu instid0(VALU_DEP_1) | instskip(SKIP_1) | instid1(VALU_DEP_1)
	v_fma_f32 v112, 0x3fb8aa3b, v107, -v109
	v_rndne_f32_e32 v113, v109
	v_dual_fmac_f32 v112, 0x32a5705f, v107 :: v_dual_sub_f32 v109, v109, v113
	s_delay_alu instid0(VALU_DEP_1) | instskip(SKIP_2) | instid1(VALU_DEP_3)
	v_add_f32_e32 v109, v109, v112
	v_cvt_i32_f32_e32 v112, v113
	v_cmp_ngt_f32_e32 vcc_lo, 0xc2ce8ed0, v107
	v_exp_f32_e32 v109, v109
	v_nop
	s_delay_alu instid0(TRANS32_DEP_1) | instskip(NEXT) | instid1(VALU_DEP_1)
	v_ldexp_f32 v109, v109, v112
	v_cndmask_b32_e32 v109, 0, v109, vcc_lo
	v_cmp_nlt_f32_e32 vcc_lo, 0x42b17218, v107
	s_delay_alu instid0(VALU_DEP_2) | instskip(SKIP_1) | instid1(VALU_DEP_1)
	v_cndmask_b32_e32 v107, 0x7f800000, v109, vcc_lo
	v_sub_f32_e32 v109, v190, v15
	v_mul_f32_e32 v112, 0x3fb8aa3b, v109
	v_cmp_ngt_f32_e32 vcc_lo, 0xc2ce8ed0, v109
	s_delay_alu instid0(VALU_DEP_2) | instskip(SKIP_1) | instid1(VALU_DEP_1)
	v_fma_f32 v113, 0x3fb8aa3b, v109, -v112
	v_rndne_f32_e32 v114, v112
	v_dual_fmac_f32 v113, 0x32a5705f, v109 :: v_dual_sub_f32 v112, v112, v114
	v_pk_add_f32 v[34:35], v[52:53], v[54:55]
	s_delay_alu instid0(VALU_DEP_2) | instskip(SKIP_1) | instid1(VALU_DEP_3)
	v_add_f32_e32 v112, v112, v113
	v_cvt_i32_f32_e32 v113, v114
	v_pk_fma_f32 v[74:75], v[74:75], v[56:57], v[34:35]
	v_cvt_f16_f32_e32 v71, v57
	s_delay_alu instid0(VALU_DEP_4) | instskip(NEXT) | instid1(VALU_DEP_1)
	v_exp_f32_e32 v112, v112
	v_and_b32_e32 v71, 0xffff, v71
	s_delay_alu instid0(TRANS32_DEP_1) | instskip(NEXT) | instid1(VALU_DEP_2)
	v_ldexp_f32 v112, v112, v113
	v_mul_u32_u24_e32 v71, 0x10001, v71
	s_delay_alu instid0(VALU_DEP_2) | instskip(SKIP_1) | instid1(VALU_DEP_3)
	v_cndmask_b32_e32 v112, 0, v112, vcc_lo
	v_cmp_nlt_f32_e32 vcc_lo, 0x42b17218, v109
	v_pk_mul_f16 v71, v160, v71
	s_delay_alu instid0(VALU_DEP_3) | instskip(SKIP_2) | instid1(VALU_DEP_2)
	v_cndmask_b32_e32 v109, 0x7f800000, v112, vcc_lo
	v_mul_f32_e32 v112, 0x3fb8aa3b, v111
	v_cmp_ngt_f32_e32 vcc_lo, 0xc2ce8ed0, v111
	v_fma_f32 v113, 0x3fb8aa3b, v111, -v112
	v_rndne_f32_e32 v114, v112
	s_delay_alu instid0(VALU_DEP_1) | instskip(SKIP_2) | instid1(VALU_DEP_3)
	v_dual_fmac_f32 v113, 0x32a5705f, v111 :: v_dual_sub_f32 v112, v112, v114
	v_cvt_pk_f16_f32 v19, v106, v107
	v_pk_add_f32 v[36:37], v[106:107], v[108:109]
	v_add_f32_e32 v112, v112, v113
	v_cvt_i32_f32_e32 v113, v114
	s_delay_alu instid0(VALU_DEP_2) | instskip(SKIP_1) | instid1(TRANS32_DEP_1)
	v_exp_f32_e32 v112, v112
	v_nop
	v_ldexp_f32 v112, v112, v113
	s_delay_alu instid0(VALU_DEP_1) | instskip(SKIP_1) | instid1(VALU_DEP_2)
	v_cndmask_b32_e32 v112, 0, v112, vcc_lo
	v_cmp_nlt_f32_e32 vcc_lo, 0x42b17218, v111
	v_cndmask_b32_e32 v111, 0x7f800000, v112, vcc_lo
	s_delay_alu instid0(VALU_DEP_1) | instskip(NEXT) | instid1(VALU_DEP_1)
	v_cvt_f16_f32_e32 v16, v111
	v_and_b32_e32 v16, 0xffff, v16
	s_delay_alu instid0(VALU_DEP_1) | instskip(NEXT) | instid1(VALU_DEP_1)
	v_mul_u32_u24_e32 v16, 0x10001, v16
	v_pk_mul_f16 v26, v158, v16
	v_cvt_pk_f16_f32 v16, v40, v41
	ds_store_b128 v145, v[16:19] offset:1024
	v_cvt_pk_f16_f32 v19, v108, v109
	v_cvt_pk_f16_f32 v18, v54, v55
	v_cvt_pk_f16_f32 v17, v48, v49
	v_cvt_pk_f16_f32 v16, v42, v43
	ds_store_b128 v145, v[16:19] offset:1536
	v_lshl_add_u64 v[18:19], v[96:97], 2, s[20:21]
	v_lshl_add_u64 v[16:17], v[92:93], 2, s[20:21]
	s_delay_alu instid0(VALU_DEP_2) | instskip(SKIP_1) | instid1(VALU_DEP_3)
	v_add_nc_u64_e32 v[24:25], v[18:19], v[88:89]
	v_lshl_add_u64 v[18:19], v[100:101], 2, s[20:21]
	v_add_nc_u64_e32 v[16:17], v[16:17], v[88:89]
	s_delay_alu instid0(VALU_DEP_2) | instskip(SKIP_1) | instid1(VALU_DEP_1)
	v_add_nc_u64_e32 v[22:23], v[18:19], v[88:89]
	v_lshl_add_u64 v[18:19], v[104:105], 2, s[20:21]
	v_add_nc_u64_e32 v[20:21], v[18:19], v[88:89]
	global_load_b128 v[16:19], v[16:17], off
	s_wait_loadcnt 0x0
	ds_store_b128 v154, v[16:19]
	global_load_b128 v[16:19], v[24:25], off
	s_wait_xcnt 0x0
	v_add_nc_u32_e32 v24, 0x800, v154
	s_wait_loadcnt 0x0
	ds_store_b128 v24, v[16:19]
	global_load_b128 v[16:19], v[22:23], off
	s_wait_xcnt 0x0
	v_add_nc_u32_e32 v22, 0x1000, v154
	;; [unrolled: 5-line block ×3, first 2 shown]
	s_wait_loadcnt 0x0
	ds_store_b128 v20, v[16:19]
	s_wait_dscnt 0x0
	s_barrier_signal -1
	s_barrier_wait -1
	ds_load_2addr_b32 v[24:25], v140 offset1:32
	ds_load_b128 v[28:31], v143
	ds_load_b128 v[32:35], v143 offset:16
	ds_load_b128 v[20:23], v143 offset:32
	;; [unrolled: 1-line block ×3, first 2 shown]
	s_wait_dscnt 0x3
	v_lshrrev_b32_e32 v27, 16, v28
	v_and_b32_e32 v28, 0xffff, v28
	v_lshrrev_b32_e32 v38, 16, v31
	v_pk_fma_f32 v[72:73], v[72:73], v[110:111], v[36:37]
	v_dual_lshrrev_b32 v36, 16, v29 :: v_dual_lshrrev_b32 v37, 16, v30
	s_delay_alu instid0(VALU_DEP_4) | instskip(SKIP_2) | instid1(VALU_DEP_4)
	v_mul_u32_u24_e32 v39, 0x10001, v28
	v_and_b32_e32 v28, 0xffff, v29
	v_mul_u32_u24_e32 v27, 0x10001, v27
	v_mul_u32_u24_e32 v36, 0x10001, v36
	;; [unrolled: 1-line block ×3, first 2 shown]
	v_pk_fma_f16 v39, v24, v39, v58
	v_mul_u32_u24_e32 v40, 0x10001, v28
	v_and_b32_e32 v28, 0xffff, v30
	v_pk_fma_f16 v47, v24, v27, v59
	v_pk_fma_f16 v36, v24, v36, v61
	;; [unrolled: 1-line block ×4, first 2 shown]
	v_mul_u32_u24_e32 v41, 0x10001, v28
	v_and_b32_e32 v28, 0xffff, v31
	s_wait_dscnt 0x2
	v_lshrrev_b32_e32 v27, 16, v33
	s_delay_alu instid0(VALU_DEP_3) | instskip(NEXT) | instid1(VALU_DEP_3)
	v_pk_fma_f16 v41, v24, v41, v62
	v_mul_u32_u24_e32 v42, 0x10001, v28
	ds_load_b128 v[28:31], v143 offset:1024
	v_mul_u32_u24_e32 v50, 0x10001, v27
	v_pk_fma_f16 v42, v24, v42, v64
	s_delay_alu instid0(VALU_DEP_2)
	v_pk_fma_f16 v36, v25, v50, v36
	s_wait_dscnt 0x0
	v_dual_lshrrev_b32 v43, 16, v28 :: v_dual_lshrrev_b32 v44, 16, v29
	v_dual_lshrrev_b32 v45, 16, v30 :: v_dual_lshrrev_b32 v46, 16, v31
	v_and_b32_e32 v28, 0xffff, v28
	v_and_b32_e32 v29, 0xffff, v29
	;; [unrolled: 1-line block ×4, first 2 shown]
	v_mul_u32_u24_e32 v37, 0x10001, v37
	v_mul_u32_u24_e32 v28, 0x10001, v28
	;; [unrolled: 1-line block ×9, first 2 shown]
	v_pk_fma_f16 v37, v24, v37, v63
	v_pk_fma_f16 v48, v24, v28, v66
	;; [unrolled: 1-line block ×9, first 2 shown]
	v_dual_lshrrev_b32 v26, 16, v32 :: v_dual_lshrrev_b32 v28, 16, v34
	v_lshrrev_b32_e32 v29, 16, v35
	v_and_b32_e32 v32, 0xffff, v32
	s_delay_alu instid0(VALU_DEP_3) | instskip(SKIP_4) | instid1(VALU_DEP_4)
	v_mul_u32_u24_e32 v46, 0x10001, v26
	v_and_b32_e32 v26, 0xffff, v33
	v_mul_u32_u24_e32 v51, 0x10001, v28
	v_mul_u32_u24_e32 v52, 0x10001, v29
	;; [unrolled: 1-line block ×4, first 2 shown]
	v_and_b32_e32 v26, 0xffff, v34
	v_pk_fma_f16 v37, v25, v51, v37
	s_delay_alu instid0(VALU_DEP_4)
	v_pk_fma_f16 v32, v25, v32, v39
	v_pk_fma_f16 v39, v25, v46, v47
	;; [unrolled: 1-line block ×3, first 2 shown]
	v_mul_u32_u24_e32 v34, 0x10001, v26
	v_and_b32_e32 v26, 0xffff, v35
	v_pk_fma_f16 v33, v25, v33, v40
	s_delay_alu instid0(VALU_DEP_3) | instskip(NEXT) | instid1(VALU_DEP_3)
	v_pk_fma_f16 v34, v25, v34, v41
	v_mul_u32_u24_e32 v35, 0x10001, v26
	ds_load_b128 v[26:29], v143 offset:1040
	v_pk_fma_f16 v35, v25, v35, v42
	v_lshrrev_b32_e32 v42, 16, v20
	v_and_b32_e32 v20, 0xffff, v20
	s_delay_alu instid0(VALU_DEP_1) | instskip(SKIP_1) | instid1(VALU_DEP_1)
	v_mul_u32_u24_e32 v46, 0x10001, v20
	v_and_b32_e32 v20, 0xffff, v21
	v_mul_u32_u24_e32 v47, 0x10001, v20
	v_and_b32_e32 v20, 0xffff, v22
	s_wait_dscnt 0x0
	v_dual_lshrrev_b32 v53, 16, v26 :: v_dual_lshrrev_b32 v54, 16, v27
	v_and_b32_e32 v26, 0xffff, v26
	v_dual_lshrrev_b32 v55, 16, v28 :: v_dual_lshrrev_b32 v56, 16, v29
	v_and_b32_e32 v27, 0xffff, v27
	v_and_b32_e32 v28, 0xffff, v28
	;; [unrolled: 1-line block ×3, first 2 shown]
	v_mul_u32_u24_e32 v26, 0x10001, v26
	v_mul_u32_u24_e32 v53, 0x10001, v53
	v_mul_u32_u24_e32 v27, 0x10001, v27
	v_mul_u32_u24_e32 v54, 0x10001, v54
	v_mul_u32_u24_e32 v28, 0x10001, v28
	v_mul_u32_u24_e32 v55, 0x10001, v55
	v_mul_u32_u24_e32 v29, 0x10001, v29
	v_mul_u32_u24_e32 v56, 0x10001, v56
	v_pk_fma_f16 v26, v25, v26, v48
	v_mul_u32_u24_e32 v48, 0x10001, v20
	v_and_b32_e32 v20, 0xffff, v23
	v_pk_fma_f16 v40, v25, v53, v43
	v_pk_fma_f16 v27, v25, v27, v49
	;; [unrolled: 1-line block ×5, first 2 shown]
	v_dual_lshrrev_b32 v43, 16, v21 :: v_dual_lshrrev_b32 v44, 16, v22
	v_lshrrev_b32_e32 v45, 16, v23
	v_pk_fma_f16 v29, v25, v29, v31
	v_pk_fma_f16 v31, v25, v56, v24
	ds_load_2addr_b32 v[24:25], v140 offset0:64 offset1:96
	v_mul_u32_u24_e32 v42, 0x10001, v42
	v_mul_u32_u24_e32 v49, 0x10001, v20
	ds_load_b128 v[20:23], v143 offset:1056
	v_mul_u32_u24_e32 v43, 0x10001, v43
	v_mul_u32_u24_e32 v44, 0x10001, v44
	;; [unrolled: 1-line block ×3, first 2 shown]
	s_wait_dscnt 0x1
	v_pk_fma_f16 v39, v24, v42, v39
	v_pk_fma_f16 v36, v24, v43, v36
	;; [unrolled: 1-line block ×8, first 2 shown]
	s_wait_dscnt 0x0
	v_dual_lshrrev_b32 v52, 16, v22 :: v_dual_lshrrev_b32 v53, 16, v23
	v_and_b32_e32 v23, 0xffff, v23
	v_dual_lshrrev_b32 v50, 16, v20 :: v_dual_lshrrev_b32 v51, 16, v21
	v_and_b32_e32 v21, 0xffff, v21
	v_and_b32_e32 v20, 0xffff, v20
	;; [unrolled: 1-line block ×3, first 2 shown]
	v_mul_u32_u24_e32 v23, 0x10001, v23
	v_mul_u32_u24_e32 v51, 0x10001, v51
	;; [unrolled: 1-line block ×8, first 2 shown]
	v_pk_fma_f16 v23, v24, v23, v29
	v_lshrrev_b32_e32 v29, 16, v16
	v_and_b32_e32 v16, 0xffff, v16
	v_pk_fma_f16 v21, v24, v21, v27
	v_pk_fma_f16 v27, v24, v51, v41
	;; [unrolled: 1-line block ×7, first 2 shown]
	v_dual_lshrrev_b32 v30, 16, v17 :: v_dual_lshrrev_b32 v31, 16, v18
	v_lshrrev_b32_e32 v40, 16, v19
	v_mul_u32_u24_e32 v41, 0x10001, v16
	v_and_b32_e32 v16, 0xffff, v17
	s_delay_alu instid0(VALU_DEP_4)
	v_mul_u32_u24_e32 v30, 0x10001, v30
	v_mul_u32_u24_e32 v31, 0x10001, v31
	;; [unrolled: 1-line block ×5, first 2 shown]
	v_and_b32_e32 v16, 0xffff, v18
	v_pk_fma_f16 v30, v25, v30, v36
	v_pk_fma_f16 v31, v25, v31, v37
	;; [unrolled: 1-line block ×5, first 2 shown]
	v_mul_u32_u24_e32 v43, 0x10001, v16
	v_and_b32_e32 v16, 0xffff, v19
	v_pk_fma_f16 v33, v25, v42, v33
	s_delay_alu instid0(VALU_DEP_3) | instskip(NEXT) | instid1(VALU_DEP_3)
	v_pk_fma_f16 v34, v25, v43, v34
	v_mul_u32_u24_e32 v44, 0x10001, v16
	ds_load_b128 v[16:19], v143 offset:1072
	v_pk_fma_f16 v35, v25, v44, v35
	s_wait_dscnt 0x0
	v_dual_lshrrev_b32 v45, 16, v16 :: v_dual_lshrrev_b32 v46, 16, v17
	v_dual_lshrrev_b32 v47, 16, v18 :: v_dual_lshrrev_b32 v48, 16, v19
	v_and_b32_e32 v16, 0xffff, v16
	v_and_b32_e32 v17, 0xffff, v17
	;; [unrolled: 1-line block ×4, first 2 shown]
	v_mul_u32_u24_e32 v45, 0x10001, v45
	v_mul_u32_u24_e32 v16, 0x10001, v16
	v_mul_u32_u24_e32 v17, 0x10001, v17
	v_mul_u32_u24_e32 v18, 0x10001, v18
	v_mul_u32_u24_e32 v19, 0x10001, v19
	v_mul_u32_u24_e32 v46, 0x10001, v46
	v_mul_u32_u24_e32 v47, 0x10001, v47
	v_mul_u32_u24_e32 v48, 0x10001, v48
	v_pk_fma_f16 v37, v25, v16, v20
	v_pk_fma_f16 v38, v25, v17, v21
	;; [unrolled: 1-line block ×4, first 2 shown]
	ds_load_2addr_b32 v[16:17], v140 offset0:128 offset1:160
	ds_load_b128 v[18:21], v143 offset:64
	v_pk_fma_f16 v26, v25, v45, v26
	v_pk_fma_f16 v27, v25, v46, v27
	;; [unrolled: 1-line block ×4, first 2 shown]
	s_wait_dscnt 0x0
	v_dual_lshrrev_b32 v25, 16, v18 :: v_dual_lshrrev_b32 v39, 16, v19
	v_and_b32_e32 v18, 0xffff, v18
	v_dual_lshrrev_b32 v40, 16, v20 :: v_dual_lshrrev_b32 v41, 16, v21
	s_delay_alu instid0(VALU_DEP_3) | instskip(NEXT) | instid1(VALU_DEP_4)
	v_mul_u32_u24_e32 v25, 0x10001, v25
	v_mul_u32_u24_e32 v39, 0x10001, v39
	s_delay_alu instid0(VALU_DEP_4)
	v_mul_u32_u24_e32 v42, 0x10001, v18
	v_and_b32_e32 v18, 0xffff, v19
	v_mul_u32_u24_e32 v41, 0x10001, v41
	v_mul_u32_u24_e32 v40, 0x10001, v40
	v_pk_fma_f16 v25, v16, v25, v29
	v_pk_fma_f16 v32, v16, v42, v32
	v_mul_u32_u24_e32 v43, 0x10001, v18
	v_and_b32_e32 v18, 0xffff, v20
	v_pk_fma_f16 v30, v16, v39, v30
	v_pk_fma_f16 v31, v16, v40, v31
	s_delay_alu instid0(VALU_DEP_4) | instskip(NEXT) | instid1(VALU_DEP_4)
	v_pk_fma_f16 v29, v16, v43, v33
	v_mul_u32_u24_e32 v44, 0x10001, v18
	v_and_b32_e32 v18, 0xffff, v21
	s_delay_alu instid0(VALU_DEP_2) | instskip(NEXT) | instid1(VALU_DEP_2)
	v_pk_fma_f16 v33, v16, v44, v34
	v_mul_u32_u24_e32 v45, 0x10001, v18
	ds_load_b128 v[18:21], v143 offset:1088
	v_pk_fma_f16 v34, v16, v45, v35
	v_pk_fma_f16 v35, v16, v41, v36
	s_wait_dscnt 0x0
	v_dual_lshrrev_b32 v46, 16, v18 :: v_dual_lshrrev_b32 v47, 16, v19
	v_dual_lshrrev_b32 v48, 16, v20 :: v_dual_lshrrev_b32 v49, 16, v21
	v_and_b32_e32 v18, 0xffff, v18
	v_and_b32_e32 v19, 0xffff, v19
	;; [unrolled: 1-line block ×4, first 2 shown]
	v_mul_u32_u24_e32 v46, 0x10001, v46
	v_mul_u32_u24_e32 v18, 0x10001, v18
	;; [unrolled: 1-line block ×8, first 2 shown]
	v_pk_fma_f16 v36, v16, v18, v37
	v_pk_fma_f16 v37, v16, v19, v38
	;; [unrolled: 1-line block ×4, first 2 shown]
	ds_load_b128 v[18:21], v143 offset:80
	v_pk_fma_f16 v26, v16, v46, v26
	v_pk_fma_f16 v27, v16, v47, v27
	;; [unrolled: 1-line block ×4, first 2 shown]
	s_wait_dscnt 0x0
	v_dual_lshrrev_b32 v24, 16, v18 :: v_dual_lshrrev_b32 v38, 16, v19
	v_and_b32_e32 v18, 0xffff, v18
	v_dual_lshrrev_b32 v39, 16, v20 :: v_dual_lshrrev_b32 v40, 16, v21
	s_delay_alu instid0(VALU_DEP_3) | instskip(NEXT) | instid1(VALU_DEP_4)
	v_mul_u32_u24_e32 v24, 0x10001, v24
	v_mul_u32_u24_e32 v38, 0x10001, v38
	s_delay_alu instid0(VALU_DEP_4)
	v_mul_u32_u24_e32 v41, 0x10001, v18
	v_and_b32_e32 v18, 0xffff, v19
	v_mul_u32_u24_e32 v39, 0x10001, v39
	v_mul_u32_u24_e32 v40, 0x10001, v40
	v_pk_fma_f16 v24, v17, v24, v25
	v_pk_fma_f16 v32, v17, v41, v32
	v_mul_u32_u24_e32 v42, 0x10001, v18
	v_and_b32_e32 v18, 0xffff, v20
	v_pk_fma_f16 v31, v17, v39, v31
	s_delay_alu instid0(VALU_DEP_3) | instskip(NEXT) | instid1(VALU_DEP_3)
	v_pk_fma_f16 v25, v17, v42, v29
	v_mul_u32_u24_e32 v43, 0x10001, v18
	v_and_b32_e32 v18, 0xffff, v21
	v_pk_fma_f16 v29, v17, v38, v30
	s_delay_alu instid0(VALU_DEP_3) | instskip(NEXT) | instid1(VALU_DEP_3)
	v_pk_fma_f16 v30, v17, v43, v33
	v_mul_u32_u24_e32 v44, 0x10001, v18
	ds_load_b128 v[18:21], v143 offset:1104
	v_pk_fma_f16 v33, v17, v44, v34
	v_pk_fma_f16 v34, v17, v40, v35
	s_wait_dscnt 0x0
	v_dual_lshrrev_b32 v45, 16, v18 :: v_dual_lshrrev_b32 v46, 16, v19
	v_dual_lshrrev_b32 v47, 16, v20 :: v_dual_lshrrev_b32 v48, 16, v21
	v_and_b32_e32 v18, 0xffff, v18
	v_and_b32_e32 v19, 0xffff, v19
	;; [unrolled: 1-line block ×4, first 2 shown]
	v_mul_u32_u24_e32 v45, 0x10001, v45
	v_mul_u32_u24_e32 v18, 0x10001, v18
	;; [unrolled: 1-line block ×8, first 2 shown]
	v_pk_fma_f16 v35, v17, v18, v36
	v_pk_fma_f16 v26, v17, v45, v26
	;; [unrolled: 1-line block ×8, first 2 shown]
	ds_load_2addr_b32 v[16:17], v140 offset0:192 offset1:224
	ds_load_b128 v[18:21], v143 offset:96
	s_wait_dscnt 0x0
	v_dual_lshrrev_b32 v38, 16, v18 :: v_dual_lshrrev_b32 v39, 16, v19
	v_and_b32_e32 v18, 0xffff, v18
	v_dual_lshrrev_b32 v40, 16, v20 :: v_dual_lshrrev_b32 v41, 16, v21
	s_delay_alu instid0(VALU_DEP_3) | instskip(NEXT) | instid1(VALU_DEP_4)
	v_mul_u32_u24_e32 v38, 0x10001, v38
	v_mul_u32_u24_e32 v39, 0x10001, v39
	s_delay_alu instid0(VALU_DEP_4)
	v_mul_u32_u24_e32 v42, 0x10001, v18
	v_and_b32_e32 v18, 0xffff, v19
	v_mul_u32_u24_e32 v40, 0x10001, v40
	v_mul_u32_u24_e32 v41, 0x10001, v41
	v_pk_fma_f16 v24, v16, v38, v24
	v_pk_fma_f16 v32, v16, v42, v32
	v_mul_u32_u24_e32 v43, 0x10001, v18
	v_and_b32_e32 v18, 0xffff, v20
	v_pk_fma_f16 v29, v16, v39, v29
	v_pk_fma_f16 v31, v16, v40, v31
	;; [unrolled: 1-line block ×4, first 2 shown]
	v_mul_u32_u24_e32 v44, 0x10001, v18
	v_and_b32_e32 v18, 0xffff, v21
	s_delay_alu instid0(VALU_DEP_2) | instskip(NEXT) | instid1(VALU_DEP_2)
	v_pk_fma_f16 v30, v16, v44, v30
	v_mul_u32_u24_e32 v45, 0x10001, v18
	ds_load_b128 v[18:21], v143 offset:1120
	v_pk_fma_f16 v33, v16, v45, v33
	s_wait_dscnt 0x0
	v_dual_lshrrev_b32 v46, 16, v18 :: v_dual_lshrrev_b32 v47, 16, v19
	v_dual_lshrrev_b32 v48, 16, v20 :: v_dual_lshrrev_b32 v49, 16, v21
	v_and_b32_e32 v18, 0xffff, v18
	v_and_b32_e32 v19, 0xffff, v19
	v_and_b32_e32 v20, 0xffff, v20
	v_and_b32_e32 v21, 0xffff, v21
	v_mul_u32_u24_e32 v46, 0x10001, v46
	v_mul_u32_u24_e32 v18, 0x10001, v18
	;; [unrolled: 1-line block ×8, first 2 shown]
	v_pk_fma_f16 v35, v16, v18, v35
	v_pk_fma_f16 v36, v16, v19, v36
	;; [unrolled: 1-line block ×4, first 2 shown]
	ds_load_b128 v[18:21], v143 offset:112
	v_pk_fma_f16 v26, v16, v46, v26
	v_pk_fma_f16 v27, v16, v47, v27
	;; [unrolled: 1-line block ×4, first 2 shown]
	s_wait_dscnt 0x0
	v_dual_lshrrev_b32 v37, 16, v18 :: v_dual_lshrrev_b32 v38, 16, v19
	v_and_b32_e32 v18, 0xffff, v18
	v_dual_lshrrev_b32 v39, 16, v20 :: v_dual_lshrrev_b32 v40, 16, v21
	s_delay_alu instid0(VALU_DEP_3) | instskip(NEXT) | instid1(VALU_DEP_4)
	v_mul_u32_u24_e32 v37, 0x10001, v37
	v_mul_u32_u24_e32 v38, 0x10001, v38
	s_delay_alu instid0(VALU_DEP_4)
	v_mul_u32_u24_e32 v41, 0x10001, v18
	v_and_b32_e32 v18, 0xffff, v19
	v_mul_u32_u24_e32 v39, 0x10001, v39
	v_mul_u32_u24_e32 v40, 0x10001, v40
	v_pk_fma_f16 v24, v17, v37, v24
	v_pk_fma_f16 v32, v17, v41, v32
	v_mul_u32_u24_e32 v42, 0x10001, v18
	v_and_b32_e32 v18, 0xffff, v20
	v_pk_fma_f16 v29, v17, v38, v29
	v_pk_fma_f16 v31, v17, v39, v31
	;; [unrolled: 1-line block ×4, first 2 shown]
	v_mul_u32_u24_e32 v43, 0x10001, v18
	v_and_b32_e32 v18, 0xffff, v21
	s_delay_alu instid0(VALU_DEP_2) | instskip(NEXT) | instid1(VALU_DEP_2)
	v_pk_fma_f16 v30, v17, v43, v30
	v_mul_u32_u24_e32 v44, 0x10001, v18
	ds_load_b128 v[18:21], v143 offset:1136
	v_pk_fma_f16 v33, v17, v44, v33
	s_wait_dscnt 0x0
	v_dual_lshrrev_b32 v45, 16, v18 :: v_dual_lshrrev_b32 v46, 16, v19
	v_dual_lshrrev_b32 v47, 16, v20 :: v_dual_lshrrev_b32 v48, 16, v21
	v_and_b32_e32 v18, 0xffff, v18
	v_and_b32_e32 v19, 0xffff, v19
	;; [unrolled: 1-line block ×4, first 2 shown]
	v_mul_u32_u24_e32 v45, 0x10001, v45
	v_mul_u32_u24_e32 v18, 0x10001, v18
	;; [unrolled: 1-line block ×8, first 2 shown]
	v_pk_fma_f16 v35, v17, v18, v35
	v_pk_fma_f16 v26, v17, v45, v26
	;; [unrolled: 1-line block ×8, first 2 shown]
	ds_load_2addr_b32 v[16:17], v146 offset1:32
	ds_load_b128 v[18:21], v143 offset:128
	s_wait_dscnt 0x0
	v_dual_lshrrev_b32 v38, 16, v18 :: v_dual_lshrrev_b32 v39, 16, v19
	v_and_b32_e32 v18, 0xffff, v18
	v_dual_lshrrev_b32 v40, 16, v20 :: v_dual_lshrrev_b32 v41, 16, v21
	s_delay_alu instid0(VALU_DEP_3) | instskip(NEXT) | instid1(VALU_DEP_4)
	v_mul_u32_u24_e32 v38, 0x10001, v38
	v_mul_u32_u24_e32 v39, 0x10001, v39
	s_delay_alu instid0(VALU_DEP_4)
	v_mul_u32_u24_e32 v42, 0x10001, v18
	v_and_b32_e32 v18, 0xffff, v19
	v_mul_u32_u24_e32 v40, 0x10001, v40
	v_mul_u32_u24_e32 v41, 0x10001, v41
	v_pk_fma_f16 v24, v16, v38, v24
	v_pk_fma_f16 v32, v16, v42, v32
	v_mul_u32_u24_e32 v43, 0x10001, v18
	v_and_b32_e32 v18, 0xffff, v20
	v_pk_fma_f16 v29, v16, v39, v29
	v_pk_fma_f16 v31, v16, v40, v31
	;; [unrolled: 1-line block ×4, first 2 shown]
	v_mul_u32_u24_e32 v44, 0x10001, v18
	v_and_b32_e32 v18, 0xffff, v21
	s_delay_alu instid0(VALU_DEP_2) | instskip(NEXT) | instid1(VALU_DEP_2)
	v_pk_fma_f16 v30, v16, v44, v30
	v_mul_u32_u24_e32 v45, 0x10001, v18
	ds_load_b128 v[18:21], v143 offset:1152
	v_pk_fma_f16 v33, v16, v45, v33
	s_wait_dscnt 0x0
	v_dual_lshrrev_b32 v46, 16, v18 :: v_dual_lshrrev_b32 v47, 16, v19
	v_dual_lshrrev_b32 v48, 16, v20 :: v_dual_lshrrev_b32 v49, 16, v21
	v_and_b32_e32 v18, 0xffff, v18
	v_and_b32_e32 v19, 0xffff, v19
	;; [unrolled: 1-line block ×4, first 2 shown]
	v_mul_u32_u24_e32 v46, 0x10001, v46
	v_mul_u32_u24_e32 v18, 0x10001, v18
	;; [unrolled: 1-line block ×8, first 2 shown]
	v_pk_fma_f16 v35, v16, v18, v35
	v_pk_fma_f16 v36, v16, v19, v36
	;; [unrolled: 1-line block ×4, first 2 shown]
	ds_load_b128 v[18:21], v143 offset:144
	v_pk_fma_f16 v26, v16, v46, v26
	v_pk_fma_f16 v27, v16, v47, v27
	;; [unrolled: 1-line block ×4, first 2 shown]
	s_wait_dscnt 0x0
	v_dual_lshrrev_b32 v37, 16, v18 :: v_dual_lshrrev_b32 v38, 16, v19
	v_and_b32_e32 v18, 0xffff, v18
	v_dual_lshrrev_b32 v39, 16, v20 :: v_dual_lshrrev_b32 v40, 16, v21
	s_delay_alu instid0(VALU_DEP_3) | instskip(NEXT) | instid1(VALU_DEP_4)
	v_mul_u32_u24_e32 v37, 0x10001, v37
	v_mul_u32_u24_e32 v38, 0x10001, v38
	s_delay_alu instid0(VALU_DEP_4)
	v_mul_u32_u24_e32 v41, 0x10001, v18
	v_and_b32_e32 v18, 0xffff, v19
	v_mul_u32_u24_e32 v39, 0x10001, v39
	v_mul_u32_u24_e32 v40, 0x10001, v40
	v_pk_fma_f16 v24, v17, v37, v24
	v_pk_fma_f16 v32, v17, v41, v32
	v_mul_u32_u24_e32 v42, 0x10001, v18
	v_and_b32_e32 v18, 0xffff, v20
	v_pk_fma_f16 v29, v17, v38, v29
	v_pk_fma_f16 v31, v17, v39, v31
	;; [unrolled: 1-line block ×4, first 2 shown]
	v_mul_u32_u24_e32 v43, 0x10001, v18
	v_and_b32_e32 v18, 0xffff, v21
	s_delay_alu instid0(VALU_DEP_2) | instskip(NEXT) | instid1(VALU_DEP_2)
	v_pk_fma_f16 v30, v17, v43, v30
	v_mul_u32_u24_e32 v44, 0x10001, v18
	ds_load_b128 v[18:21], v143 offset:1168
	v_pk_fma_f16 v33, v17, v44, v33
	s_wait_dscnt 0x0
	v_dual_lshrrev_b32 v45, 16, v18 :: v_dual_lshrrev_b32 v46, 16, v19
	v_dual_lshrrev_b32 v47, 16, v20 :: v_dual_lshrrev_b32 v48, 16, v21
	v_and_b32_e32 v18, 0xffff, v18
	v_and_b32_e32 v19, 0xffff, v19
	;; [unrolled: 1-line block ×4, first 2 shown]
	v_mul_u32_u24_e32 v45, 0x10001, v45
	v_mul_u32_u24_e32 v18, 0x10001, v18
	;; [unrolled: 1-line block ×8, first 2 shown]
	v_pk_fma_f16 v35, v17, v18, v35
	v_pk_fma_f16 v26, v17, v45, v26
	;; [unrolled: 1-line block ×8, first 2 shown]
	ds_load_2addr_b32 v[16:17], v146 offset0:64 offset1:96
	ds_load_b128 v[18:21], v143 offset:160
	s_wait_dscnt 0x0
	v_dual_lshrrev_b32 v38, 16, v18 :: v_dual_lshrrev_b32 v39, 16, v19
	v_and_b32_e32 v18, 0xffff, v18
	v_dual_lshrrev_b32 v40, 16, v20 :: v_dual_lshrrev_b32 v41, 16, v21
	s_delay_alu instid0(VALU_DEP_3) | instskip(NEXT) | instid1(VALU_DEP_4)
	v_mul_u32_u24_e32 v38, 0x10001, v38
	v_mul_u32_u24_e32 v39, 0x10001, v39
	s_delay_alu instid0(VALU_DEP_4)
	v_mul_u32_u24_e32 v42, 0x10001, v18
	v_and_b32_e32 v18, 0xffff, v19
	v_mul_u32_u24_e32 v40, 0x10001, v40
	v_mul_u32_u24_e32 v41, 0x10001, v41
	v_pk_fma_f16 v24, v16, v38, v24
	v_pk_fma_f16 v32, v16, v42, v32
	v_mul_u32_u24_e32 v43, 0x10001, v18
	v_and_b32_e32 v18, 0xffff, v20
	v_pk_fma_f16 v29, v16, v39, v29
	v_pk_fma_f16 v31, v16, v40, v31
	;; [unrolled: 1-line block ×4, first 2 shown]
	v_mul_u32_u24_e32 v44, 0x10001, v18
	v_and_b32_e32 v18, 0xffff, v21
	s_delay_alu instid0(VALU_DEP_2) | instskip(NEXT) | instid1(VALU_DEP_2)
	v_pk_fma_f16 v30, v16, v44, v30
	v_mul_u32_u24_e32 v45, 0x10001, v18
	ds_load_b128 v[18:21], v143 offset:1184
	v_pk_fma_f16 v33, v16, v45, v33
	s_wait_dscnt 0x0
	v_dual_lshrrev_b32 v46, 16, v18 :: v_dual_lshrrev_b32 v47, 16, v19
	v_dual_lshrrev_b32 v48, 16, v20 :: v_dual_lshrrev_b32 v49, 16, v21
	v_and_b32_e32 v18, 0xffff, v18
	v_and_b32_e32 v19, 0xffff, v19
	;; [unrolled: 1-line block ×4, first 2 shown]
	v_mul_u32_u24_e32 v46, 0x10001, v46
	v_mul_u32_u24_e32 v18, 0x10001, v18
	;; [unrolled: 1-line block ×8, first 2 shown]
	v_pk_fma_f16 v35, v16, v18, v35
	v_pk_fma_f16 v36, v16, v19, v36
	;; [unrolled: 1-line block ×4, first 2 shown]
	ds_load_b128 v[18:21], v143 offset:176
	v_pk_fma_f16 v26, v16, v46, v26
	v_pk_fma_f16 v27, v16, v47, v27
	;; [unrolled: 1-line block ×4, first 2 shown]
	s_wait_dscnt 0x0
	v_dual_lshrrev_b32 v37, 16, v18 :: v_dual_lshrrev_b32 v38, 16, v19
	v_and_b32_e32 v18, 0xffff, v18
	v_dual_lshrrev_b32 v39, 16, v20 :: v_dual_lshrrev_b32 v40, 16, v21
	s_delay_alu instid0(VALU_DEP_3) | instskip(NEXT) | instid1(VALU_DEP_4)
	v_mul_u32_u24_e32 v37, 0x10001, v37
	v_mul_u32_u24_e32 v38, 0x10001, v38
	s_delay_alu instid0(VALU_DEP_4)
	v_mul_u32_u24_e32 v41, 0x10001, v18
	v_and_b32_e32 v18, 0xffff, v19
	v_mul_u32_u24_e32 v39, 0x10001, v39
	v_mul_u32_u24_e32 v40, 0x10001, v40
	v_pk_fma_f16 v24, v17, v37, v24
	v_pk_fma_f16 v32, v17, v41, v32
	v_mul_u32_u24_e32 v42, 0x10001, v18
	v_and_b32_e32 v18, 0xffff, v20
	v_pk_fma_f16 v29, v17, v38, v29
	v_pk_fma_f16 v31, v17, v39, v31
	;; [unrolled: 1-line block ×4, first 2 shown]
	v_mul_u32_u24_e32 v43, 0x10001, v18
	v_and_b32_e32 v18, 0xffff, v21
	s_delay_alu instid0(VALU_DEP_2) | instskip(NEXT) | instid1(VALU_DEP_2)
	v_pk_fma_f16 v30, v17, v43, v30
	v_mul_u32_u24_e32 v44, 0x10001, v18
	ds_load_b128 v[18:21], v143 offset:1200
	v_pk_fma_f16 v33, v17, v44, v33
	s_wait_dscnt 0x0
	v_dual_lshrrev_b32 v45, 16, v18 :: v_dual_lshrrev_b32 v46, 16, v19
	v_dual_lshrrev_b32 v47, 16, v20 :: v_dual_lshrrev_b32 v48, 16, v21
	v_and_b32_e32 v18, 0xffff, v18
	v_and_b32_e32 v19, 0xffff, v19
	;; [unrolled: 1-line block ×4, first 2 shown]
	v_mul_u32_u24_e32 v45, 0x10001, v45
	v_mul_u32_u24_e32 v18, 0x10001, v18
	;; [unrolled: 1-line block ×8, first 2 shown]
	v_pk_fma_f16 v35, v17, v18, v35
	v_pk_fma_f16 v26, v17, v45, v26
	;; [unrolled: 1-line block ×8, first 2 shown]
	ds_load_2addr_b32 v[16:17], v146 offset0:128 offset1:160
	ds_load_b128 v[18:21], v143 offset:192
	s_wait_dscnt 0x0
	v_dual_lshrrev_b32 v38, 16, v18 :: v_dual_lshrrev_b32 v39, 16, v19
	v_and_b32_e32 v18, 0xffff, v18
	v_dual_lshrrev_b32 v40, 16, v20 :: v_dual_lshrrev_b32 v41, 16, v21
	s_delay_alu instid0(VALU_DEP_3) | instskip(NEXT) | instid1(VALU_DEP_4)
	v_mul_u32_u24_e32 v38, 0x10001, v38
	v_mul_u32_u24_e32 v39, 0x10001, v39
	s_delay_alu instid0(VALU_DEP_4)
	v_mul_u32_u24_e32 v42, 0x10001, v18
	v_and_b32_e32 v18, 0xffff, v19
	v_mul_u32_u24_e32 v40, 0x10001, v40
	v_mul_u32_u24_e32 v41, 0x10001, v41
	v_pk_fma_f16 v24, v16, v38, v24
	v_pk_fma_f16 v32, v16, v42, v32
	v_mul_u32_u24_e32 v43, 0x10001, v18
	v_and_b32_e32 v18, 0xffff, v20
	v_pk_fma_f16 v29, v16, v39, v29
	v_pk_fma_f16 v31, v16, v40, v31
	;; [unrolled: 1-line block ×4, first 2 shown]
	v_mul_u32_u24_e32 v44, 0x10001, v18
	v_and_b32_e32 v18, 0xffff, v21
	s_delay_alu instid0(VALU_DEP_2) | instskip(NEXT) | instid1(VALU_DEP_2)
	v_pk_fma_f16 v30, v16, v44, v30
	v_mul_u32_u24_e32 v45, 0x10001, v18
	ds_load_b128 v[18:21], v143 offset:1216
	v_pk_fma_f16 v33, v16, v45, v33
	s_wait_dscnt 0x0
	v_dual_lshrrev_b32 v46, 16, v18 :: v_dual_lshrrev_b32 v47, 16, v19
	v_dual_lshrrev_b32 v48, 16, v20 :: v_dual_lshrrev_b32 v49, 16, v21
	v_and_b32_e32 v18, 0xffff, v18
	v_and_b32_e32 v19, 0xffff, v19
	;; [unrolled: 1-line block ×4, first 2 shown]
	v_mul_u32_u24_e32 v46, 0x10001, v46
	v_mul_u32_u24_e32 v18, 0x10001, v18
	;; [unrolled: 1-line block ×8, first 2 shown]
	v_pk_fma_f16 v35, v16, v18, v35
	v_pk_fma_f16 v36, v16, v19, v36
	;; [unrolled: 1-line block ×4, first 2 shown]
	ds_load_b128 v[18:21], v143 offset:208
	v_pk_fma_f16 v26, v16, v46, v26
	v_pk_fma_f16 v27, v16, v47, v27
	;; [unrolled: 1-line block ×4, first 2 shown]
	s_wait_dscnt 0x0
	v_dual_lshrrev_b32 v37, 16, v18 :: v_dual_lshrrev_b32 v38, 16, v19
	v_and_b32_e32 v18, 0xffff, v18
	v_dual_lshrrev_b32 v39, 16, v20 :: v_dual_lshrrev_b32 v40, 16, v21
	s_delay_alu instid0(VALU_DEP_3) | instskip(NEXT) | instid1(VALU_DEP_4)
	v_mul_u32_u24_e32 v37, 0x10001, v37
	v_mul_u32_u24_e32 v38, 0x10001, v38
	s_delay_alu instid0(VALU_DEP_4)
	v_mul_u32_u24_e32 v41, 0x10001, v18
	v_and_b32_e32 v18, 0xffff, v19
	v_mul_u32_u24_e32 v39, 0x10001, v39
	v_mul_u32_u24_e32 v40, 0x10001, v40
	v_pk_fma_f16 v24, v17, v37, v24
	v_pk_fma_f16 v32, v17, v41, v32
	v_mul_u32_u24_e32 v42, 0x10001, v18
	v_and_b32_e32 v18, 0xffff, v20
	v_pk_fma_f16 v29, v17, v38, v29
	v_pk_fma_f16 v31, v17, v39, v31
	;; [unrolled: 1-line block ×4, first 2 shown]
	v_mul_u32_u24_e32 v43, 0x10001, v18
	v_and_b32_e32 v18, 0xffff, v21
	s_delay_alu instid0(VALU_DEP_2) | instskip(NEXT) | instid1(VALU_DEP_2)
	v_pk_fma_f16 v30, v17, v43, v30
	v_mul_u32_u24_e32 v44, 0x10001, v18
	ds_load_b128 v[18:21], v143 offset:1232
	v_pk_fma_f16 v33, v17, v44, v33
	s_wait_dscnt 0x0
	v_dual_lshrrev_b32 v45, 16, v18 :: v_dual_lshrrev_b32 v46, 16, v19
	v_dual_lshrrev_b32 v47, 16, v20 :: v_dual_lshrrev_b32 v48, 16, v21
	v_and_b32_e32 v18, 0xffff, v18
	v_and_b32_e32 v19, 0xffff, v19
	;; [unrolled: 1-line block ×4, first 2 shown]
	v_mul_u32_u24_e32 v45, 0x10001, v45
	v_mul_u32_u24_e32 v18, 0x10001, v18
	;; [unrolled: 1-line block ×8, first 2 shown]
	v_pk_fma_f16 v35, v17, v18, v35
	v_pk_fma_f16 v26, v17, v45, v26
	;; [unrolled: 1-line block ×8, first 2 shown]
	ds_load_2addr_b32 v[16:17], v146 offset0:192 offset1:224
	ds_load_b128 v[18:21], v143 offset:224
	s_wait_dscnt 0x0
	v_dual_lshrrev_b32 v38, 16, v18 :: v_dual_lshrrev_b32 v39, 16, v19
	v_and_b32_e32 v18, 0xffff, v18
	v_dual_lshrrev_b32 v40, 16, v20 :: v_dual_lshrrev_b32 v41, 16, v21
	s_delay_alu instid0(VALU_DEP_3) | instskip(NEXT) | instid1(VALU_DEP_4)
	v_mul_u32_u24_e32 v38, 0x10001, v38
	v_mul_u32_u24_e32 v39, 0x10001, v39
	s_delay_alu instid0(VALU_DEP_4)
	v_mul_u32_u24_e32 v42, 0x10001, v18
	v_and_b32_e32 v18, 0xffff, v19
	v_mul_u32_u24_e32 v40, 0x10001, v40
	v_mul_u32_u24_e32 v41, 0x10001, v41
	v_pk_fma_f16 v24, v16, v38, v24
	v_pk_fma_f16 v32, v16, v42, v32
	v_mul_u32_u24_e32 v43, 0x10001, v18
	v_and_b32_e32 v18, 0xffff, v20
	v_pk_fma_f16 v29, v16, v39, v29
	v_pk_fma_f16 v31, v16, v40, v31
	;; [unrolled: 1-line block ×4, first 2 shown]
	v_mul_u32_u24_e32 v44, 0x10001, v18
	v_and_b32_e32 v18, 0xffff, v21
	s_delay_alu instid0(VALU_DEP_2) | instskip(NEXT) | instid1(VALU_DEP_2)
	v_pk_fma_f16 v30, v16, v44, v30
	v_mul_u32_u24_e32 v45, 0x10001, v18
	ds_load_b128 v[18:21], v143 offset:1248
	v_pk_fma_f16 v33, v16, v45, v33
	s_wait_dscnt 0x0
	v_dual_lshrrev_b32 v46, 16, v18 :: v_dual_lshrrev_b32 v47, 16, v19
	v_dual_lshrrev_b32 v48, 16, v20 :: v_dual_lshrrev_b32 v49, 16, v21
	v_and_b32_e32 v18, 0xffff, v18
	v_and_b32_e32 v19, 0xffff, v19
	;; [unrolled: 1-line block ×4, first 2 shown]
	v_mul_u32_u24_e32 v46, 0x10001, v46
	v_mul_u32_u24_e32 v18, 0x10001, v18
	v_mul_u32_u24_e32 v19, 0x10001, v19
	v_mul_u32_u24_e32 v20, 0x10001, v20
	v_mul_u32_u24_e32 v21, 0x10001, v21
	v_mul_u32_u24_e32 v47, 0x10001, v47
	v_mul_u32_u24_e32 v48, 0x10001, v48
	v_mul_u32_u24_e32 v49, 0x10001, v49
	v_pk_fma_f16 v35, v16, v18, v35
	v_pk_fma_f16 v36, v16, v19, v36
	;; [unrolled: 1-line block ×4, first 2 shown]
	ds_load_b128 v[18:21], v143 offset:240
	v_pk_fma_f16 v26, v16, v46, v26
	v_pk_fma_f16 v27, v16, v47, v27
	;; [unrolled: 1-line block ×4, first 2 shown]
	s_wait_dscnt 0x0
	v_dual_lshrrev_b32 v37, 16, v18 :: v_dual_lshrrev_b32 v38, 16, v19
	v_and_b32_e32 v18, 0xffff, v18
	v_dual_lshrrev_b32 v39, 16, v20 :: v_dual_lshrrev_b32 v40, 16, v21
	s_delay_alu instid0(VALU_DEP_3) | instskip(NEXT) | instid1(VALU_DEP_4)
	v_mul_u32_u24_e32 v37, 0x10001, v37
	v_mul_u32_u24_e32 v38, 0x10001, v38
	s_delay_alu instid0(VALU_DEP_4)
	v_mul_u32_u24_e32 v41, 0x10001, v18
	v_and_b32_e32 v18, 0xffff, v19
	v_mul_u32_u24_e32 v39, 0x10001, v39
	v_mul_u32_u24_e32 v40, 0x10001, v40
	v_pk_fma_f16 v24, v17, v37, v24
	v_pk_fma_f16 v32, v17, v41, v32
	v_mul_u32_u24_e32 v42, 0x10001, v18
	v_and_b32_e32 v18, 0xffff, v20
	v_pk_fma_f16 v29, v17, v38, v29
	v_pk_fma_f16 v31, v17, v39, v31
	;; [unrolled: 1-line block ×4, first 2 shown]
	v_mul_u32_u24_e32 v43, 0x10001, v18
	v_and_b32_e32 v18, 0xffff, v21
	s_delay_alu instid0(VALU_DEP_2) | instskip(NEXT) | instid1(VALU_DEP_2)
	v_pk_fma_f16 v30, v17, v43, v30
	v_mul_u32_u24_e32 v44, 0x10001, v18
	ds_load_b128 v[18:21], v143 offset:1264
	v_pk_fma_f16 v33, v17, v44, v33
	s_wait_dscnt 0x0
	v_dual_lshrrev_b32 v45, 16, v18 :: v_dual_lshrrev_b32 v46, 16, v19
	v_dual_lshrrev_b32 v47, 16, v20 :: v_dual_lshrrev_b32 v48, 16, v21
	v_and_b32_e32 v18, 0xffff, v18
	v_and_b32_e32 v19, 0xffff, v19
	;; [unrolled: 1-line block ×4, first 2 shown]
	v_mul_u32_u24_e32 v45, 0x10001, v45
	v_mul_u32_u24_e32 v18, 0x10001, v18
	v_mul_u32_u24_e32 v19, 0x10001, v19
	v_mul_u32_u24_e32 v46, 0x10001, v46
	v_mul_u32_u24_e32 v20, 0x10001, v20
	v_mul_u32_u24_e32 v47, 0x10001, v47
	v_mul_u32_u24_e32 v21, 0x10001, v21
	v_mul_u32_u24_e32 v48, 0x10001, v48
	v_pk_fma_f16 v35, v17, v18, v35
	v_pk_fma_f16 v26, v17, v45, v26
	;; [unrolled: 1-line block ×8, first 2 shown]
	ds_load_2addr_b32 v[20:21], v147 offset1:32
	ds_load_b128 v[16:19], v143 offset:256
	s_wait_dscnt 0x0
	v_dual_lshrrev_b32 v38, 16, v16 :: v_dual_lshrrev_b32 v39, 16, v17
	v_and_b32_e32 v16, 0xffff, v16
	v_dual_lshrrev_b32 v40, 16, v18 :: v_dual_lshrrev_b32 v41, 16, v19
	s_delay_alu instid0(VALU_DEP_3) | instskip(NEXT) | instid1(VALU_DEP_4)
	v_mul_u32_u24_e32 v38, 0x10001, v38
	v_mul_u32_u24_e32 v39, 0x10001, v39
	s_delay_alu instid0(VALU_DEP_4)
	v_mul_u32_u24_e32 v42, 0x10001, v16
	v_and_b32_e32 v16, 0xffff, v17
	v_mul_u32_u24_e32 v40, 0x10001, v40
	v_mul_u32_u24_e32 v41, 0x10001, v41
	v_pk_fma_f16 v24, v20, v38, v24
	v_pk_fma_f16 v32, v20, v42, v32
	v_mul_u32_u24_e32 v43, 0x10001, v16
	v_and_b32_e32 v16, 0xffff, v18
	v_pk_fma_f16 v29, v20, v39, v29
	v_pk_fma_f16 v31, v20, v40, v31
	;; [unrolled: 1-line block ×4, first 2 shown]
	v_mul_u32_u24_e32 v44, 0x10001, v16
	v_and_b32_e32 v16, 0xffff, v19
	s_delay_alu instid0(VALU_DEP_2) | instskip(NEXT) | instid1(VALU_DEP_2)
	v_pk_fma_f16 v30, v20, v44, v30
	v_mul_u32_u24_e32 v45, 0x10001, v16
	ds_load_b128 v[16:19], v143 offset:1280
	v_pk_fma_f16 v33, v20, v45, v33
	s_wait_dscnt 0x0
	v_dual_lshrrev_b32 v46, 16, v16 :: v_dual_lshrrev_b32 v47, 16, v17
	v_dual_lshrrev_b32 v48, 16, v18 :: v_dual_lshrrev_b32 v49, 16, v19
	v_and_b32_e32 v16, 0xffff, v16
	v_and_b32_e32 v17, 0xffff, v17
	;; [unrolled: 1-line block ×4, first 2 shown]
	v_mul_u32_u24_e32 v46, 0x10001, v46
	v_mul_u32_u24_e32 v16, 0x10001, v16
	;; [unrolled: 1-line block ×8, first 2 shown]
	v_pk_fma_f16 v35, v20, v16, v35
	v_pk_fma_f16 v36, v20, v17, v36
	;; [unrolled: 1-line block ×4, first 2 shown]
	ds_load_b128 v[16:19], v143 offset:272
	v_pk_fma_f16 v26, v20, v46, v26
	v_pk_fma_f16 v27, v20, v47, v27
	v_pk_fma_f16 v28, v20, v48, v28
	v_pk_fma_f16 v20, v20, v49, v37
	s_wait_dscnt 0x0
	v_dual_lshrrev_b32 v37, 16, v16 :: v_dual_lshrrev_b32 v38, 16, v17
	v_and_b32_e32 v16, 0xffff, v16
	v_dual_lshrrev_b32 v39, 16, v18 :: v_dual_lshrrev_b32 v40, 16, v19
	s_delay_alu instid0(VALU_DEP_3) | instskip(NEXT) | instid1(VALU_DEP_4)
	v_mul_u32_u24_e32 v37, 0x10001, v37
	v_mul_u32_u24_e32 v38, 0x10001, v38
	s_delay_alu instid0(VALU_DEP_4)
	v_mul_u32_u24_e32 v41, 0x10001, v16
	v_and_b32_e32 v16, 0xffff, v17
	v_mul_u32_u24_e32 v39, 0x10001, v39
	v_mul_u32_u24_e32 v40, 0x10001, v40
	v_pk_fma_f16 v24, v21, v37, v24
	v_pk_fma_f16 v32, v21, v41, v32
	v_mul_u32_u24_e32 v42, 0x10001, v16
	v_and_b32_e32 v16, 0xffff, v18
	v_pk_fma_f16 v29, v21, v38, v29
	v_pk_fma_f16 v31, v21, v39, v31
	;; [unrolled: 1-line block ×4, first 2 shown]
	v_mul_u32_u24_e32 v43, 0x10001, v16
	v_and_b32_e32 v16, 0xffff, v19
	s_delay_alu instid0(VALU_DEP_2) | instskip(NEXT) | instid1(VALU_DEP_2)
	v_pk_fma_f16 v30, v21, v43, v30
	v_mul_u32_u24_e32 v44, 0x10001, v16
	ds_load_b128 v[16:19], v143 offset:1296
	v_pk_fma_f16 v33, v21, v44, v33
	s_wait_dscnt 0x0
	v_dual_lshrrev_b32 v45, 16, v16 :: v_dual_lshrrev_b32 v46, 16, v17
	v_dual_lshrrev_b32 v47, 16, v18 :: v_dual_lshrrev_b32 v48, 16, v19
	v_and_b32_e32 v16, 0xffff, v16
	v_and_b32_e32 v17, 0xffff, v17
	;; [unrolled: 1-line block ×4, first 2 shown]
	v_mul_u32_u24_e32 v45, 0x10001, v45
	v_mul_u32_u24_e32 v16, 0x10001, v16
	;; [unrolled: 1-line block ×8, first 2 shown]
	v_pk_fma_f16 v35, v21, v16, v35
	v_pk_fma_f16 v26, v21, v45, v26
	;; [unrolled: 1-line block ×8, first 2 shown]
	ds_load_2addr_b32 v[20:21], v147 offset0:64 offset1:96
	ds_load_b128 v[16:19], v143 offset:288
	s_wait_dscnt 0x0
	v_dual_lshrrev_b32 v38, 16, v16 :: v_dual_lshrrev_b32 v39, 16, v17
	v_and_b32_e32 v16, 0xffff, v16
	v_dual_lshrrev_b32 v40, 16, v18 :: v_dual_lshrrev_b32 v41, 16, v19
	s_delay_alu instid0(VALU_DEP_3) | instskip(NEXT) | instid1(VALU_DEP_4)
	v_mul_u32_u24_e32 v38, 0x10001, v38
	v_mul_u32_u24_e32 v39, 0x10001, v39
	s_delay_alu instid0(VALU_DEP_4)
	v_mul_u32_u24_e32 v42, 0x10001, v16
	v_and_b32_e32 v16, 0xffff, v17
	v_mul_u32_u24_e32 v40, 0x10001, v40
	v_mul_u32_u24_e32 v41, 0x10001, v41
	v_pk_fma_f16 v24, v20, v38, v24
	v_pk_fma_f16 v32, v20, v42, v32
	v_mul_u32_u24_e32 v43, 0x10001, v16
	v_and_b32_e32 v16, 0xffff, v18
	v_pk_fma_f16 v29, v20, v39, v29
	v_pk_fma_f16 v31, v20, v40, v31
	;; [unrolled: 1-line block ×4, first 2 shown]
	v_mul_u32_u24_e32 v44, 0x10001, v16
	v_and_b32_e32 v16, 0xffff, v19
	s_delay_alu instid0(VALU_DEP_2) | instskip(NEXT) | instid1(VALU_DEP_2)
	v_pk_fma_f16 v30, v20, v44, v30
	v_mul_u32_u24_e32 v45, 0x10001, v16
	ds_load_b128 v[16:19], v143 offset:1312
	v_pk_fma_f16 v33, v20, v45, v33
	s_wait_dscnt 0x0
	v_dual_lshrrev_b32 v46, 16, v16 :: v_dual_lshrrev_b32 v47, 16, v17
	v_dual_lshrrev_b32 v48, 16, v18 :: v_dual_lshrrev_b32 v49, 16, v19
	v_and_b32_e32 v16, 0xffff, v16
	v_and_b32_e32 v17, 0xffff, v17
	;; [unrolled: 1-line block ×4, first 2 shown]
	v_mul_u32_u24_e32 v46, 0x10001, v46
	v_mul_u32_u24_e32 v16, 0x10001, v16
	;; [unrolled: 1-line block ×8, first 2 shown]
	v_pk_fma_f16 v35, v20, v16, v35
	v_pk_fma_f16 v36, v20, v17, v36
	;; [unrolled: 1-line block ×4, first 2 shown]
	ds_load_b128 v[16:19], v143 offset:304
	v_pk_fma_f16 v26, v20, v46, v26
	v_pk_fma_f16 v27, v20, v47, v27
	v_pk_fma_f16 v28, v20, v48, v28
	v_pk_fma_f16 v20, v20, v49, v37
	s_wait_dscnt 0x0
	v_dual_lshrrev_b32 v37, 16, v16 :: v_dual_lshrrev_b32 v38, 16, v17
	v_and_b32_e32 v16, 0xffff, v16
	v_dual_lshrrev_b32 v39, 16, v18 :: v_dual_lshrrev_b32 v40, 16, v19
	s_delay_alu instid0(VALU_DEP_3) | instskip(NEXT) | instid1(VALU_DEP_4)
	v_mul_u32_u24_e32 v37, 0x10001, v37
	v_mul_u32_u24_e32 v38, 0x10001, v38
	s_delay_alu instid0(VALU_DEP_4)
	v_mul_u32_u24_e32 v41, 0x10001, v16
	v_and_b32_e32 v16, 0xffff, v17
	v_mul_u32_u24_e32 v39, 0x10001, v39
	v_mul_u32_u24_e32 v40, 0x10001, v40
	v_pk_fma_f16 v24, v21, v37, v24
	v_pk_fma_f16 v32, v21, v41, v32
	v_mul_u32_u24_e32 v42, 0x10001, v16
	v_and_b32_e32 v16, 0xffff, v18
	v_pk_fma_f16 v29, v21, v38, v29
	v_pk_fma_f16 v31, v21, v39, v31
	v_pk_fma_f16 v34, v21, v40, v34
	v_pk_fma_f16 v25, v21, v42, v25
	v_mul_u32_u24_e32 v43, 0x10001, v16
	v_and_b32_e32 v16, 0xffff, v19
	s_delay_alu instid0(VALU_DEP_2) | instskip(NEXT) | instid1(VALU_DEP_2)
	v_pk_fma_f16 v30, v21, v43, v30
	v_mul_u32_u24_e32 v44, 0x10001, v16
	ds_load_b128 v[16:19], v143 offset:1328
	v_pk_fma_f16 v33, v21, v44, v33
	s_wait_dscnt 0x0
	v_dual_lshrrev_b32 v45, 16, v16 :: v_dual_lshrrev_b32 v46, 16, v17
	v_dual_lshrrev_b32 v47, 16, v18 :: v_dual_lshrrev_b32 v48, 16, v19
	v_and_b32_e32 v16, 0xffff, v16
	v_and_b32_e32 v17, 0xffff, v17
	;; [unrolled: 1-line block ×4, first 2 shown]
	v_mul_u32_u24_e32 v45, 0x10001, v45
	v_mul_u32_u24_e32 v16, 0x10001, v16
	;; [unrolled: 1-line block ×8, first 2 shown]
	v_pk_fma_f16 v35, v21, v16, v35
	v_pk_fma_f16 v26, v21, v45, v26
	;; [unrolled: 1-line block ×8, first 2 shown]
	ds_load_2addr_b32 v[20:21], v147 offset0:128 offset1:160
	ds_load_b128 v[16:19], v143 offset:320
	s_wait_dscnt 0x0
	v_dual_lshrrev_b32 v38, 16, v16 :: v_dual_lshrrev_b32 v39, 16, v17
	v_and_b32_e32 v16, 0xffff, v16
	v_dual_lshrrev_b32 v40, 16, v18 :: v_dual_lshrrev_b32 v41, 16, v19
	s_delay_alu instid0(VALU_DEP_3) | instskip(NEXT) | instid1(VALU_DEP_4)
	v_mul_u32_u24_e32 v38, 0x10001, v38
	v_mul_u32_u24_e32 v39, 0x10001, v39
	s_delay_alu instid0(VALU_DEP_4)
	v_mul_u32_u24_e32 v42, 0x10001, v16
	v_and_b32_e32 v16, 0xffff, v17
	v_mul_u32_u24_e32 v40, 0x10001, v40
	v_mul_u32_u24_e32 v41, 0x10001, v41
	v_pk_fma_f16 v24, v20, v38, v24
	v_pk_fma_f16 v32, v20, v42, v32
	v_mul_u32_u24_e32 v43, 0x10001, v16
	v_and_b32_e32 v16, 0xffff, v18
	v_pk_fma_f16 v29, v20, v39, v29
	v_pk_fma_f16 v31, v20, v40, v31
	;; [unrolled: 1-line block ×4, first 2 shown]
	v_mul_u32_u24_e32 v44, 0x10001, v16
	v_and_b32_e32 v16, 0xffff, v19
	s_delay_alu instid0(VALU_DEP_2) | instskip(NEXT) | instid1(VALU_DEP_2)
	v_pk_fma_f16 v30, v20, v44, v30
	v_mul_u32_u24_e32 v45, 0x10001, v16
	ds_load_b128 v[16:19], v143 offset:1344
	v_pk_fma_f16 v33, v20, v45, v33
	s_wait_dscnt 0x0
	v_dual_lshrrev_b32 v46, 16, v16 :: v_dual_lshrrev_b32 v47, 16, v17
	v_dual_lshrrev_b32 v48, 16, v18 :: v_dual_lshrrev_b32 v49, 16, v19
	v_and_b32_e32 v16, 0xffff, v16
	v_and_b32_e32 v17, 0xffff, v17
	;; [unrolled: 1-line block ×4, first 2 shown]
	v_mul_u32_u24_e32 v46, 0x10001, v46
	v_mul_u32_u24_e32 v16, 0x10001, v16
	;; [unrolled: 1-line block ×8, first 2 shown]
	v_pk_fma_f16 v35, v20, v16, v35
	v_pk_fma_f16 v36, v20, v17, v36
	;; [unrolled: 1-line block ×4, first 2 shown]
	ds_load_b128 v[16:19], v143 offset:336
	v_pk_fma_f16 v26, v20, v46, v26
	v_pk_fma_f16 v27, v20, v47, v27
	;; [unrolled: 1-line block ×4, first 2 shown]
	s_wait_dscnt 0x0
	v_dual_lshrrev_b32 v37, 16, v16 :: v_dual_lshrrev_b32 v38, 16, v17
	v_and_b32_e32 v16, 0xffff, v16
	v_dual_lshrrev_b32 v39, 16, v18 :: v_dual_lshrrev_b32 v40, 16, v19
	s_delay_alu instid0(VALU_DEP_3) | instskip(NEXT) | instid1(VALU_DEP_4)
	v_mul_u32_u24_e32 v37, 0x10001, v37
	v_mul_u32_u24_e32 v38, 0x10001, v38
	s_delay_alu instid0(VALU_DEP_4)
	v_mul_u32_u24_e32 v41, 0x10001, v16
	v_and_b32_e32 v16, 0xffff, v17
	v_mul_u32_u24_e32 v39, 0x10001, v39
	v_mul_u32_u24_e32 v40, 0x10001, v40
	v_pk_fma_f16 v24, v21, v37, v24
	v_pk_fma_f16 v32, v21, v41, v32
	v_mul_u32_u24_e32 v42, 0x10001, v16
	v_and_b32_e32 v16, 0xffff, v18
	v_pk_fma_f16 v29, v21, v38, v29
	v_pk_fma_f16 v31, v21, v39, v31
	;; [unrolled: 1-line block ×4, first 2 shown]
	v_mul_u32_u24_e32 v43, 0x10001, v16
	v_and_b32_e32 v16, 0xffff, v19
	s_delay_alu instid0(VALU_DEP_2) | instskip(NEXT) | instid1(VALU_DEP_2)
	v_pk_fma_f16 v30, v21, v43, v30
	v_mul_u32_u24_e32 v44, 0x10001, v16
	ds_load_b128 v[16:19], v143 offset:1360
	v_pk_fma_f16 v33, v21, v44, v33
	s_wait_dscnt 0x0
	v_dual_lshrrev_b32 v45, 16, v16 :: v_dual_lshrrev_b32 v46, 16, v17
	v_dual_lshrrev_b32 v47, 16, v18 :: v_dual_lshrrev_b32 v48, 16, v19
	v_and_b32_e32 v16, 0xffff, v16
	v_and_b32_e32 v17, 0xffff, v17
	;; [unrolled: 1-line block ×4, first 2 shown]
	v_mul_u32_u24_e32 v45, 0x10001, v45
	v_mul_u32_u24_e32 v16, 0x10001, v16
	;; [unrolled: 1-line block ×8, first 2 shown]
	v_pk_fma_f16 v35, v21, v16, v35
	v_pk_fma_f16 v26, v21, v45, v26
	;; [unrolled: 1-line block ×8, first 2 shown]
	ds_load_2addr_b32 v[20:21], v147 offset0:192 offset1:224
	ds_load_b128 v[16:19], v143 offset:352
	s_wait_dscnt 0x0
	v_dual_lshrrev_b32 v38, 16, v16 :: v_dual_lshrrev_b32 v39, 16, v17
	v_and_b32_e32 v16, 0xffff, v16
	v_dual_lshrrev_b32 v40, 16, v18 :: v_dual_lshrrev_b32 v41, 16, v19
	s_delay_alu instid0(VALU_DEP_3) | instskip(NEXT) | instid1(VALU_DEP_4)
	v_mul_u32_u24_e32 v38, 0x10001, v38
	v_mul_u32_u24_e32 v39, 0x10001, v39
	s_delay_alu instid0(VALU_DEP_4)
	v_mul_u32_u24_e32 v42, 0x10001, v16
	v_and_b32_e32 v16, 0xffff, v17
	v_mul_u32_u24_e32 v40, 0x10001, v40
	v_mul_u32_u24_e32 v41, 0x10001, v41
	v_pk_fma_f16 v24, v20, v38, v24
	v_pk_fma_f16 v32, v20, v42, v32
	v_mul_u32_u24_e32 v43, 0x10001, v16
	v_and_b32_e32 v16, 0xffff, v18
	v_pk_fma_f16 v29, v20, v39, v29
	v_pk_fma_f16 v31, v20, v40, v31
	;; [unrolled: 1-line block ×4, first 2 shown]
	v_mul_u32_u24_e32 v44, 0x10001, v16
	v_and_b32_e32 v16, 0xffff, v19
	s_delay_alu instid0(VALU_DEP_2) | instskip(NEXT) | instid1(VALU_DEP_2)
	v_pk_fma_f16 v30, v20, v44, v30
	v_mul_u32_u24_e32 v45, 0x10001, v16
	ds_load_b128 v[16:19], v143 offset:1376
	v_pk_fma_f16 v33, v20, v45, v33
	s_wait_dscnt 0x0
	v_dual_lshrrev_b32 v46, 16, v16 :: v_dual_lshrrev_b32 v47, 16, v17
	v_dual_lshrrev_b32 v48, 16, v18 :: v_dual_lshrrev_b32 v49, 16, v19
	v_and_b32_e32 v16, 0xffff, v16
	v_and_b32_e32 v17, 0xffff, v17
	;; [unrolled: 1-line block ×4, first 2 shown]
	v_mul_u32_u24_e32 v46, 0x10001, v46
	v_mul_u32_u24_e32 v16, 0x10001, v16
	;; [unrolled: 1-line block ×8, first 2 shown]
	v_pk_fma_f16 v35, v20, v16, v35
	v_pk_fma_f16 v36, v20, v17, v36
	;; [unrolled: 1-line block ×4, first 2 shown]
	ds_load_b128 v[16:19], v143 offset:368
	v_pk_fma_f16 v26, v20, v46, v26
	v_pk_fma_f16 v27, v20, v47, v27
	;; [unrolled: 1-line block ×4, first 2 shown]
	s_wait_dscnt 0x0
	v_dual_lshrrev_b32 v37, 16, v16 :: v_dual_lshrrev_b32 v38, 16, v17
	v_and_b32_e32 v16, 0xffff, v16
	v_dual_lshrrev_b32 v39, 16, v18 :: v_dual_lshrrev_b32 v40, 16, v19
	s_delay_alu instid0(VALU_DEP_3) | instskip(NEXT) | instid1(VALU_DEP_4)
	v_mul_u32_u24_e32 v37, 0x10001, v37
	v_mul_u32_u24_e32 v38, 0x10001, v38
	s_delay_alu instid0(VALU_DEP_4)
	v_mul_u32_u24_e32 v41, 0x10001, v16
	v_and_b32_e32 v16, 0xffff, v17
	v_mul_u32_u24_e32 v39, 0x10001, v39
	v_mul_u32_u24_e32 v40, 0x10001, v40
	v_pk_fma_f16 v24, v21, v37, v24
	v_pk_fma_f16 v32, v21, v41, v32
	v_mul_u32_u24_e32 v42, 0x10001, v16
	v_and_b32_e32 v16, 0xffff, v18
	v_pk_fma_f16 v29, v21, v38, v29
	v_pk_fma_f16 v31, v21, v39, v31
	;; [unrolled: 1-line block ×4, first 2 shown]
	v_mul_u32_u24_e32 v43, 0x10001, v16
	v_and_b32_e32 v16, 0xffff, v19
	s_delay_alu instid0(VALU_DEP_2) | instskip(NEXT) | instid1(VALU_DEP_2)
	v_pk_fma_f16 v30, v21, v43, v30
	v_mul_u32_u24_e32 v44, 0x10001, v16
	ds_load_b128 v[16:19], v143 offset:1392
	v_pk_fma_f16 v33, v21, v44, v33
	s_wait_dscnt 0x0
	v_dual_lshrrev_b32 v45, 16, v16 :: v_dual_lshrrev_b32 v46, 16, v17
	v_dual_lshrrev_b32 v47, 16, v18 :: v_dual_lshrrev_b32 v48, 16, v19
	v_and_b32_e32 v16, 0xffff, v16
	v_and_b32_e32 v17, 0xffff, v17
	;; [unrolled: 1-line block ×4, first 2 shown]
	v_mul_u32_u24_e32 v45, 0x10001, v45
	v_mul_u32_u24_e32 v16, 0x10001, v16
	;; [unrolled: 1-line block ×8, first 2 shown]
	v_pk_fma_f16 v35, v21, v16, v35
	v_pk_fma_f16 v26, v21, v45, v26
	;; [unrolled: 1-line block ×8, first 2 shown]
	ds_load_2addr_b32 v[20:21], v148 offset1:32
	ds_load_b128 v[16:19], v143 offset:384
	s_wait_dscnt 0x0
	v_dual_lshrrev_b32 v38, 16, v16 :: v_dual_lshrrev_b32 v39, 16, v17
	v_and_b32_e32 v16, 0xffff, v16
	v_dual_lshrrev_b32 v40, 16, v18 :: v_dual_lshrrev_b32 v41, 16, v19
	s_delay_alu instid0(VALU_DEP_3) | instskip(NEXT) | instid1(VALU_DEP_4)
	v_mul_u32_u24_e32 v38, 0x10001, v38
	v_mul_u32_u24_e32 v39, 0x10001, v39
	s_delay_alu instid0(VALU_DEP_4)
	v_mul_u32_u24_e32 v42, 0x10001, v16
	v_and_b32_e32 v16, 0xffff, v17
	v_mul_u32_u24_e32 v40, 0x10001, v40
	v_mul_u32_u24_e32 v41, 0x10001, v41
	v_pk_fma_f16 v24, v20, v38, v24
	v_pk_fma_f16 v32, v20, v42, v32
	v_mul_u32_u24_e32 v43, 0x10001, v16
	v_and_b32_e32 v16, 0xffff, v18
	v_pk_fma_f16 v29, v20, v39, v29
	v_pk_fma_f16 v31, v20, v40, v31
	;; [unrolled: 1-line block ×4, first 2 shown]
	v_mul_u32_u24_e32 v44, 0x10001, v16
	v_and_b32_e32 v16, 0xffff, v19
	s_delay_alu instid0(VALU_DEP_2) | instskip(NEXT) | instid1(VALU_DEP_2)
	v_pk_fma_f16 v30, v20, v44, v30
	v_mul_u32_u24_e32 v45, 0x10001, v16
	ds_load_b128 v[16:19], v143 offset:1408
	v_pk_fma_f16 v33, v20, v45, v33
	s_wait_dscnt 0x0
	v_dual_lshrrev_b32 v46, 16, v16 :: v_dual_lshrrev_b32 v47, 16, v17
	v_dual_lshrrev_b32 v48, 16, v18 :: v_dual_lshrrev_b32 v49, 16, v19
	v_and_b32_e32 v16, 0xffff, v16
	v_and_b32_e32 v17, 0xffff, v17
	;; [unrolled: 1-line block ×4, first 2 shown]
	v_mul_u32_u24_e32 v46, 0x10001, v46
	v_mul_u32_u24_e32 v16, 0x10001, v16
	;; [unrolled: 1-line block ×8, first 2 shown]
	v_pk_fma_f16 v35, v20, v16, v35
	v_pk_fma_f16 v36, v20, v17, v36
	;; [unrolled: 1-line block ×4, first 2 shown]
	ds_load_b128 v[16:19], v143 offset:400
	v_pk_fma_f16 v26, v20, v46, v26
	v_pk_fma_f16 v27, v20, v47, v27
	;; [unrolled: 1-line block ×4, first 2 shown]
	s_wait_dscnt 0x0
	v_dual_lshrrev_b32 v37, 16, v16 :: v_dual_lshrrev_b32 v38, 16, v17
	v_and_b32_e32 v16, 0xffff, v16
	v_dual_lshrrev_b32 v39, 16, v18 :: v_dual_lshrrev_b32 v40, 16, v19
	s_delay_alu instid0(VALU_DEP_3) | instskip(NEXT) | instid1(VALU_DEP_4)
	v_mul_u32_u24_e32 v37, 0x10001, v37
	v_mul_u32_u24_e32 v38, 0x10001, v38
	s_delay_alu instid0(VALU_DEP_4)
	v_mul_u32_u24_e32 v41, 0x10001, v16
	v_and_b32_e32 v16, 0xffff, v17
	v_mul_u32_u24_e32 v39, 0x10001, v39
	v_mul_u32_u24_e32 v40, 0x10001, v40
	v_pk_fma_f16 v24, v21, v37, v24
	v_pk_fma_f16 v32, v21, v41, v32
	v_mul_u32_u24_e32 v42, 0x10001, v16
	v_and_b32_e32 v16, 0xffff, v18
	v_pk_fma_f16 v29, v21, v38, v29
	v_pk_fma_f16 v31, v21, v39, v31
	;; [unrolled: 1-line block ×4, first 2 shown]
	v_mul_u32_u24_e32 v43, 0x10001, v16
	v_and_b32_e32 v16, 0xffff, v19
	s_delay_alu instid0(VALU_DEP_2) | instskip(NEXT) | instid1(VALU_DEP_2)
	v_pk_fma_f16 v30, v21, v43, v30
	v_mul_u32_u24_e32 v44, 0x10001, v16
	ds_load_b128 v[16:19], v143 offset:1424
	v_pk_fma_f16 v33, v21, v44, v33
	s_wait_dscnt 0x0
	v_dual_lshrrev_b32 v45, 16, v16 :: v_dual_lshrrev_b32 v46, 16, v17
	v_dual_lshrrev_b32 v47, 16, v18 :: v_dual_lshrrev_b32 v48, 16, v19
	v_and_b32_e32 v16, 0xffff, v16
	v_and_b32_e32 v17, 0xffff, v17
	v_and_b32_e32 v18, 0xffff, v18
	v_and_b32_e32 v19, 0xffff, v19
	v_mul_u32_u24_e32 v45, 0x10001, v45
	v_mul_u32_u24_e32 v16, 0x10001, v16
	;; [unrolled: 1-line block ×8, first 2 shown]
	v_pk_fma_f16 v35, v21, v16, v35
	v_pk_fma_f16 v26, v21, v45, v26
	;; [unrolled: 1-line block ×8, first 2 shown]
	ds_load_2addr_b32 v[20:21], v148 offset0:64 offset1:96
	ds_load_b128 v[16:19], v143 offset:416
	s_wait_dscnt 0x0
	v_dual_lshrrev_b32 v38, 16, v16 :: v_dual_lshrrev_b32 v39, 16, v17
	v_and_b32_e32 v16, 0xffff, v16
	v_dual_lshrrev_b32 v40, 16, v18 :: v_dual_lshrrev_b32 v41, 16, v19
	s_delay_alu instid0(VALU_DEP_3) | instskip(NEXT) | instid1(VALU_DEP_4)
	v_mul_u32_u24_e32 v38, 0x10001, v38
	v_mul_u32_u24_e32 v39, 0x10001, v39
	s_delay_alu instid0(VALU_DEP_4)
	v_mul_u32_u24_e32 v42, 0x10001, v16
	v_and_b32_e32 v16, 0xffff, v17
	v_mul_u32_u24_e32 v40, 0x10001, v40
	v_mul_u32_u24_e32 v41, 0x10001, v41
	v_pk_fma_f16 v24, v20, v38, v24
	v_pk_fma_f16 v32, v20, v42, v32
	v_mul_u32_u24_e32 v43, 0x10001, v16
	v_and_b32_e32 v16, 0xffff, v18
	v_pk_fma_f16 v29, v20, v39, v29
	v_pk_fma_f16 v31, v20, v40, v31
	;; [unrolled: 1-line block ×4, first 2 shown]
	v_mul_u32_u24_e32 v44, 0x10001, v16
	v_and_b32_e32 v16, 0xffff, v19
	s_delay_alu instid0(VALU_DEP_2) | instskip(NEXT) | instid1(VALU_DEP_2)
	v_pk_fma_f16 v30, v20, v44, v30
	v_mul_u32_u24_e32 v45, 0x10001, v16
	ds_load_b128 v[16:19], v143 offset:1440
	v_pk_fma_f16 v33, v20, v45, v33
	s_wait_dscnt 0x0
	v_dual_lshrrev_b32 v46, 16, v16 :: v_dual_lshrrev_b32 v47, 16, v17
	v_dual_lshrrev_b32 v48, 16, v18 :: v_dual_lshrrev_b32 v49, 16, v19
	v_and_b32_e32 v16, 0xffff, v16
	v_and_b32_e32 v17, 0xffff, v17
	;; [unrolled: 1-line block ×4, first 2 shown]
	v_mul_u32_u24_e32 v46, 0x10001, v46
	v_mul_u32_u24_e32 v16, 0x10001, v16
	;; [unrolled: 1-line block ×8, first 2 shown]
	v_pk_fma_f16 v35, v20, v16, v35
	v_pk_fma_f16 v36, v20, v17, v36
	;; [unrolled: 1-line block ×4, first 2 shown]
	ds_load_b128 v[16:19], v143 offset:432
	v_pk_fma_f16 v26, v20, v46, v26
	v_pk_fma_f16 v27, v20, v47, v27
	;; [unrolled: 1-line block ×4, first 2 shown]
	s_wait_dscnt 0x0
	v_dual_lshrrev_b32 v37, 16, v16 :: v_dual_lshrrev_b32 v38, 16, v17
	v_and_b32_e32 v16, 0xffff, v16
	v_dual_lshrrev_b32 v39, 16, v18 :: v_dual_lshrrev_b32 v40, 16, v19
	s_delay_alu instid0(VALU_DEP_3) | instskip(NEXT) | instid1(VALU_DEP_4)
	v_mul_u32_u24_e32 v37, 0x10001, v37
	v_mul_u32_u24_e32 v38, 0x10001, v38
	s_delay_alu instid0(VALU_DEP_4)
	v_mul_u32_u24_e32 v41, 0x10001, v16
	v_and_b32_e32 v16, 0xffff, v17
	v_mul_u32_u24_e32 v39, 0x10001, v39
	v_mul_u32_u24_e32 v40, 0x10001, v40
	v_pk_fma_f16 v24, v21, v37, v24
	v_pk_fma_f16 v32, v21, v41, v32
	v_mul_u32_u24_e32 v42, 0x10001, v16
	v_and_b32_e32 v16, 0xffff, v18
	v_pk_fma_f16 v29, v21, v38, v29
	v_pk_fma_f16 v31, v21, v39, v31
	;; [unrolled: 1-line block ×4, first 2 shown]
	v_mul_u32_u24_e32 v43, 0x10001, v16
	v_and_b32_e32 v16, 0xffff, v19
	s_delay_alu instid0(VALU_DEP_2) | instskip(NEXT) | instid1(VALU_DEP_2)
	v_pk_fma_f16 v30, v21, v43, v30
	v_mul_u32_u24_e32 v44, 0x10001, v16
	ds_load_b128 v[16:19], v143 offset:1456
	v_pk_fma_f16 v33, v21, v44, v33
	s_wait_dscnt 0x0
	v_dual_lshrrev_b32 v45, 16, v16 :: v_dual_lshrrev_b32 v46, 16, v17
	v_dual_lshrrev_b32 v47, 16, v18 :: v_dual_lshrrev_b32 v48, 16, v19
	v_and_b32_e32 v16, 0xffff, v16
	v_and_b32_e32 v17, 0xffff, v17
	;; [unrolled: 1-line block ×4, first 2 shown]
	v_mul_u32_u24_e32 v45, 0x10001, v45
	v_mul_u32_u24_e32 v16, 0x10001, v16
	;; [unrolled: 1-line block ×8, first 2 shown]
	v_pk_fma_f16 v35, v21, v16, v35
	v_pk_fma_f16 v26, v21, v45, v26
	;; [unrolled: 1-line block ×8, first 2 shown]
	ds_load_2addr_b32 v[20:21], v148 offset0:128 offset1:160
	ds_load_b128 v[16:19], v143 offset:448
	s_wait_dscnt 0x0
	v_dual_lshrrev_b32 v38, 16, v16 :: v_dual_lshrrev_b32 v39, 16, v17
	v_and_b32_e32 v16, 0xffff, v16
	v_dual_lshrrev_b32 v40, 16, v18 :: v_dual_lshrrev_b32 v41, 16, v19
	s_delay_alu instid0(VALU_DEP_3) | instskip(NEXT) | instid1(VALU_DEP_4)
	v_mul_u32_u24_e32 v38, 0x10001, v38
	v_mul_u32_u24_e32 v39, 0x10001, v39
	s_delay_alu instid0(VALU_DEP_4)
	v_mul_u32_u24_e32 v42, 0x10001, v16
	v_and_b32_e32 v16, 0xffff, v17
	v_mul_u32_u24_e32 v40, 0x10001, v40
	v_mul_u32_u24_e32 v41, 0x10001, v41
	v_pk_fma_f16 v24, v20, v38, v24
	v_pk_fma_f16 v32, v20, v42, v32
	v_mul_u32_u24_e32 v43, 0x10001, v16
	v_and_b32_e32 v16, 0xffff, v18
	v_pk_fma_f16 v29, v20, v39, v29
	v_pk_fma_f16 v31, v20, v40, v31
	;; [unrolled: 1-line block ×4, first 2 shown]
	v_mul_u32_u24_e32 v44, 0x10001, v16
	v_and_b32_e32 v16, 0xffff, v19
	s_delay_alu instid0(VALU_DEP_2) | instskip(NEXT) | instid1(VALU_DEP_2)
	v_pk_fma_f16 v30, v20, v44, v30
	v_mul_u32_u24_e32 v45, 0x10001, v16
	ds_load_b128 v[16:19], v143 offset:1472
	v_pk_fma_f16 v33, v20, v45, v33
	s_wait_dscnt 0x0
	v_dual_lshrrev_b32 v46, 16, v16 :: v_dual_lshrrev_b32 v47, 16, v17
	v_dual_lshrrev_b32 v48, 16, v18 :: v_dual_lshrrev_b32 v49, 16, v19
	v_and_b32_e32 v16, 0xffff, v16
	v_and_b32_e32 v17, 0xffff, v17
	;; [unrolled: 1-line block ×4, first 2 shown]
	v_mul_u32_u24_e32 v46, 0x10001, v46
	v_mul_u32_u24_e32 v16, 0x10001, v16
	;; [unrolled: 1-line block ×8, first 2 shown]
	v_pk_fma_f16 v35, v20, v16, v35
	v_pk_fma_f16 v36, v20, v17, v36
	v_pk_fma_f16 v22, v20, v18, v22
	v_pk_fma_f16 v23, v20, v19, v23
	ds_load_b128 v[16:19], v143 offset:464
	v_pk_fma_f16 v26, v20, v46, v26
	v_pk_fma_f16 v27, v20, v47, v27
	;; [unrolled: 1-line block ×4, first 2 shown]
	s_wait_dscnt 0x0
	v_dual_lshrrev_b32 v37, 16, v16 :: v_dual_lshrrev_b32 v38, 16, v17
	v_and_b32_e32 v16, 0xffff, v16
	v_dual_lshrrev_b32 v39, 16, v18 :: v_dual_lshrrev_b32 v40, 16, v19
	s_delay_alu instid0(VALU_DEP_3) | instskip(NEXT) | instid1(VALU_DEP_4)
	v_mul_u32_u24_e32 v37, 0x10001, v37
	v_mul_u32_u24_e32 v38, 0x10001, v38
	s_delay_alu instid0(VALU_DEP_4)
	v_mul_u32_u24_e32 v41, 0x10001, v16
	v_and_b32_e32 v16, 0xffff, v17
	v_mul_u32_u24_e32 v39, 0x10001, v39
	v_mul_u32_u24_e32 v40, 0x10001, v40
	v_pk_fma_f16 v24, v21, v37, v24
	v_pk_fma_f16 v32, v21, v41, v32
	v_mul_u32_u24_e32 v42, 0x10001, v16
	v_and_b32_e32 v16, 0xffff, v18
	v_pk_fma_f16 v29, v21, v38, v29
	v_pk_fma_f16 v31, v21, v39, v31
	;; [unrolled: 1-line block ×4, first 2 shown]
	v_mul_u32_u24_e32 v43, 0x10001, v16
	v_and_b32_e32 v16, 0xffff, v19
	s_delay_alu instid0(VALU_DEP_2) | instskip(NEXT) | instid1(VALU_DEP_2)
	v_pk_fma_f16 v30, v21, v43, v30
	v_mul_u32_u24_e32 v44, 0x10001, v16
	ds_load_b128 v[16:19], v143 offset:1488
	v_pk_fma_f16 v33, v21, v44, v33
	s_wait_dscnt 0x0
	v_dual_lshrrev_b32 v45, 16, v16 :: v_dual_lshrrev_b32 v46, 16, v17
	v_dual_lshrrev_b32 v47, 16, v18 :: v_dual_lshrrev_b32 v48, 16, v19
	v_and_b32_e32 v16, 0xffff, v16
	v_and_b32_e32 v17, 0xffff, v17
	;; [unrolled: 1-line block ×4, first 2 shown]
	v_mul_u32_u24_e32 v45, 0x10001, v45
	v_mul_u32_u24_e32 v16, 0x10001, v16
	;; [unrolled: 1-line block ×8, first 2 shown]
	v_pk_fma_f16 v35, v21, v16, v35
	v_pk_fma_f16 v26, v21, v45, v26
	v_pk_fma_f16 v36, v21, v17, v36
	v_pk_fma_f16 v27, v21, v46, v27
	v_pk_fma_f16 v22, v21, v18, v22
	v_pk_fma_f16 v28, v21, v47, v28
	v_pk_fma_f16 v23, v21, v19, v23
	v_pk_fma_f16 v37, v21, v48, v20
	ds_load_2addr_b32 v[20:21], v148 offset0:192 offset1:224
	ds_load_b128 v[16:19], v143 offset:480
	s_wait_dscnt 0x0
	v_dual_lshrrev_b32 v38, 16, v16 :: v_dual_lshrrev_b32 v39, 16, v17
	v_and_b32_e32 v16, 0xffff, v16
	v_dual_lshrrev_b32 v40, 16, v18 :: v_dual_lshrrev_b32 v41, 16, v19
	s_delay_alu instid0(VALU_DEP_3) | instskip(NEXT) | instid1(VALU_DEP_4)
	v_mul_u32_u24_e32 v38, 0x10001, v38
	v_mul_u32_u24_e32 v39, 0x10001, v39
	s_delay_alu instid0(VALU_DEP_4)
	v_mul_u32_u24_e32 v42, 0x10001, v16
	v_and_b32_e32 v16, 0xffff, v17
	v_mul_u32_u24_e32 v40, 0x10001, v40
	v_mul_u32_u24_e32 v41, 0x10001, v41
	v_pk_fma_f16 v24, v20, v38, v24
	v_pk_fma_f16 v32, v20, v42, v32
	v_mul_u32_u24_e32 v43, 0x10001, v16
	v_and_b32_e32 v16, 0xffff, v18
	v_pk_fma_f16 v29, v20, v39, v29
	v_pk_fma_f16 v31, v20, v40, v31
	;; [unrolled: 1-line block ×4, first 2 shown]
	v_mul_u32_u24_e32 v44, 0x10001, v16
	v_and_b32_e32 v16, 0xffff, v19
	s_delay_alu instid0(VALU_DEP_2) | instskip(NEXT) | instid1(VALU_DEP_2)
	v_pk_fma_f16 v30, v20, v44, v30
	v_mul_u32_u24_e32 v45, 0x10001, v16
	ds_load_b128 v[16:19], v143 offset:1504
	v_pk_fma_f16 v33, v20, v45, v33
	s_wait_dscnt 0x0
	v_dual_lshrrev_b32 v46, 16, v16 :: v_dual_lshrrev_b32 v47, 16, v17
	v_dual_lshrrev_b32 v48, 16, v18 :: v_dual_lshrrev_b32 v49, 16, v19
	v_and_b32_e32 v16, 0xffff, v16
	v_and_b32_e32 v17, 0xffff, v17
	;; [unrolled: 1-line block ×4, first 2 shown]
	v_mul_u32_u24_e32 v46, 0x10001, v46
	v_mul_u32_u24_e32 v16, 0x10001, v16
	;; [unrolled: 1-line block ×8, first 2 shown]
	v_pk_fma_f16 v35, v20, v16, v35
	v_pk_fma_f16 v36, v20, v17, v36
	;; [unrolled: 1-line block ×4, first 2 shown]
	ds_load_b128 v[16:19], v143 offset:496
	v_pk_fma_f16 v26, v20, v46, v26
	v_pk_fma_f16 v27, v20, v47, v27
	;; [unrolled: 1-line block ×4, first 2 shown]
	s_wait_dscnt 0x0
	v_dual_lshrrev_b32 v37, 16, v16 :: v_dual_lshrrev_b32 v38, 16, v17
	v_and_b32_e32 v16, 0xffff, v16
	v_dual_lshrrev_b32 v39, 16, v18 :: v_dual_lshrrev_b32 v40, 16, v19
	s_delay_alu instid0(VALU_DEP_3) | instskip(NEXT) | instid1(VALU_DEP_4)
	v_mul_u32_u24_e32 v37, 0x10001, v37
	v_mul_u32_u24_e32 v38, 0x10001, v38
	s_delay_alu instid0(VALU_DEP_4)
	v_mul_u32_u24_e32 v41, 0x10001, v16
	v_and_b32_e32 v16, 0xffff, v17
	v_mul_u32_u24_e32 v39, 0x10001, v39
	v_mul_u32_u24_e32 v40, 0x10001, v40
	v_pk_fma_f16 v24, v21, v37, v24
	v_pk_fma_f16 v32, v21, v41, v32
	v_mul_u32_u24_e32 v42, 0x10001, v16
	v_and_b32_e32 v16, 0xffff, v18
	v_pk_fma_f16 v29, v21, v38, v29
	v_pk_fma_f16 v31, v21, v39, v31
	;; [unrolled: 1-line block ×4, first 2 shown]
	v_mul_u32_u24_e32 v43, 0x10001, v16
	v_and_b32_e32 v16, 0xffff, v19
	s_delay_alu instid0(VALU_DEP_2) | instskip(NEXT) | instid1(VALU_DEP_2)
	v_pk_fma_f16 v30, v21, v43, v30
	v_mul_u32_u24_e32 v44, 0x10001, v16
	ds_load_b128 v[16:19], v143 offset:1520
	v_pk_fma_f16 v33, v21, v44, v33
	s_wait_dscnt 0x0
	v_dual_lshrrev_b32 v45, 16, v16 :: v_dual_lshrrev_b32 v46, 16, v17
	v_dual_lshrrev_b32 v47, 16, v18 :: v_dual_lshrrev_b32 v48, 16, v19
	v_and_b32_e32 v16, 0xffff, v16
	v_and_b32_e32 v17, 0xffff, v17
	;; [unrolled: 1-line block ×4, first 2 shown]
	v_mul_u32_u24_e32 v45, 0x10001, v45
	v_mul_u32_u24_e32 v16, 0x10001, v16
	v_mul_u32_u24_e32 v17, 0x10001, v17
	v_mul_u32_u24_e32 v46, 0x10001, v46
	v_mul_u32_u24_e32 v18, 0x10001, v18
	v_mul_u32_u24_e32 v47, 0x10001, v47
	v_mul_u32_u24_e32 v19, 0x10001, v19
	v_mul_u32_u24_e32 v48, 0x10001, v48
	v_pk_fma_f16 v35, v21, v16, v35
	v_pk_fma_f16 v26, v21, v45, v26
	;; [unrolled: 1-line block ×8, first 2 shown]
	ds_load_2addr_b32 v[20:21], v149 offset1:32
	ds_load_b128 v[16:19], v143 offset:512
	s_wait_dscnt 0x0
	v_dual_lshrrev_b32 v38, 16, v16 :: v_dual_lshrrev_b32 v39, 16, v17
	v_and_b32_e32 v16, 0xffff, v16
	v_dual_lshrrev_b32 v40, 16, v18 :: v_dual_lshrrev_b32 v41, 16, v19
	s_delay_alu instid0(VALU_DEP_3) | instskip(NEXT) | instid1(VALU_DEP_4)
	v_mul_u32_u24_e32 v38, 0x10001, v38
	v_mul_u32_u24_e32 v39, 0x10001, v39
	s_delay_alu instid0(VALU_DEP_4)
	v_mul_u32_u24_e32 v42, 0x10001, v16
	v_and_b32_e32 v16, 0xffff, v17
	v_mul_u32_u24_e32 v40, 0x10001, v40
	v_mul_u32_u24_e32 v41, 0x10001, v41
	v_pk_fma_f16 v24, v20, v38, v24
	v_pk_fma_f16 v32, v20, v42, v32
	v_mul_u32_u24_e32 v43, 0x10001, v16
	v_and_b32_e32 v16, 0xffff, v18
	v_pk_fma_f16 v29, v20, v39, v29
	v_pk_fma_f16 v31, v20, v40, v31
	;; [unrolled: 1-line block ×4, first 2 shown]
	v_mul_u32_u24_e32 v44, 0x10001, v16
	v_and_b32_e32 v16, 0xffff, v19
	s_delay_alu instid0(VALU_DEP_2) | instskip(NEXT) | instid1(VALU_DEP_2)
	v_pk_fma_f16 v30, v20, v44, v30
	v_mul_u32_u24_e32 v45, 0x10001, v16
	ds_load_b128 v[16:19], v143 offset:1536
	v_pk_fma_f16 v33, v20, v45, v33
	s_wait_dscnt 0x0
	v_dual_lshrrev_b32 v46, 16, v16 :: v_dual_lshrrev_b32 v47, 16, v17
	v_dual_lshrrev_b32 v48, 16, v18 :: v_dual_lshrrev_b32 v49, 16, v19
	v_and_b32_e32 v16, 0xffff, v16
	v_and_b32_e32 v17, 0xffff, v17
	v_and_b32_e32 v18, 0xffff, v18
	v_and_b32_e32 v19, 0xffff, v19
	v_mul_u32_u24_e32 v46, 0x10001, v46
	v_mul_u32_u24_e32 v16, 0x10001, v16
	;; [unrolled: 1-line block ×8, first 2 shown]
	v_pk_fma_f16 v35, v20, v16, v35
	v_pk_fma_f16 v36, v20, v17, v36
	;; [unrolled: 1-line block ×4, first 2 shown]
	ds_load_b128 v[16:19], v143 offset:528
	v_pk_fma_f16 v26, v20, v46, v26
	v_pk_fma_f16 v27, v20, v47, v27
	;; [unrolled: 1-line block ×4, first 2 shown]
	s_wait_dscnt 0x0
	v_dual_lshrrev_b32 v37, 16, v16 :: v_dual_lshrrev_b32 v38, 16, v17
	v_and_b32_e32 v16, 0xffff, v16
	v_dual_lshrrev_b32 v39, 16, v18 :: v_dual_lshrrev_b32 v40, 16, v19
	s_delay_alu instid0(VALU_DEP_3) | instskip(NEXT) | instid1(VALU_DEP_4)
	v_mul_u32_u24_e32 v37, 0x10001, v37
	v_mul_u32_u24_e32 v38, 0x10001, v38
	s_delay_alu instid0(VALU_DEP_4)
	v_mul_u32_u24_e32 v41, 0x10001, v16
	v_and_b32_e32 v16, 0xffff, v17
	v_mul_u32_u24_e32 v39, 0x10001, v39
	v_mul_u32_u24_e32 v40, 0x10001, v40
	v_pk_fma_f16 v24, v21, v37, v24
	v_pk_fma_f16 v32, v21, v41, v32
	v_mul_u32_u24_e32 v42, 0x10001, v16
	v_and_b32_e32 v16, 0xffff, v18
	v_pk_fma_f16 v29, v21, v38, v29
	v_pk_fma_f16 v31, v21, v39, v31
	;; [unrolled: 1-line block ×4, first 2 shown]
	v_mul_u32_u24_e32 v43, 0x10001, v16
	v_and_b32_e32 v16, 0xffff, v19
	s_delay_alu instid0(VALU_DEP_2) | instskip(NEXT) | instid1(VALU_DEP_2)
	v_pk_fma_f16 v30, v21, v43, v30
	v_mul_u32_u24_e32 v44, 0x10001, v16
	ds_load_b128 v[16:19], v143 offset:1552
	v_pk_fma_f16 v33, v21, v44, v33
	s_wait_dscnt 0x0
	v_dual_lshrrev_b32 v45, 16, v16 :: v_dual_lshrrev_b32 v46, 16, v17
	v_dual_lshrrev_b32 v47, 16, v18 :: v_dual_lshrrev_b32 v48, 16, v19
	v_and_b32_e32 v16, 0xffff, v16
	v_and_b32_e32 v17, 0xffff, v17
	;; [unrolled: 1-line block ×4, first 2 shown]
	v_mul_u32_u24_e32 v45, 0x10001, v45
	v_mul_u32_u24_e32 v16, 0x10001, v16
	;; [unrolled: 1-line block ×8, first 2 shown]
	v_pk_fma_f16 v35, v21, v16, v35
	v_pk_fma_f16 v26, v21, v45, v26
	;; [unrolled: 1-line block ×8, first 2 shown]
	ds_load_2addr_b32 v[20:21], v149 offset0:64 offset1:96
	ds_load_b128 v[16:19], v143 offset:544
	s_wait_dscnt 0x0
	v_dual_lshrrev_b32 v38, 16, v16 :: v_dual_lshrrev_b32 v39, 16, v17
	v_and_b32_e32 v16, 0xffff, v16
	v_dual_lshrrev_b32 v40, 16, v18 :: v_dual_lshrrev_b32 v41, 16, v19
	s_delay_alu instid0(VALU_DEP_3) | instskip(NEXT) | instid1(VALU_DEP_4)
	v_mul_u32_u24_e32 v38, 0x10001, v38
	v_mul_u32_u24_e32 v39, 0x10001, v39
	s_delay_alu instid0(VALU_DEP_4)
	v_mul_u32_u24_e32 v42, 0x10001, v16
	v_and_b32_e32 v16, 0xffff, v17
	v_mul_u32_u24_e32 v40, 0x10001, v40
	v_mul_u32_u24_e32 v41, 0x10001, v41
	v_pk_fma_f16 v24, v20, v38, v24
	v_pk_fma_f16 v32, v20, v42, v32
	v_mul_u32_u24_e32 v43, 0x10001, v16
	v_and_b32_e32 v16, 0xffff, v18
	v_pk_fma_f16 v29, v20, v39, v29
	v_pk_fma_f16 v31, v20, v40, v31
	;; [unrolled: 1-line block ×4, first 2 shown]
	v_mul_u32_u24_e32 v44, 0x10001, v16
	v_and_b32_e32 v16, 0xffff, v19
	s_delay_alu instid0(VALU_DEP_2) | instskip(NEXT) | instid1(VALU_DEP_2)
	v_pk_fma_f16 v30, v20, v44, v30
	v_mul_u32_u24_e32 v45, 0x10001, v16
	ds_load_b128 v[16:19], v143 offset:1568
	v_pk_fma_f16 v33, v20, v45, v33
	s_wait_dscnt 0x0
	v_dual_lshrrev_b32 v46, 16, v16 :: v_dual_lshrrev_b32 v47, 16, v17
	v_dual_lshrrev_b32 v48, 16, v18 :: v_dual_lshrrev_b32 v49, 16, v19
	v_and_b32_e32 v16, 0xffff, v16
	v_and_b32_e32 v17, 0xffff, v17
	;; [unrolled: 1-line block ×4, first 2 shown]
	v_mul_u32_u24_e32 v46, 0x10001, v46
	v_mul_u32_u24_e32 v16, 0x10001, v16
	;; [unrolled: 1-line block ×8, first 2 shown]
	v_pk_fma_f16 v35, v20, v16, v35
	v_pk_fma_f16 v36, v20, v17, v36
	;; [unrolled: 1-line block ×4, first 2 shown]
	ds_load_b128 v[16:19], v143 offset:560
	v_pk_fma_f16 v26, v20, v46, v26
	v_pk_fma_f16 v27, v20, v47, v27
	;; [unrolled: 1-line block ×4, first 2 shown]
	s_wait_dscnt 0x0
	v_dual_lshrrev_b32 v37, 16, v16 :: v_dual_lshrrev_b32 v38, 16, v17
	v_and_b32_e32 v16, 0xffff, v16
	v_dual_lshrrev_b32 v39, 16, v18 :: v_dual_lshrrev_b32 v40, 16, v19
	s_delay_alu instid0(VALU_DEP_3) | instskip(NEXT) | instid1(VALU_DEP_4)
	v_mul_u32_u24_e32 v37, 0x10001, v37
	v_mul_u32_u24_e32 v38, 0x10001, v38
	s_delay_alu instid0(VALU_DEP_4)
	v_mul_u32_u24_e32 v41, 0x10001, v16
	v_and_b32_e32 v16, 0xffff, v17
	v_mul_u32_u24_e32 v39, 0x10001, v39
	v_mul_u32_u24_e32 v40, 0x10001, v40
	v_pk_fma_f16 v24, v21, v37, v24
	v_pk_fma_f16 v32, v21, v41, v32
	v_mul_u32_u24_e32 v42, 0x10001, v16
	v_and_b32_e32 v16, 0xffff, v18
	v_pk_fma_f16 v29, v21, v38, v29
	v_pk_fma_f16 v31, v21, v39, v31
	;; [unrolled: 1-line block ×4, first 2 shown]
	v_mul_u32_u24_e32 v43, 0x10001, v16
	v_and_b32_e32 v16, 0xffff, v19
	s_delay_alu instid0(VALU_DEP_2) | instskip(NEXT) | instid1(VALU_DEP_2)
	v_pk_fma_f16 v30, v21, v43, v30
	v_mul_u32_u24_e32 v44, 0x10001, v16
	ds_load_b128 v[16:19], v143 offset:1584
	v_pk_fma_f16 v33, v21, v44, v33
	s_wait_dscnt 0x0
	v_dual_lshrrev_b32 v45, 16, v16 :: v_dual_lshrrev_b32 v46, 16, v17
	v_dual_lshrrev_b32 v47, 16, v18 :: v_dual_lshrrev_b32 v48, 16, v19
	v_and_b32_e32 v16, 0xffff, v16
	v_and_b32_e32 v17, 0xffff, v17
	;; [unrolled: 1-line block ×4, first 2 shown]
	v_mul_u32_u24_e32 v45, 0x10001, v45
	v_mul_u32_u24_e32 v16, 0x10001, v16
	;; [unrolled: 1-line block ×8, first 2 shown]
	v_pk_fma_f16 v35, v21, v16, v35
	v_pk_fma_f16 v26, v21, v45, v26
	;; [unrolled: 1-line block ×8, first 2 shown]
	ds_load_2addr_b32 v[20:21], v149 offset0:128 offset1:160
	ds_load_b128 v[16:19], v143 offset:576
	s_wait_dscnt 0x0
	v_dual_lshrrev_b32 v38, 16, v16 :: v_dual_lshrrev_b32 v39, 16, v17
	v_and_b32_e32 v16, 0xffff, v16
	v_dual_lshrrev_b32 v40, 16, v18 :: v_dual_lshrrev_b32 v41, 16, v19
	s_delay_alu instid0(VALU_DEP_3) | instskip(NEXT) | instid1(VALU_DEP_4)
	v_mul_u32_u24_e32 v38, 0x10001, v38
	v_mul_u32_u24_e32 v39, 0x10001, v39
	s_delay_alu instid0(VALU_DEP_4)
	v_mul_u32_u24_e32 v42, 0x10001, v16
	v_and_b32_e32 v16, 0xffff, v17
	v_mul_u32_u24_e32 v40, 0x10001, v40
	v_mul_u32_u24_e32 v41, 0x10001, v41
	v_pk_fma_f16 v24, v20, v38, v24
	v_pk_fma_f16 v32, v20, v42, v32
	v_mul_u32_u24_e32 v43, 0x10001, v16
	v_and_b32_e32 v16, 0xffff, v18
	v_pk_fma_f16 v29, v20, v39, v29
	v_pk_fma_f16 v31, v20, v40, v31
	;; [unrolled: 1-line block ×4, first 2 shown]
	v_mul_u32_u24_e32 v44, 0x10001, v16
	v_and_b32_e32 v16, 0xffff, v19
	s_delay_alu instid0(VALU_DEP_2) | instskip(NEXT) | instid1(VALU_DEP_2)
	v_pk_fma_f16 v30, v20, v44, v30
	v_mul_u32_u24_e32 v45, 0x10001, v16
	ds_load_b128 v[16:19], v143 offset:1600
	v_pk_fma_f16 v33, v20, v45, v33
	s_wait_dscnt 0x0
	v_dual_lshrrev_b32 v46, 16, v16 :: v_dual_lshrrev_b32 v47, 16, v17
	v_dual_lshrrev_b32 v48, 16, v18 :: v_dual_lshrrev_b32 v49, 16, v19
	v_and_b32_e32 v16, 0xffff, v16
	v_and_b32_e32 v17, 0xffff, v17
	v_and_b32_e32 v18, 0xffff, v18
	v_and_b32_e32 v19, 0xffff, v19
	v_mul_u32_u24_e32 v46, 0x10001, v46
	v_mul_u32_u24_e32 v16, 0x10001, v16
	;; [unrolled: 1-line block ×8, first 2 shown]
	v_pk_fma_f16 v35, v20, v16, v35
	v_pk_fma_f16 v36, v20, v17, v36
	;; [unrolled: 1-line block ×4, first 2 shown]
	ds_load_b128 v[16:19], v143 offset:592
	v_pk_fma_f16 v26, v20, v46, v26
	v_pk_fma_f16 v27, v20, v47, v27
	;; [unrolled: 1-line block ×4, first 2 shown]
	s_wait_dscnt 0x0
	v_dual_lshrrev_b32 v37, 16, v16 :: v_dual_lshrrev_b32 v38, 16, v17
	v_and_b32_e32 v16, 0xffff, v16
	v_dual_lshrrev_b32 v39, 16, v18 :: v_dual_lshrrev_b32 v40, 16, v19
	s_delay_alu instid0(VALU_DEP_3) | instskip(NEXT) | instid1(VALU_DEP_4)
	v_mul_u32_u24_e32 v37, 0x10001, v37
	v_mul_u32_u24_e32 v38, 0x10001, v38
	s_delay_alu instid0(VALU_DEP_4)
	v_mul_u32_u24_e32 v41, 0x10001, v16
	v_and_b32_e32 v16, 0xffff, v17
	v_mul_u32_u24_e32 v39, 0x10001, v39
	v_mul_u32_u24_e32 v40, 0x10001, v40
	v_pk_fma_f16 v24, v21, v37, v24
	v_pk_fma_f16 v32, v21, v41, v32
	v_mul_u32_u24_e32 v42, 0x10001, v16
	v_and_b32_e32 v16, 0xffff, v18
	v_pk_fma_f16 v29, v21, v38, v29
	v_pk_fma_f16 v31, v21, v39, v31
	;; [unrolled: 1-line block ×4, first 2 shown]
	v_mul_u32_u24_e32 v43, 0x10001, v16
	v_and_b32_e32 v16, 0xffff, v19
	s_delay_alu instid0(VALU_DEP_2) | instskip(NEXT) | instid1(VALU_DEP_2)
	v_pk_fma_f16 v30, v21, v43, v30
	v_mul_u32_u24_e32 v44, 0x10001, v16
	ds_load_b128 v[16:19], v143 offset:1616
	v_pk_fma_f16 v33, v21, v44, v33
	s_wait_dscnt 0x0
	v_dual_lshrrev_b32 v45, 16, v16 :: v_dual_lshrrev_b32 v46, 16, v17
	v_dual_lshrrev_b32 v47, 16, v18 :: v_dual_lshrrev_b32 v48, 16, v19
	v_and_b32_e32 v16, 0xffff, v16
	v_and_b32_e32 v17, 0xffff, v17
	;; [unrolled: 1-line block ×4, first 2 shown]
	v_mul_u32_u24_e32 v45, 0x10001, v45
	v_mul_u32_u24_e32 v16, 0x10001, v16
	v_mul_u32_u24_e32 v17, 0x10001, v17
	v_mul_u32_u24_e32 v46, 0x10001, v46
	v_mul_u32_u24_e32 v18, 0x10001, v18
	v_mul_u32_u24_e32 v47, 0x10001, v47
	v_mul_u32_u24_e32 v19, 0x10001, v19
	v_mul_u32_u24_e32 v48, 0x10001, v48
	v_pk_fma_f16 v35, v21, v16, v35
	v_pk_fma_f16 v26, v21, v45, v26
	;; [unrolled: 1-line block ×8, first 2 shown]
	ds_load_2addr_b32 v[20:21], v149 offset0:192 offset1:224
	ds_load_b128 v[16:19], v143 offset:608
	s_wait_dscnt 0x0
	v_dual_lshrrev_b32 v38, 16, v16 :: v_dual_lshrrev_b32 v39, 16, v17
	v_and_b32_e32 v16, 0xffff, v16
	v_dual_lshrrev_b32 v40, 16, v18 :: v_dual_lshrrev_b32 v41, 16, v19
	s_delay_alu instid0(VALU_DEP_3) | instskip(NEXT) | instid1(VALU_DEP_4)
	v_mul_u32_u24_e32 v38, 0x10001, v38
	v_mul_u32_u24_e32 v39, 0x10001, v39
	s_delay_alu instid0(VALU_DEP_4)
	v_mul_u32_u24_e32 v42, 0x10001, v16
	v_and_b32_e32 v16, 0xffff, v17
	v_mul_u32_u24_e32 v40, 0x10001, v40
	v_mul_u32_u24_e32 v41, 0x10001, v41
	v_pk_fma_f16 v24, v20, v38, v24
	v_pk_fma_f16 v32, v20, v42, v32
	v_mul_u32_u24_e32 v43, 0x10001, v16
	v_and_b32_e32 v16, 0xffff, v18
	v_pk_fma_f16 v29, v20, v39, v29
	v_pk_fma_f16 v31, v20, v40, v31
	;; [unrolled: 1-line block ×4, first 2 shown]
	v_mul_u32_u24_e32 v44, 0x10001, v16
	v_and_b32_e32 v16, 0xffff, v19
	s_delay_alu instid0(VALU_DEP_2) | instskip(NEXT) | instid1(VALU_DEP_2)
	v_pk_fma_f16 v30, v20, v44, v30
	v_mul_u32_u24_e32 v45, 0x10001, v16
	ds_load_b128 v[16:19], v143 offset:1632
	v_pk_fma_f16 v33, v20, v45, v33
	s_wait_dscnt 0x0
	v_dual_lshrrev_b32 v46, 16, v16 :: v_dual_lshrrev_b32 v47, 16, v17
	v_dual_lshrrev_b32 v48, 16, v18 :: v_dual_lshrrev_b32 v49, 16, v19
	v_and_b32_e32 v16, 0xffff, v16
	v_and_b32_e32 v17, 0xffff, v17
	;; [unrolled: 1-line block ×4, first 2 shown]
	v_mul_u32_u24_e32 v46, 0x10001, v46
	v_mul_u32_u24_e32 v16, 0x10001, v16
	;; [unrolled: 1-line block ×8, first 2 shown]
	v_pk_fma_f16 v35, v20, v16, v35
	v_pk_fma_f16 v36, v20, v17, v36
	;; [unrolled: 1-line block ×4, first 2 shown]
	ds_load_b128 v[16:19], v143 offset:624
	v_pk_fma_f16 v26, v20, v46, v26
	v_pk_fma_f16 v27, v20, v47, v27
	;; [unrolled: 1-line block ×4, first 2 shown]
	s_wait_dscnt 0x0
	v_dual_lshrrev_b32 v37, 16, v16 :: v_dual_lshrrev_b32 v38, 16, v17
	v_and_b32_e32 v16, 0xffff, v16
	v_dual_lshrrev_b32 v39, 16, v18 :: v_dual_lshrrev_b32 v40, 16, v19
	s_delay_alu instid0(VALU_DEP_3) | instskip(NEXT) | instid1(VALU_DEP_4)
	v_mul_u32_u24_e32 v37, 0x10001, v37
	v_mul_u32_u24_e32 v38, 0x10001, v38
	s_delay_alu instid0(VALU_DEP_4)
	v_mul_u32_u24_e32 v41, 0x10001, v16
	v_and_b32_e32 v16, 0xffff, v17
	v_mul_u32_u24_e32 v39, 0x10001, v39
	v_mul_u32_u24_e32 v40, 0x10001, v40
	v_pk_fma_f16 v24, v21, v37, v24
	v_pk_fma_f16 v32, v21, v41, v32
	v_mul_u32_u24_e32 v42, 0x10001, v16
	v_and_b32_e32 v16, 0xffff, v18
	v_pk_fma_f16 v29, v21, v38, v29
	v_pk_fma_f16 v31, v21, v39, v31
	;; [unrolled: 1-line block ×4, first 2 shown]
	v_mul_u32_u24_e32 v43, 0x10001, v16
	v_and_b32_e32 v16, 0xffff, v19
	s_delay_alu instid0(VALU_DEP_2) | instskip(NEXT) | instid1(VALU_DEP_2)
	v_pk_fma_f16 v30, v21, v43, v30
	v_mul_u32_u24_e32 v44, 0x10001, v16
	ds_load_b128 v[16:19], v143 offset:1648
	v_pk_fma_f16 v33, v21, v44, v33
	s_wait_dscnt 0x0
	v_dual_lshrrev_b32 v45, 16, v16 :: v_dual_lshrrev_b32 v46, 16, v17
	v_dual_lshrrev_b32 v47, 16, v18 :: v_dual_lshrrev_b32 v48, 16, v19
	v_and_b32_e32 v16, 0xffff, v16
	v_and_b32_e32 v17, 0xffff, v17
	;; [unrolled: 1-line block ×4, first 2 shown]
	v_mul_u32_u24_e32 v45, 0x10001, v45
	v_mul_u32_u24_e32 v16, 0x10001, v16
	;; [unrolled: 1-line block ×8, first 2 shown]
	v_pk_fma_f16 v35, v21, v16, v35
	v_pk_fma_f16 v26, v21, v45, v26
	;; [unrolled: 1-line block ×8, first 2 shown]
	ds_load_2addr_b32 v[20:21], v150 offset1:32
	ds_load_b128 v[16:19], v143 offset:640
	s_wait_dscnt 0x0
	v_dual_lshrrev_b32 v38, 16, v16 :: v_dual_lshrrev_b32 v39, 16, v17
	v_and_b32_e32 v16, 0xffff, v16
	v_dual_lshrrev_b32 v40, 16, v18 :: v_dual_lshrrev_b32 v41, 16, v19
	s_delay_alu instid0(VALU_DEP_3) | instskip(NEXT) | instid1(VALU_DEP_4)
	v_mul_u32_u24_e32 v38, 0x10001, v38
	v_mul_u32_u24_e32 v39, 0x10001, v39
	s_delay_alu instid0(VALU_DEP_4)
	v_mul_u32_u24_e32 v42, 0x10001, v16
	v_and_b32_e32 v16, 0xffff, v17
	v_mul_u32_u24_e32 v40, 0x10001, v40
	v_mul_u32_u24_e32 v41, 0x10001, v41
	v_pk_fma_f16 v24, v20, v38, v24
	v_pk_fma_f16 v32, v20, v42, v32
	v_mul_u32_u24_e32 v43, 0x10001, v16
	v_and_b32_e32 v16, 0xffff, v18
	v_pk_fma_f16 v29, v20, v39, v29
	v_pk_fma_f16 v31, v20, v40, v31
	;; [unrolled: 1-line block ×4, first 2 shown]
	v_mul_u32_u24_e32 v44, 0x10001, v16
	v_and_b32_e32 v16, 0xffff, v19
	s_delay_alu instid0(VALU_DEP_2) | instskip(NEXT) | instid1(VALU_DEP_2)
	v_pk_fma_f16 v30, v20, v44, v30
	v_mul_u32_u24_e32 v45, 0x10001, v16
	ds_load_b128 v[16:19], v143 offset:1664
	v_pk_fma_f16 v33, v20, v45, v33
	s_wait_dscnt 0x0
	v_dual_lshrrev_b32 v46, 16, v16 :: v_dual_lshrrev_b32 v47, 16, v17
	v_dual_lshrrev_b32 v48, 16, v18 :: v_dual_lshrrev_b32 v49, 16, v19
	v_and_b32_e32 v16, 0xffff, v16
	v_and_b32_e32 v17, 0xffff, v17
	;; [unrolled: 1-line block ×4, first 2 shown]
	v_mul_u32_u24_e32 v46, 0x10001, v46
	v_mul_u32_u24_e32 v16, 0x10001, v16
	;; [unrolled: 1-line block ×8, first 2 shown]
	v_pk_fma_f16 v35, v20, v16, v35
	v_pk_fma_f16 v36, v20, v17, v36
	;; [unrolled: 1-line block ×4, first 2 shown]
	ds_load_b128 v[16:19], v143 offset:656
	v_pk_fma_f16 v26, v20, v46, v26
	v_pk_fma_f16 v27, v20, v47, v27
	v_pk_fma_f16 v28, v20, v48, v28
	v_pk_fma_f16 v20, v20, v49, v37
	s_wait_dscnt 0x0
	v_dual_lshrrev_b32 v37, 16, v16 :: v_dual_lshrrev_b32 v38, 16, v17
	v_and_b32_e32 v16, 0xffff, v16
	v_dual_lshrrev_b32 v39, 16, v18 :: v_dual_lshrrev_b32 v40, 16, v19
	s_delay_alu instid0(VALU_DEP_3) | instskip(NEXT) | instid1(VALU_DEP_4)
	v_mul_u32_u24_e32 v37, 0x10001, v37
	v_mul_u32_u24_e32 v38, 0x10001, v38
	s_delay_alu instid0(VALU_DEP_4)
	v_mul_u32_u24_e32 v41, 0x10001, v16
	v_and_b32_e32 v16, 0xffff, v17
	v_mul_u32_u24_e32 v39, 0x10001, v39
	v_mul_u32_u24_e32 v40, 0x10001, v40
	v_pk_fma_f16 v24, v21, v37, v24
	v_pk_fma_f16 v32, v21, v41, v32
	v_mul_u32_u24_e32 v42, 0x10001, v16
	v_and_b32_e32 v16, 0xffff, v18
	v_pk_fma_f16 v29, v21, v38, v29
	v_pk_fma_f16 v31, v21, v39, v31
	;; [unrolled: 1-line block ×4, first 2 shown]
	v_mul_u32_u24_e32 v43, 0x10001, v16
	v_and_b32_e32 v16, 0xffff, v19
	s_delay_alu instid0(VALU_DEP_2) | instskip(NEXT) | instid1(VALU_DEP_2)
	v_pk_fma_f16 v30, v21, v43, v30
	v_mul_u32_u24_e32 v44, 0x10001, v16
	ds_load_b128 v[16:19], v143 offset:1680
	v_pk_fma_f16 v33, v21, v44, v33
	s_wait_dscnt 0x0
	v_dual_lshrrev_b32 v45, 16, v16 :: v_dual_lshrrev_b32 v46, 16, v17
	v_dual_lshrrev_b32 v47, 16, v18 :: v_dual_lshrrev_b32 v48, 16, v19
	v_and_b32_e32 v16, 0xffff, v16
	v_and_b32_e32 v17, 0xffff, v17
	;; [unrolled: 1-line block ×4, first 2 shown]
	v_mul_u32_u24_e32 v45, 0x10001, v45
	v_mul_u32_u24_e32 v16, 0x10001, v16
	;; [unrolled: 1-line block ×8, first 2 shown]
	v_pk_fma_f16 v35, v21, v16, v35
	v_pk_fma_f16 v26, v21, v45, v26
	;; [unrolled: 1-line block ×8, first 2 shown]
	ds_load_2addr_b32 v[20:21], v150 offset0:64 offset1:96
	ds_load_b128 v[16:19], v143 offset:672
	s_wait_dscnt 0x0
	v_dual_lshrrev_b32 v38, 16, v16 :: v_dual_lshrrev_b32 v39, 16, v17
	v_and_b32_e32 v16, 0xffff, v16
	v_dual_lshrrev_b32 v40, 16, v18 :: v_dual_lshrrev_b32 v41, 16, v19
	s_delay_alu instid0(VALU_DEP_3) | instskip(NEXT) | instid1(VALU_DEP_4)
	v_mul_u32_u24_e32 v38, 0x10001, v38
	v_mul_u32_u24_e32 v39, 0x10001, v39
	s_delay_alu instid0(VALU_DEP_4)
	v_mul_u32_u24_e32 v42, 0x10001, v16
	v_and_b32_e32 v16, 0xffff, v17
	v_mul_u32_u24_e32 v40, 0x10001, v40
	v_mul_u32_u24_e32 v41, 0x10001, v41
	v_pk_fma_f16 v24, v20, v38, v24
	v_pk_fma_f16 v32, v20, v42, v32
	v_mul_u32_u24_e32 v43, 0x10001, v16
	v_and_b32_e32 v16, 0xffff, v18
	v_pk_fma_f16 v29, v20, v39, v29
	v_pk_fma_f16 v31, v20, v40, v31
	;; [unrolled: 1-line block ×4, first 2 shown]
	v_mul_u32_u24_e32 v44, 0x10001, v16
	v_and_b32_e32 v16, 0xffff, v19
	s_delay_alu instid0(VALU_DEP_2) | instskip(NEXT) | instid1(VALU_DEP_2)
	v_pk_fma_f16 v30, v20, v44, v30
	v_mul_u32_u24_e32 v45, 0x10001, v16
	ds_load_b128 v[16:19], v143 offset:1696
	v_pk_fma_f16 v33, v20, v45, v33
	s_wait_dscnt 0x0
	v_dual_lshrrev_b32 v46, 16, v16 :: v_dual_lshrrev_b32 v47, 16, v17
	v_dual_lshrrev_b32 v48, 16, v18 :: v_dual_lshrrev_b32 v49, 16, v19
	v_and_b32_e32 v16, 0xffff, v16
	v_and_b32_e32 v17, 0xffff, v17
	;; [unrolled: 1-line block ×4, first 2 shown]
	v_mul_u32_u24_e32 v46, 0x10001, v46
	v_mul_u32_u24_e32 v16, 0x10001, v16
	;; [unrolled: 1-line block ×8, first 2 shown]
	v_pk_fma_f16 v35, v20, v16, v35
	v_pk_fma_f16 v36, v20, v17, v36
	;; [unrolled: 1-line block ×4, first 2 shown]
	ds_load_b128 v[16:19], v143 offset:688
	v_pk_fma_f16 v26, v20, v46, v26
	v_pk_fma_f16 v27, v20, v47, v27
	;; [unrolled: 1-line block ×4, first 2 shown]
	s_wait_dscnt 0x0
	v_dual_lshrrev_b32 v37, 16, v16 :: v_dual_lshrrev_b32 v38, 16, v17
	v_and_b32_e32 v16, 0xffff, v16
	v_dual_lshrrev_b32 v39, 16, v18 :: v_dual_lshrrev_b32 v40, 16, v19
	s_delay_alu instid0(VALU_DEP_3) | instskip(NEXT) | instid1(VALU_DEP_4)
	v_mul_u32_u24_e32 v37, 0x10001, v37
	v_mul_u32_u24_e32 v38, 0x10001, v38
	s_delay_alu instid0(VALU_DEP_4)
	v_mul_u32_u24_e32 v41, 0x10001, v16
	v_and_b32_e32 v16, 0xffff, v17
	v_mul_u32_u24_e32 v39, 0x10001, v39
	v_mul_u32_u24_e32 v40, 0x10001, v40
	v_pk_fma_f16 v24, v21, v37, v24
	v_pk_fma_f16 v32, v21, v41, v32
	v_mul_u32_u24_e32 v42, 0x10001, v16
	v_and_b32_e32 v16, 0xffff, v18
	v_pk_fma_f16 v29, v21, v38, v29
	v_pk_fma_f16 v31, v21, v39, v31
	;; [unrolled: 1-line block ×4, first 2 shown]
	v_mul_u32_u24_e32 v43, 0x10001, v16
	v_and_b32_e32 v16, 0xffff, v19
	s_delay_alu instid0(VALU_DEP_2) | instskip(NEXT) | instid1(VALU_DEP_2)
	v_pk_fma_f16 v30, v21, v43, v30
	v_mul_u32_u24_e32 v44, 0x10001, v16
	ds_load_b128 v[16:19], v143 offset:1712
	v_pk_fma_f16 v33, v21, v44, v33
	s_wait_dscnt 0x0
	v_dual_lshrrev_b32 v45, 16, v16 :: v_dual_lshrrev_b32 v46, 16, v17
	v_dual_lshrrev_b32 v47, 16, v18 :: v_dual_lshrrev_b32 v48, 16, v19
	v_and_b32_e32 v16, 0xffff, v16
	v_and_b32_e32 v17, 0xffff, v17
	;; [unrolled: 1-line block ×4, first 2 shown]
	v_mul_u32_u24_e32 v45, 0x10001, v45
	v_mul_u32_u24_e32 v16, 0x10001, v16
	;; [unrolled: 1-line block ×8, first 2 shown]
	v_pk_fma_f16 v35, v21, v16, v35
	v_pk_fma_f16 v26, v21, v45, v26
	;; [unrolled: 1-line block ×8, first 2 shown]
	ds_load_2addr_b32 v[20:21], v150 offset0:128 offset1:160
	ds_load_b128 v[16:19], v143 offset:704
	s_wait_dscnt 0x0
	v_dual_lshrrev_b32 v38, 16, v16 :: v_dual_lshrrev_b32 v39, 16, v17
	v_and_b32_e32 v16, 0xffff, v16
	v_dual_lshrrev_b32 v40, 16, v18 :: v_dual_lshrrev_b32 v41, 16, v19
	s_delay_alu instid0(VALU_DEP_3) | instskip(NEXT) | instid1(VALU_DEP_4)
	v_mul_u32_u24_e32 v38, 0x10001, v38
	v_mul_u32_u24_e32 v39, 0x10001, v39
	s_delay_alu instid0(VALU_DEP_4)
	v_mul_u32_u24_e32 v42, 0x10001, v16
	v_and_b32_e32 v16, 0xffff, v17
	v_mul_u32_u24_e32 v40, 0x10001, v40
	v_mul_u32_u24_e32 v41, 0x10001, v41
	v_pk_fma_f16 v24, v20, v38, v24
	v_pk_fma_f16 v32, v20, v42, v32
	v_mul_u32_u24_e32 v43, 0x10001, v16
	v_and_b32_e32 v16, 0xffff, v18
	v_pk_fma_f16 v29, v20, v39, v29
	v_pk_fma_f16 v31, v20, v40, v31
	;; [unrolled: 1-line block ×4, first 2 shown]
	v_mul_u32_u24_e32 v44, 0x10001, v16
	v_and_b32_e32 v16, 0xffff, v19
	s_delay_alu instid0(VALU_DEP_2) | instskip(NEXT) | instid1(VALU_DEP_2)
	v_pk_fma_f16 v30, v20, v44, v30
	v_mul_u32_u24_e32 v45, 0x10001, v16
	ds_load_b128 v[16:19], v143 offset:1728
	v_pk_fma_f16 v33, v20, v45, v33
	s_wait_dscnt 0x0
	v_dual_lshrrev_b32 v46, 16, v16 :: v_dual_lshrrev_b32 v47, 16, v17
	v_dual_lshrrev_b32 v48, 16, v18 :: v_dual_lshrrev_b32 v49, 16, v19
	v_and_b32_e32 v16, 0xffff, v16
	v_and_b32_e32 v17, 0xffff, v17
	;; [unrolled: 1-line block ×4, first 2 shown]
	v_mul_u32_u24_e32 v46, 0x10001, v46
	v_mul_u32_u24_e32 v16, 0x10001, v16
	;; [unrolled: 1-line block ×8, first 2 shown]
	v_pk_fma_f16 v35, v20, v16, v35
	v_pk_fma_f16 v36, v20, v17, v36
	;; [unrolled: 1-line block ×4, first 2 shown]
	ds_load_b128 v[16:19], v143 offset:720
	v_pk_fma_f16 v26, v20, v46, v26
	v_pk_fma_f16 v27, v20, v47, v27
	;; [unrolled: 1-line block ×4, first 2 shown]
	s_wait_dscnt 0x0
	v_dual_lshrrev_b32 v37, 16, v16 :: v_dual_lshrrev_b32 v38, 16, v17
	v_and_b32_e32 v16, 0xffff, v16
	v_dual_lshrrev_b32 v39, 16, v18 :: v_dual_lshrrev_b32 v40, 16, v19
	s_delay_alu instid0(VALU_DEP_3) | instskip(NEXT) | instid1(VALU_DEP_4)
	v_mul_u32_u24_e32 v37, 0x10001, v37
	v_mul_u32_u24_e32 v38, 0x10001, v38
	s_delay_alu instid0(VALU_DEP_4)
	v_mul_u32_u24_e32 v41, 0x10001, v16
	v_and_b32_e32 v16, 0xffff, v17
	v_mul_u32_u24_e32 v39, 0x10001, v39
	v_mul_u32_u24_e32 v40, 0x10001, v40
	v_pk_fma_f16 v24, v21, v37, v24
	v_pk_fma_f16 v32, v21, v41, v32
	v_mul_u32_u24_e32 v42, 0x10001, v16
	v_and_b32_e32 v16, 0xffff, v18
	v_pk_fma_f16 v29, v21, v38, v29
	v_pk_fma_f16 v31, v21, v39, v31
	;; [unrolled: 1-line block ×4, first 2 shown]
	v_mul_u32_u24_e32 v43, 0x10001, v16
	v_and_b32_e32 v16, 0xffff, v19
	s_delay_alu instid0(VALU_DEP_2) | instskip(NEXT) | instid1(VALU_DEP_2)
	v_pk_fma_f16 v30, v21, v43, v30
	v_mul_u32_u24_e32 v44, 0x10001, v16
	ds_load_b128 v[16:19], v143 offset:1744
	v_pk_fma_f16 v33, v21, v44, v33
	s_wait_dscnt 0x0
	v_dual_lshrrev_b32 v45, 16, v16 :: v_dual_lshrrev_b32 v46, 16, v17
	v_dual_lshrrev_b32 v47, 16, v18 :: v_dual_lshrrev_b32 v48, 16, v19
	v_and_b32_e32 v16, 0xffff, v16
	v_and_b32_e32 v17, 0xffff, v17
	;; [unrolled: 1-line block ×4, first 2 shown]
	v_mul_u32_u24_e32 v45, 0x10001, v45
	v_mul_u32_u24_e32 v16, 0x10001, v16
	;; [unrolled: 1-line block ×8, first 2 shown]
	v_pk_fma_f16 v35, v21, v16, v35
	v_pk_fma_f16 v26, v21, v45, v26
	;; [unrolled: 1-line block ×8, first 2 shown]
	ds_load_2addr_b32 v[20:21], v150 offset0:192 offset1:224
	ds_load_b128 v[16:19], v143 offset:736
	s_wait_dscnt 0x0
	v_dual_lshrrev_b32 v38, 16, v16 :: v_dual_lshrrev_b32 v39, 16, v17
	v_and_b32_e32 v16, 0xffff, v16
	v_dual_lshrrev_b32 v40, 16, v18 :: v_dual_lshrrev_b32 v41, 16, v19
	s_delay_alu instid0(VALU_DEP_3) | instskip(NEXT) | instid1(VALU_DEP_4)
	v_mul_u32_u24_e32 v38, 0x10001, v38
	v_mul_u32_u24_e32 v39, 0x10001, v39
	s_delay_alu instid0(VALU_DEP_4)
	v_mul_u32_u24_e32 v42, 0x10001, v16
	v_and_b32_e32 v16, 0xffff, v17
	v_mul_u32_u24_e32 v40, 0x10001, v40
	v_mul_u32_u24_e32 v41, 0x10001, v41
	v_pk_fma_f16 v24, v20, v38, v24
	v_pk_fma_f16 v32, v20, v42, v32
	v_mul_u32_u24_e32 v43, 0x10001, v16
	v_and_b32_e32 v16, 0xffff, v18
	v_pk_fma_f16 v29, v20, v39, v29
	v_pk_fma_f16 v31, v20, v40, v31
	;; [unrolled: 1-line block ×4, first 2 shown]
	v_mul_u32_u24_e32 v44, 0x10001, v16
	v_and_b32_e32 v16, 0xffff, v19
	s_delay_alu instid0(VALU_DEP_2) | instskip(NEXT) | instid1(VALU_DEP_2)
	v_pk_fma_f16 v30, v20, v44, v30
	v_mul_u32_u24_e32 v45, 0x10001, v16
	ds_load_b128 v[16:19], v143 offset:1760
	v_pk_fma_f16 v33, v20, v45, v33
	s_wait_dscnt 0x0
	v_dual_lshrrev_b32 v46, 16, v16 :: v_dual_lshrrev_b32 v47, 16, v17
	v_dual_lshrrev_b32 v48, 16, v18 :: v_dual_lshrrev_b32 v49, 16, v19
	v_and_b32_e32 v16, 0xffff, v16
	v_and_b32_e32 v17, 0xffff, v17
	;; [unrolled: 1-line block ×4, first 2 shown]
	v_mul_u32_u24_e32 v46, 0x10001, v46
	v_mul_u32_u24_e32 v16, 0x10001, v16
	;; [unrolled: 1-line block ×8, first 2 shown]
	v_pk_fma_f16 v35, v20, v16, v35
	v_pk_fma_f16 v36, v20, v17, v36
	;; [unrolled: 1-line block ×4, first 2 shown]
	ds_load_b128 v[16:19], v143 offset:752
	v_pk_fma_f16 v26, v20, v46, v26
	v_pk_fma_f16 v27, v20, v47, v27
	;; [unrolled: 1-line block ×4, first 2 shown]
	s_wait_dscnt 0x0
	v_dual_lshrrev_b32 v37, 16, v16 :: v_dual_lshrrev_b32 v38, 16, v17
	v_and_b32_e32 v16, 0xffff, v16
	v_dual_lshrrev_b32 v39, 16, v18 :: v_dual_lshrrev_b32 v40, 16, v19
	s_delay_alu instid0(VALU_DEP_3) | instskip(NEXT) | instid1(VALU_DEP_4)
	v_mul_u32_u24_e32 v37, 0x10001, v37
	v_mul_u32_u24_e32 v38, 0x10001, v38
	s_delay_alu instid0(VALU_DEP_4)
	v_mul_u32_u24_e32 v41, 0x10001, v16
	v_and_b32_e32 v16, 0xffff, v17
	v_mul_u32_u24_e32 v39, 0x10001, v39
	v_mul_u32_u24_e32 v40, 0x10001, v40
	v_pk_fma_f16 v24, v21, v37, v24
	v_pk_fma_f16 v32, v21, v41, v32
	v_mul_u32_u24_e32 v42, 0x10001, v16
	v_and_b32_e32 v16, 0xffff, v18
	v_pk_fma_f16 v29, v21, v38, v29
	v_pk_fma_f16 v31, v21, v39, v31
	;; [unrolled: 1-line block ×4, first 2 shown]
	v_mul_u32_u24_e32 v43, 0x10001, v16
	v_and_b32_e32 v16, 0xffff, v19
	s_delay_alu instid0(VALU_DEP_2) | instskip(NEXT) | instid1(VALU_DEP_2)
	v_pk_fma_f16 v30, v21, v43, v30
	v_mul_u32_u24_e32 v44, 0x10001, v16
	ds_load_b128 v[16:19], v143 offset:1776
	v_pk_fma_f16 v33, v21, v44, v33
	s_wait_dscnt 0x0
	v_dual_lshrrev_b32 v45, 16, v16 :: v_dual_lshrrev_b32 v46, 16, v17
	v_dual_lshrrev_b32 v47, 16, v18 :: v_dual_lshrrev_b32 v48, 16, v19
	v_and_b32_e32 v16, 0xffff, v16
	v_and_b32_e32 v17, 0xffff, v17
	v_and_b32_e32 v18, 0xffff, v18
	v_and_b32_e32 v19, 0xffff, v19
	v_mul_u32_u24_e32 v45, 0x10001, v45
	v_mul_u32_u24_e32 v16, 0x10001, v16
	;; [unrolled: 1-line block ×8, first 2 shown]
	v_pk_fma_f16 v35, v21, v16, v35
	v_pk_fma_f16 v37, v21, v45, v26
	v_pk_fma_f16 v36, v21, v17, v36
	v_pk_fma_f16 v38, v21, v46, v27
	v_pk_fma_f16 v39, v21, v18, v22
	v_pk_fma_f16 v40, v21, v47, v28
	v_pk_fma_f16 v41, v21, v19, v23
	v_pk_fma_f16 v42, v21, v48, v20
	ds_load_2addr_b32 v[20:21], v151 offset1:32
	ds_load_b128 v[16:19], v143 offset:768
	s_wait_dscnt 0x0
	v_dual_lshrrev_b32 v22, 16, v16 :: v_dual_lshrrev_b32 v23, 16, v17
	v_and_b32_e32 v16, 0xffff, v16
	v_dual_lshrrev_b32 v26, 16, v18 :: v_dual_lshrrev_b32 v27, 16, v19
	s_delay_alu instid0(VALU_DEP_3) | instskip(NEXT) | instid1(VALU_DEP_4)
	v_mul_u32_u24_e32 v43, 0x10001, v22
	v_mul_u32_u24_e32 v45, 0x10001, v23
	s_delay_alu instid0(VALU_DEP_4) | instskip(SKIP_3) | instid1(VALU_DEP_3)
	v_mul_u32_u24_e32 v28, 0x10001, v16
	v_and_b32_e32 v16, 0xffff, v17
	v_mul_u32_u24_e32 v47, 0x10001, v26
	v_mul_u32_u24_e32 v49, 0x10001, v27
	;; [unrolled: 1-line block ×3, first 2 shown]
	v_and_b32_e32 v16, 0xffff, v18
	s_delay_alu instid0(VALU_DEP_1) | instskip(SKIP_1) | instid1(VALU_DEP_1)
	v_mul_u32_u24_e32 v46, 0x10001, v16
	v_and_b32_e32 v16, 0xffff, v19
	v_mul_u32_u24_e32 v48, 0x10001, v16
	ds_load_b128 v[16:19], v143 offset:1792
	s_wait_dscnt 0x0
	v_dual_lshrrev_b32 v22, 16, v16 :: v_dual_lshrrev_b32 v23, 16, v17
	v_dual_lshrrev_b32 v26, 16, v18 :: v_dual_lshrrev_b32 v27, 16, v19
	v_and_b32_e32 v16, 0xffff, v16
	v_and_b32_e32 v17, 0xffff, v17
	;; [unrolled: 1-line block ×4, first 2 shown]
	v_mul_u32_u24_e32 v50, 0x10001, v22
	v_mul_u32_u24_e32 v16, 0x10001, v16
	;; [unrolled: 1-line block ×7, first 2 shown]
	v_pk_fma_f16 v22, v20, v28, v32
	v_pk_fma_f16 v23, v20, v43, v24
	;; [unrolled: 1-line block ×7, first 2 shown]
	v_mul_u32_u24_e32 v53, 0x10001, v27
	v_pk_fma_f16 v27, v20, v47, v31
	v_pk_fma_f16 v30, v20, v16, v35
	;; [unrolled: 1-line block ×5, first 2 shown]
	ds_load_b128 v[16:19], v143 offset:784
	v_pk_fma_f16 v33, v20, v51, v38
	v_pk_fma_f16 v31, v20, v50, v37
	;; [unrolled: 1-line block ×4, first 2 shown]
	s_wait_dscnt 0x0
	v_dual_lshrrev_b32 v38, 16, v16 :: v_dual_lshrrev_b32 v40, 16, v17
	v_and_b32_e32 v16, 0xffff, v16
	v_dual_lshrrev_b32 v42, 16, v18 :: v_dual_lshrrev_b32 v44, 16, v19
	s_delay_alu instid0(VALU_DEP_3) | instskip(NEXT) | instid1(VALU_DEP_4)
	v_mul_u32_u24_e32 v38, 0x10001, v38
	v_mul_u32_u24_e32 v40, 0x10001, v40
	s_delay_alu instid0(VALU_DEP_4)
	v_mul_u32_u24_e32 v37, 0x10001, v16
	v_and_b32_e32 v16, 0xffff, v17
	v_mul_u32_u24_e32 v42, 0x10001, v42
	v_mul_u32_u24_e32 v44, 0x10001, v44
	v_pk_fma_f16 v23, v21, v38, v23
	v_pk_fma_f16 v22, v21, v37, v22
	v_mul_u32_u24_e32 v39, 0x10001, v16
	v_and_b32_e32 v16, 0xffff, v18
	v_pk_fma_f16 v25, v21, v40, v25
	v_pk_fma_f16 v27, v21, v42, v27
	;; [unrolled: 1-line block ×4, first 2 shown]
	v_mul_u32_u24_e32 v41, 0x10001, v16
	v_and_b32_e32 v16, 0xffff, v19
	s_delay_alu instid0(VALU_DEP_2) | instskip(NEXT) | instid1(VALU_DEP_2)
	v_pk_fma_f16 v26, v21, v41, v26
	v_mul_u32_u24_e32 v43, 0x10001, v16
	ds_load_b128 v[16:19], v143 offset:1808
	v_pk_fma_f16 v28, v21, v43, v28
	s_wait_dscnt 0x0
	v_dual_lshrrev_b32 v45, 16, v16 :: v_dual_lshrrev_b32 v46, 16, v17
	v_dual_lshrrev_b32 v47, 16, v18 :: v_dual_lshrrev_b32 v48, 16, v19
	v_and_b32_e32 v16, 0xffff, v16
	v_and_b32_e32 v17, 0xffff, v17
	v_and_b32_e32 v18, 0xffff, v18
	v_and_b32_e32 v19, 0xffff, v19
	v_mul_u32_u24_e32 v45, 0x10001, v45
	v_mul_u32_u24_e32 v16, 0x10001, v16
	;; [unrolled: 1-line block ×8, first 2 shown]
	v_pk_fma_f16 v30, v21, v16, v30
	v_pk_fma_f16 v31, v21, v45, v31
	v_pk_fma_f16 v32, v21, v17, v32
	v_pk_fma_f16 v33, v21, v46, v33
	v_pk_fma_f16 v34, v21, v18, v34
	v_pk_fma_f16 v35, v21, v47, v35
	v_pk_fma_f16 v36, v21, v19, v36
	v_pk_fma_f16 v37, v21, v48, v20
	ds_load_2addr_b32 v[16:17], v151 offset0:64 offset1:96
	ds_load_b128 v[18:21], v143 offset:800
	s_wait_dscnt 0x0
	v_dual_lshrrev_b32 v38, 16, v18 :: v_dual_lshrrev_b32 v39, 16, v19
	v_and_b32_e32 v18, 0xffff, v18
	v_dual_lshrrev_b32 v40, 16, v20 :: v_dual_lshrrev_b32 v41, 16, v21
	s_delay_alu instid0(VALU_DEP_3) | instskip(NEXT) | instid1(VALU_DEP_4)
	v_mul_u32_u24_e32 v38, 0x10001, v38
	v_mul_u32_u24_e32 v39, 0x10001, v39
	s_delay_alu instid0(VALU_DEP_4) | instskip(SKIP_3) | instid1(VALU_DEP_3)
	v_mul_u32_u24_e32 v42, 0x10001, v18
	v_and_b32_e32 v18, 0xffff, v19
	v_mul_u32_u24_e32 v40, 0x10001, v40
	v_mul_u32_u24_e32 v41, 0x10001, v41
	;; [unrolled: 1-line block ×3, first 2 shown]
	v_and_b32_e32 v18, 0xffff, v20
	s_delay_alu instid0(VALU_DEP_1) | instskip(SKIP_1) | instid1(VALU_DEP_1)
	v_mul_u32_u24_e32 v44, 0x10001, v18
	v_and_b32_e32 v18, 0xffff, v21
	v_mul_u32_u24_e32 v45, 0x10001, v18
	ds_load_b128 v[18:21], v143 offset:1824
	s_wait_dscnt 0x0
	v_dual_lshrrev_b32 v46, 16, v18 :: v_dual_lshrrev_b32 v47, 16, v19
	v_and_b32_e32 v18, 0xffff, v18
	v_dual_lshrrev_b32 v48, 16, v20 :: v_dual_lshrrev_b32 v49, 16, v21
	s_delay_alu instid0(VALU_DEP_3) | instskip(NEXT) | instid1(VALU_DEP_4)
	v_mul_u32_u24_e32 v46, 0x10001, v46
	v_mul_u32_u24_e32 v47, 0x10001, v47
	s_delay_alu instid0(VALU_DEP_4)
	v_mul_u32_u24_e32 v50, 0x10001, v18
	v_and_b32_e32 v18, 0xffff, v19
	v_mul_u32_u24_e32 v48, 0x10001, v48
	v_mul_u32_u24_e32 v49, 0x10001, v49
	v_pk_fma_f16 v19, v16, v38, v23
	v_pk_fma_f16 v23, v16, v40, v27
	v_mul_u32_u24_e32 v51, 0x10001, v18
	v_and_b32_e32 v18, 0xffff, v20
	v_pk_fma_f16 v20, v16, v43, v24
	v_pk_fma_f16 v24, v16, v45, v28
	;; [unrolled: 1-line block ×4, first 2 shown]
	v_mul_u32_u24_e32 v52, 0x10001, v18
	v_and_b32_e32 v18, 0xffff, v21
	v_pk_fma_f16 v21, v16, v39, v25
	v_pk_fma_f16 v25, v16, v41, v29
	;; [unrolled: 1-line block ×4, first 2 shown]
	v_mul_u32_u24_e32 v53, 0x10001, v18
	v_pk_fma_f16 v18, v16, v42, v22
	v_pk_fma_f16 v22, v16, v44, v26
	;; [unrolled: 1-line block ×6, first 2 shown]
	ds_load_b128 v[34:37], v143 offset:816
	s_wait_dscnt 0x0
	v_dual_lshrrev_b32 v33, 16, v34 :: v_dual_lshrrev_b32 v38, 16, v35
	v_and_b32_e32 v34, 0xffff, v34
	v_dual_lshrrev_b32 v39, 16, v36 :: v_dual_lshrrev_b32 v40, 16, v37
	s_delay_alu instid0(VALU_DEP_3) | instskip(NEXT) | instid1(VALU_DEP_4)
	v_mul_u32_u24_e32 v33, 0x10001, v33
	v_mul_u32_u24_e32 v38, 0x10001, v38
	s_delay_alu instid0(VALU_DEP_4)
	v_mul_u32_u24_e32 v41, 0x10001, v34
	v_and_b32_e32 v34, 0xffff, v35
	v_mul_u32_u24_e32 v39, 0x10001, v39
	v_mul_u32_u24_e32 v40, 0x10001, v40
	v_pk_fma_f16 v33, v17, v33, v19
	v_pk_fma_f16 v41, v17, v41, v18
	v_mul_u32_u24_e32 v42, 0x10001, v34
	v_and_b32_e32 v34, 0xffff, v36
	v_pk_fma_f16 v38, v17, v38, v21
	v_pk_fma_f16 v23, v17, v39, v23
	;; [unrolled: 1-line block ×4, first 2 shown]
	v_mul_u32_u24_e32 v43, 0x10001, v34
	v_and_b32_e32 v34, 0xffff, v37
	s_delay_alu instid0(VALU_DEP_2) | instskip(NEXT) | instid1(VALU_DEP_2)
	v_pk_fma_f16 v22, v17, v43, v22
	v_mul_u32_u24_e32 v44, 0x10001, v34
	ds_load_b128 v[34:37], v143 offset:1840
	v_pk_fma_f16 v24, v17, v44, v24
	s_wait_dscnt 0x0
	v_dual_lshrrev_b32 v45, 16, v34 :: v_dual_lshrrev_b32 v46, 16, v35
	v_dual_lshrrev_b32 v47, 16, v36 :: v_dual_lshrrev_b32 v48, 16, v37
	v_and_b32_e32 v34, 0xffff, v34
	v_and_b32_e32 v35, 0xffff, v35
	;; [unrolled: 1-line block ×4, first 2 shown]
	v_mul_u32_u24_e32 v45, 0x10001, v45
	v_mul_u32_u24_e32 v34, 0x10001, v34
	;; [unrolled: 1-line block ×8, first 2 shown]
	v_pk_fma_f16 v26, v17, v34, v26
	v_pk_fma_f16 v27, v17, v45, v27
	;; [unrolled: 1-line block ×8, first 2 shown]
	ds_load_2addr_b32 v[16:17], v151 offset0:128 offset1:160
	ds_load_b128 v[18:21], v143 offset:832
	s_wait_dscnt 0x0
	v_dual_lshrrev_b32 v35, 16, v18 :: v_dual_lshrrev_b32 v36, 16, v19
	v_and_b32_e32 v18, 0xffff, v18
	v_dual_lshrrev_b32 v37, 16, v20 :: v_dual_lshrrev_b32 v39, 16, v21
	s_delay_alu instid0(VALU_DEP_3) | instskip(NEXT) | instid1(VALU_DEP_4)
	v_mul_u32_u24_e32 v35, 0x10001, v35
	v_mul_u32_u24_e32 v36, 0x10001, v36
	s_delay_alu instid0(VALU_DEP_4) | instskip(SKIP_3) | instid1(VALU_DEP_3)
	v_mul_u32_u24_e32 v40, 0x10001, v18
	v_and_b32_e32 v18, 0xffff, v19
	v_mul_u32_u24_e32 v37, 0x10001, v37
	v_mul_u32_u24_e32 v39, 0x10001, v39
	;; [unrolled: 1-line block ×3, first 2 shown]
	v_and_b32_e32 v18, 0xffff, v20
	s_delay_alu instid0(VALU_DEP_4) | instskip(NEXT) | instid1(VALU_DEP_4)
	v_pk_fma_f16 v23, v16, v37, v23
	v_pk_fma_f16 v25, v16, v39, v25
	s_delay_alu instid0(VALU_DEP_3) | instskip(SKIP_1) | instid1(VALU_DEP_2)
	v_mul_u32_u24_e32 v44, 0x10001, v18
	v_and_b32_e32 v18, 0xffff, v21
	v_pk_fma_f16 v22, v16, v44, v22
	s_delay_alu instid0(VALU_DEP_2)
	v_mul_u32_u24_e32 v45, 0x10001, v18
	ds_load_b128 v[18:21], v143 offset:1856
	v_pk_fma_f16 v24, v16, v45, v24
	s_wait_dscnt 0x0
	v_dual_lshrrev_b32 v46, 16, v18 :: v_dual_lshrrev_b32 v47, 16, v19
	v_and_b32_e32 v18, 0xffff, v18
	v_dual_lshrrev_b32 v48, 16, v20 :: v_dual_lshrrev_b32 v49, 16, v21
	s_delay_alu instid0(VALU_DEP_3) | instskip(NEXT) | instid1(VALU_DEP_4)
	v_mul_u32_u24_e32 v46, 0x10001, v46
	v_mul_u32_u24_e32 v47, 0x10001, v47
	s_delay_alu instid0(VALU_DEP_4)
	v_mul_u32_u24_e32 v50, 0x10001, v18
	v_and_b32_e32 v18, 0xffff, v19
	v_mul_u32_u24_e32 v48, 0x10001, v48
	v_mul_u32_u24_e32 v49, 0x10001, v49
	v_pk_fma_f16 v19, v16, v35, v33
	v_pk_fma_f16 v26, v16, v50, v26
	v_mul_u32_u24_e32 v51, 0x10001, v18
	v_and_b32_e32 v18, 0xffff, v20
	v_pk_fma_f16 v20, v16, v43, v42
	v_pk_fma_f16 v27, v16, v46, v27
	;; [unrolled: 1-line block ×4, first 2 shown]
	v_mul_u32_u24_e32 v52, 0x10001, v18
	v_and_b32_e32 v18, 0xffff, v21
	v_pk_fma_f16 v21, v16, v36, v38
	v_pk_fma_f16 v31, v16, v48, v31
	s_delay_alu instid0(VALU_DEP_4) | instskip(NEXT) | instid1(VALU_DEP_4)
	v_pk_fma_f16 v30, v16, v52, v30
	v_mul_u32_u24_e32 v53, 0x10001, v18
	v_pk_fma_f16 v18, v16, v40, v41
	s_delay_alu instid0(VALU_DEP_2)
	v_pk_fma_f16 v32, v16, v53, v32
	v_pk_fma_f16 v16, v16, v49, v34
	ds_load_b128 v[34:37], v143 offset:848
	s_wait_dscnt 0x0
	v_dual_lshrrev_b32 v33, 16, v34 :: v_dual_lshrrev_b32 v38, 16, v35
	v_and_b32_e32 v34, 0xffff, v34
	v_dual_lshrrev_b32 v39, 16, v36 :: v_dual_lshrrev_b32 v40, 16, v37
	s_delay_alu instid0(VALU_DEP_3) | instskip(NEXT) | instid1(VALU_DEP_4)
	v_mul_u32_u24_e32 v33, 0x10001, v33
	v_mul_u32_u24_e32 v38, 0x10001, v38
	s_delay_alu instid0(VALU_DEP_4)
	v_mul_u32_u24_e32 v41, 0x10001, v34
	v_and_b32_e32 v34, 0xffff, v35
	v_mul_u32_u24_e32 v39, 0x10001, v39
	v_mul_u32_u24_e32 v40, 0x10001, v40
	v_pk_fma_f16 v33, v17, v33, v19
	v_pk_fma_f16 v41, v17, v41, v18
	v_mul_u32_u24_e32 v42, 0x10001, v34
	v_and_b32_e32 v34, 0xffff, v36
	v_pk_fma_f16 v38, v17, v38, v21
	v_pk_fma_f16 v23, v17, v39, v23
	;; [unrolled: 1-line block ×4, first 2 shown]
	v_mul_u32_u24_e32 v43, 0x10001, v34
	v_and_b32_e32 v34, 0xffff, v37
	s_delay_alu instid0(VALU_DEP_2) | instskip(NEXT) | instid1(VALU_DEP_2)
	v_pk_fma_f16 v22, v17, v43, v22
	v_mul_u32_u24_e32 v44, 0x10001, v34
	ds_load_b128 v[34:37], v143 offset:1872
	v_pk_fma_f16 v24, v17, v44, v24
	s_wait_dscnt 0x0
	v_dual_lshrrev_b32 v45, 16, v34 :: v_dual_lshrrev_b32 v46, 16, v35
	v_dual_lshrrev_b32 v47, 16, v36 :: v_dual_lshrrev_b32 v48, 16, v37
	v_and_b32_e32 v34, 0xffff, v34
	v_and_b32_e32 v35, 0xffff, v35
	;; [unrolled: 1-line block ×4, first 2 shown]
	v_mul_u32_u24_e32 v45, 0x10001, v45
	v_mul_u32_u24_e32 v34, 0x10001, v34
	;; [unrolled: 1-line block ×8, first 2 shown]
	v_pk_fma_f16 v26, v17, v34, v26
	v_pk_fma_f16 v27, v17, v45, v27
	;; [unrolled: 1-line block ×8, first 2 shown]
	ds_load_2addr_b32 v[16:17], v151 offset0:192 offset1:224
	ds_load_b128 v[18:21], v143 offset:864
	s_wait_dscnt 0x0
	v_dual_lshrrev_b32 v35, 16, v18 :: v_dual_lshrrev_b32 v36, 16, v19
	v_and_b32_e32 v18, 0xffff, v18
	v_dual_lshrrev_b32 v37, 16, v20 :: v_dual_lshrrev_b32 v39, 16, v21
	s_delay_alu instid0(VALU_DEP_3) | instskip(NEXT) | instid1(VALU_DEP_4)
	v_mul_u32_u24_e32 v35, 0x10001, v35
	v_mul_u32_u24_e32 v36, 0x10001, v36
	s_delay_alu instid0(VALU_DEP_4) | instskip(SKIP_3) | instid1(VALU_DEP_3)
	v_mul_u32_u24_e32 v40, 0x10001, v18
	v_and_b32_e32 v18, 0xffff, v19
	v_mul_u32_u24_e32 v37, 0x10001, v37
	v_mul_u32_u24_e32 v39, 0x10001, v39
	;; [unrolled: 1-line block ×3, first 2 shown]
	v_and_b32_e32 v18, 0xffff, v20
	s_delay_alu instid0(VALU_DEP_4) | instskip(NEXT) | instid1(VALU_DEP_4)
	v_pk_fma_f16 v23, v16, v37, v23
	v_pk_fma_f16 v25, v16, v39, v25
	s_delay_alu instid0(VALU_DEP_3) | instskip(SKIP_1) | instid1(VALU_DEP_2)
	v_mul_u32_u24_e32 v44, 0x10001, v18
	v_and_b32_e32 v18, 0xffff, v21
	v_pk_fma_f16 v22, v16, v44, v22
	s_delay_alu instid0(VALU_DEP_2)
	v_mul_u32_u24_e32 v45, 0x10001, v18
	ds_load_b128 v[18:21], v143 offset:1888
	v_pk_fma_f16 v24, v16, v45, v24
	s_wait_dscnt 0x0
	v_dual_lshrrev_b32 v46, 16, v18 :: v_dual_lshrrev_b32 v47, 16, v19
	v_and_b32_e32 v18, 0xffff, v18
	v_dual_lshrrev_b32 v48, 16, v20 :: v_dual_lshrrev_b32 v49, 16, v21
	s_delay_alu instid0(VALU_DEP_3) | instskip(NEXT) | instid1(VALU_DEP_4)
	v_mul_u32_u24_e32 v46, 0x10001, v46
	v_mul_u32_u24_e32 v47, 0x10001, v47
	s_delay_alu instid0(VALU_DEP_4)
	v_mul_u32_u24_e32 v50, 0x10001, v18
	v_and_b32_e32 v18, 0xffff, v19
	v_mul_u32_u24_e32 v48, 0x10001, v48
	v_mul_u32_u24_e32 v49, 0x10001, v49
	v_pk_fma_f16 v19, v16, v35, v33
	v_pk_fma_f16 v26, v16, v50, v26
	v_mul_u32_u24_e32 v51, 0x10001, v18
	v_and_b32_e32 v18, 0xffff, v20
	v_pk_fma_f16 v20, v16, v43, v42
	v_pk_fma_f16 v27, v16, v46, v27
	;; [unrolled: 1-line block ×4, first 2 shown]
	v_mul_u32_u24_e32 v52, 0x10001, v18
	v_and_b32_e32 v18, 0xffff, v21
	v_pk_fma_f16 v21, v16, v36, v38
	v_pk_fma_f16 v31, v16, v48, v31
	s_delay_alu instid0(VALU_DEP_4) | instskip(NEXT) | instid1(VALU_DEP_4)
	v_pk_fma_f16 v30, v16, v52, v30
	v_mul_u32_u24_e32 v53, 0x10001, v18
	v_pk_fma_f16 v18, v16, v40, v41
	s_delay_alu instid0(VALU_DEP_2)
	v_pk_fma_f16 v32, v16, v53, v32
	v_pk_fma_f16 v16, v16, v49, v34
	ds_load_b128 v[34:37], v143 offset:880
	s_wait_dscnt 0x0
	v_dual_lshrrev_b32 v33, 16, v34 :: v_dual_lshrrev_b32 v38, 16, v35
	v_and_b32_e32 v34, 0xffff, v34
	v_dual_lshrrev_b32 v39, 16, v36 :: v_dual_lshrrev_b32 v40, 16, v37
	s_delay_alu instid0(VALU_DEP_3) | instskip(NEXT) | instid1(VALU_DEP_4)
	v_mul_u32_u24_e32 v33, 0x10001, v33
	v_mul_u32_u24_e32 v38, 0x10001, v38
	s_delay_alu instid0(VALU_DEP_4)
	v_mul_u32_u24_e32 v41, 0x10001, v34
	v_and_b32_e32 v34, 0xffff, v35
	v_mul_u32_u24_e32 v39, 0x10001, v39
	v_mul_u32_u24_e32 v40, 0x10001, v40
	v_pk_fma_f16 v33, v17, v33, v19
	v_pk_fma_f16 v41, v17, v41, v18
	v_mul_u32_u24_e32 v42, 0x10001, v34
	v_and_b32_e32 v34, 0xffff, v36
	v_pk_fma_f16 v38, v17, v38, v21
	v_pk_fma_f16 v23, v17, v39, v23
	;; [unrolled: 1-line block ×4, first 2 shown]
	v_mul_u32_u24_e32 v43, 0x10001, v34
	v_and_b32_e32 v34, 0xffff, v37
	s_delay_alu instid0(VALU_DEP_2) | instskip(NEXT) | instid1(VALU_DEP_2)
	v_pk_fma_f16 v22, v17, v43, v22
	v_mul_u32_u24_e32 v44, 0x10001, v34
	ds_load_b128 v[34:37], v143 offset:1904
	v_pk_fma_f16 v24, v17, v44, v24
	s_wait_dscnt 0x0
	v_dual_lshrrev_b32 v45, 16, v34 :: v_dual_lshrrev_b32 v46, 16, v35
	v_dual_lshrrev_b32 v47, 16, v36 :: v_dual_lshrrev_b32 v48, 16, v37
	v_and_b32_e32 v34, 0xffff, v34
	v_and_b32_e32 v35, 0xffff, v35
	v_and_b32_e32 v36, 0xffff, v36
	v_and_b32_e32 v37, 0xffff, v37
	v_mul_u32_u24_e32 v45, 0x10001, v45
	v_mul_u32_u24_e32 v34, 0x10001, v34
	;; [unrolled: 1-line block ×8, first 2 shown]
	v_pk_fma_f16 v26, v17, v34, v26
	v_pk_fma_f16 v27, v17, v45, v27
	;; [unrolled: 1-line block ×8, first 2 shown]
	ds_load_2addr_b32 v[16:17], v152 offset1:32
	ds_load_b128 v[18:21], v143 offset:896
	s_wait_dscnt 0x0
	v_dual_lshrrev_b32 v35, 16, v18 :: v_dual_lshrrev_b32 v36, 16, v19
	v_and_b32_e32 v18, 0xffff, v18
	v_dual_lshrrev_b32 v37, 16, v20 :: v_dual_lshrrev_b32 v39, 16, v21
	s_delay_alu instid0(VALU_DEP_3) | instskip(NEXT) | instid1(VALU_DEP_4)
	v_mul_u32_u24_e32 v35, 0x10001, v35
	v_mul_u32_u24_e32 v36, 0x10001, v36
	s_delay_alu instid0(VALU_DEP_4) | instskip(SKIP_3) | instid1(VALU_DEP_3)
	v_mul_u32_u24_e32 v40, 0x10001, v18
	v_and_b32_e32 v18, 0xffff, v19
	v_mul_u32_u24_e32 v37, 0x10001, v37
	v_mul_u32_u24_e32 v39, 0x10001, v39
	;; [unrolled: 1-line block ×3, first 2 shown]
	v_and_b32_e32 v18, 0xffff, v20
	s_delay_alu instid0(VALU_DEP_4) | instskip(NEXT) | instid1(VALU_DEP_4)
	v_pk_fma_f16 v23, v16, v37, v23
	v_pk_fma_f16 v25, v16, v39, v25
	s_delay_alu instid0(VALU_DEP_3) | instskip(SKIP_1) | instid1(VALU_DEP_2)
	v_mul_u32_u24_e32 v44, 0x10001, v18
	v_and_b32_e32 v18, 0xffff, v21
	v_pk_fma_f16 v22, v16, v44, v22
	s_delay_alu instid0(VALU_DEP_2)
	v_mul_u32_u24_e32 v45, 0x10001, v18
	ds_load_b128 v[18:21], v143 offset:1920
	v_pk_fma_f16 v24, v16, v45, v24
	s_wait_dscnt 0x0
	v_dual_lshrrev_b32 v46, 16, v18 :: v_dual_lshrrev_b32 v47, 16, v19
	v_and_b32_e32 v18, 0xffff, v18
	v_dual_lshrrev_b32 v48, 16, v20 :: v_dual_lshrrev_b32 v49, 16, v21
	s_delay_alu instid0(VALU_DEP_3) | instskip(NEXT) | instid1(VALU_DEP_4)
	v_mul_u32_u24_e32 v46, 0x10001, v46
	v_mul_u32_u24_e32 v47, 0x10001, v47
	s_delay_alu instid0(VALU_DEP_4)
	v_mul_u32_u24_e32 v50, 0x10001, v18
	v_and_b32_e32 v18, 0xffff, v19
	v_mul_u32_u24_e32 v48, 0x10001, v48
	v_mul_u32_u24_e32 v49, 0x10001, v49
	v_pk_fma_f16 v19, v16, v35, v33
	v_pk_fma_f16 v26, v16, v50, v26
	v_mul_u32_u24_e32 v51, 0x10001, v18
	v_and_b32_e32 v18, 0xffff, v20
	v_pk_fma_f16 v20, v16, v43, v42
	v_pk_fma_f16 v27, v16, v46, v27
	;; [unrolled: 1-line block ×4, first 2 shown]
	v_mul_u32_u24_e32 v52, 0x10001, v18
	v_and_b32_e32 v18, 0xffff, v21
	v_pk_fma_f16 v21, v16, v36, v38
	v_pk_fma_f16 v31, v16, v48, v31
	s_delay_alu instid0(VALU_DEP_4) | instskip(NEXT) | instid1(VALU_DEP_4)
	v_pk_fma_f16 v30, v16, v52, v30
	v_mul_u32_u24_e32 v53, 0x10001, v18
	v_pk_fma_f16 v18, v16, v40, v41
	s_delay_alu instid0(VALU_DEP_2)
	v_pk_fma_f16 v32, v16, v53, v32
	v_pk_fma_f16 v16, v16, v49, v34
	ds_load_b128 v[34:37], v143 offset:912
	s_wait_dscnt 0x0
	v_dual_lshrrev_b32 v33, 16, v34 :: v_dual_lshrrev_b32 v38, 16, v35
	v_and_b32_e32 v34, 0xffff, v34
	v_dual_lshrrev_b32 v39, 16, v36 :: v_dual_lshrrev_b32 v40, 16, v37
	s_delay_alu instid0(VALU_DEP_3) | instskip(NEXT) | instid1(VALU_DEP_4)
	v_mul_u32_u24_e32 v33, 0x10001, v33
	v_mul_u32_u24_e32 v38, 0x10001, v38
	s_delay_alu instid0(VALU_DEP_4)
	v_mul_u32_u24_e32 v41, 0x10001, v34
	v_and_b32_e32 v34, 0xffff, v35
	v_mul_u32_u24_e32 v39, 0x10001, v39
	v_mul_u32_u24_e32 v40, 0x10001, v40
	v_pk_fma_f16 v33, v17, v33, v19
	v_pk_fma_f16 v41, v17, v41, v18
	v_mul_u32_u24_e32 v42, 0x10001, v34
	v_and_b32_e32 v34, 0xffff, v36
	v_pk_fma_f16 v38, v17, v38, v21
	v_pk_fma_f16 v23, v17, v39, v23
	;; [unrolled: 1-line block ×4, first 2 shown]
	v_mul_u32_u24_e32 v43, 0x10001, v34
	v_and_b32_e32 v34, 0xffff, v37
	s_delay_alu instid0(VALU_DEP_2) | instskip(NEXT) | instid1(VALU_DEP_2)
	v_pk_fma_f16 v22, v17, v43, v22
	v_mul_u32_u24_e32 v44, 0x10001, v34
	ds_load_b128 v[34:37], v143 offset:1936
	v_pk_fma_f16 v24, v17, v44, v24
	s_wait_dscnt 0x0
	v_dual_lshrrev_b32 v45, 16, v34 :: v_dual_lshrrev_b32 v46, 16, v35
	v_dual_lshrrev_b32 v47, 16, v36 :: v_dual_lshrrev_b32 v48, 16, v37
	v_and_b32_e32 v34, 0xffff, v34
	v_and_b32_e32 v35, 0xffff, v35
	v_and_b32_e32 v36, 0xffff, v36
	v_and_b32_e32 v37, 0xffff, v37
	v_mul_u32_u24_e32 v45, 0x10001, v45
	v_mul_u32_u24_e32 v34, 0x10001, v34
	;; [unrolled: 1-line block ×8, first 2 shown]
	v_pk_fma_f16 v26, v17, v34, v26
	v_pk_fma_f16 v27, v17, v45, v27
	;; [unrolled: 1-line block ×8, first 2 shown]
	ds_load_2addr_b32 v[16:17], v152 offset0:64 offset1:96
	ds_load_b128 v[18:21], v143 offset:928
	s_wait_dscnt 0x0
	v_dual_lshrrev_b32 v35, 16, v18 :: v_dual_lshrrev_b32 v36, 16, v19
	v_and_b32_e32 v18, 0xffff, v18
	v_dual_lshrrev_b32 v37, 16, v20 :: v_dual_lshrrev_b32 v39, 16, v21
	s_delay_alu instid0(VALU_DEP_3) | instskip(NEXT) | instid1(VALU_DEP_4)
	v_mul_u32_u24_e32 v35, 0x10001, v35
	v_mul_u32_u24_e32 v36, 0x10001, v36
	s_delay_alu instid0(VALU_DEP_4) | instskip(SKIP_3) | instid1(VALU_DEP_3)
	v_mul_u32_u24_e32 v40, 0x10001, v18
	v_and_b32_e32 v18, 0xffff, v19
	v_mul_u32_u24_e32 v37, 0x10001, v37
	v_mul_u32_u24_e32 v39, 0x10001, v39
	;; [unrolled: 1-line block ×3, first 2 shown]
	v_and_b32_e32 v18, 0xffff, v20
	s_delay_alu instid0(VALU_DEP_4) | instskip(NEXT) | instid1(VALU_DEP_4)
	v_pk_fma_f16 v23, v16, v37, v23
	v_pk_fma_f16 v25, v16, v39, v25
	s_delay_alu instid0(VALU_DEP_3) | instskip(SKIP_1) | instid1(VALU_DEP_2)
	v_mul_u32_u24_e32 v44, 0x10001, v18
	v_and_b32_e32 v18, 0xffff, v21
	v_pk_fma_f16 v22, v16, v44, v22
	s_delay_alu instid0(VALU_DEP_2)
	v_mul_u32_u24_e32 v45, 0x10001, v18
	ds_load_b128 v[18:21], v143 offset:1952
	v_pk_fma_f16 v24, v16, v45, v24
	s_wait_dscnt 0x0
	v_dual_lshrrev_b32 v46, 16, v18 :: v_dual_lshrrev_b32 v47, 16, v19
	v_and_b32_e32 v18, 0xffff, v18
	v_dual_lshrrev_b32 v48, 16, v20 :: v_dual_lshrrev_b32 v49, 16, v21
	s_delay_alu instid0(VALU_DEP_3) | instskip(NEXT) | instid1(VALU_DEP_4)
	v_mul_u32_u24_e32 v46, 0x10001, v46
	v_mul_u32_u24_e32 v47, 0x10001, v47
	s_delay_alu instid0(VALU_DEP_4)
	v_mul_u32_u24_e32 v50, 0x10001, v18
	v_and_b32_e32 v18, 0xffff, v19
	v_mul_u32_u24_e32 v48, 0x10001, v48
	v_mul_u32_u24_e32 v49, 0x10001, v49
	v_pk_fma_f16 v19, v16, v35, v33
	v_pk_fma_f16 v26, v16, v50, v26
	v_mul_u32_u24_e32 v51, 0x10001, v18
	v_and_b32_e32 v18, 0xffff, v20
	v_pk_fma_f16 v20, v16, v43, v42
	v_pk_fma_f16 v27, v16, v46, v27
	;; [unrolled: 1-line block ×4, first 2 shown]
	v_mul_u32_u24_e32 v52, 0x10001, v18
	v_and_b32_e32 v18, 0xffff, v21
	v_pk_fma_f16 v21, v16, v36, v38
	v_pk_fma_f16 v31, v16, v48, v31
	s_delay_alu instid0(VALU_DEP_4) | instskip(NEXT) | instid1(VALU_DEP_4)
	v_pk_fma_f16 v30, v16, v52, v30
	v_mul_u32_u24_e32 v53, 0x10001, v18
	v_pk_fma_f16 v18, v16, v40, v41
	s_delay_alu instid0(VALU_DEP_2)
	v_pk_fma_f16 v32, v16, v53, v32
	v_pk_fma_f16 v16, v16, v49, v34
	ds_load_b128 v[34:37], v143 offset:944
	s_wait_dscnt 0x0
	v_dual_lshrrev_b32 v33, 16, v34 :: v_dual_lshrrev_b32 v38, 16, v35
	v_and_b32_e32 v34, 0xffff, v34
	v_dual_lshrrev_b32 v39, 16, v36 :: v_dual_lshrrev_b32 v40, 16, v37
	s_delay_alu instid0(VALU_DEP_3) | instskip(NEXT) | instid1(VALU_DEP_4)
	v_mul_u32_u24_e32 v33, 0x10001, v33
	v_mul_u32_u24_e32 v38, 0x10001, v38
	s_delay_alu instid0(VALU_DEP_4)
	v_mul_u32_u24_e32 v41, 0x10001, v34
	v_and_b32_e32 v34, 0xffff, v35
	v_mul_u32_u24_e32 v39, 0x10001, v39
	v_mul_u32_u24_e32 v40, 0x10001, v40
	v_pk_fma_f16 v33, v17, v33, v19
	v_pk_fma_f16 v41, v17, v41, v18
	v_mul_u32_u24_e32 v42, 0x10001, v34
	v_and_b32_e32 v34, 0xffff, v36
	v_pk_fma_f16 v38, v17, v38, v21
	v_pk_fma_f16 v23, v17, v39, v23
	;; [unrolled: 1-line block ×4, first 2 shown]
	v_mul_u32_u24_e32 v43, 0x10001, v34
	v_and_b32_e32 v34, 0xffff, v37
	s_delay_alu instid0(VALU_DEP_2) | instskip(NEXT) | instid1(VALU_DEP_2)
	v_pk_fma_f16 v22, v17, v43, v22
	v_mul_u32_u24_e32 v44, 0x10001, v34
	ds_load_b128 v[34:37], v143 offset:1968
	v_pk_fma_f16 v24, v17, v44, v24
	s_wait_dscnt 0x0
	v_dual_lshrrev_b32 v45, 16, v34 :: v_dual_lshrrev_b32 v46, 16, v35
	v_dual_lshrrev_b32 v47, 16, v36 :: v_dual_lshrrev_b32 v48, 16, v37
	v_and_b32_e32 v34, 0xffff, v34
	v_and_b32_e32 v35, 0xffff, v35
	;; [unrolled: 1-line block ×4, first 2 shown]
	v_mul_u32_u24_e32 v45, 0x10001, v45
	v_mul_u32_u24_e32 v34, 0x10001, v34
	;; [unrolled: 1-line block ×8, first 2 shown]
	v_pk_fma_f16 v26, v17, v34, v26
	v_pk_fma_f16 v27, v17, v45, v27
	;; [unrolled: 1-line block ×8, first 2 shown]
	ds_load_2addr_b32 v[16:17], v152 offset0:128 offset1:160
	ds_load_b128 v[18:21], v143 offset:960
	s_wait_dscnt 0x0
	v_dual_lshrrev_b32 v35, 16, v18 :: v_dual_lshrrev_b32 v36, 16, v19
	v_and_b32_e32 v18, 0xffff, v18
	v_dual_lshrrev_b32 v37, 16, v20 :: v_dual_lshrrev_b32 v39, 16, v21
	s_delay_alu instid0(VALU_DEP_3) | instskip(NEXT) | instid1(VALU_DEP_4)
	v_mul_u32_u24_e32 v35, 0x10001, v35
	v_mul_u32_u24_e32 v36, 0x10001, v36
	s_delay_alu instid0(VALU_DEP_4) | instskip(SKIP_3) | instid1(VALU_DEP_3)
	v_mul_u32_u24_e32 v40, 0x10001, v18
	v_and_b32_e32 v18, 0xffff, v19
	v_mul_u32_u24_e32 v37, 0x10001, v37
	v_mul_u32_u24_e32 v39, 0x10001, v39
	;; [unrolled: 1-line block ×3, first 2 shown]
	v_and_b32_e32 v18, 0xffff, v20
	s_delay_alu instid0(VALU_DEP_4) | instskip(NEXT) | instid1(VALU_DEP_4)
	v_pk_fma_f16 v23, v16, v37, v23
	v_pk_fma_f16 v25, v16, v39, v25
	s_delay_alu instid0(VALU_DEP_3) | instskip(SKIP_1) | instid1(VALU_DEP_2)
	v_mul_u32_u24_e32 v44, 0x10001, v18
	v_and_b32_e32 v18, 0xffff, v21
	v_pk_fma_f16 v22, v16, v44, v22
	s_delay_alu instid0(VALU_DEP_2)
	v_mul_u32_u24_e32 v45, 0x10001, v18
	ds_load_b128 v[18:21], v143 offset:1984
	v_pk_fma_f16 v24, v16, v45, v24
	s_wait_dscnt 0x0
	v_dual_lshrrev_b32 v46, 16, v18 :: v_dual_lshrrev_b32 v47, 16, v19
	v_and_b32_e32 v18, 0xffff, v18
	v_dual_lshrrev_b32 v48, 16, v20 :: v_dual_lshrrev_b32 v49, 16, v21
	s_delay_alu instid0(VALU_DEP_3) | instskip(NEXT) | instid1(VALU_DEP_4)
	v_mul_u32_u24_e32 v46, 0x10001, v46
	v_mul_u32_u24_e32 v47, 0x10001, v47
	s_delay_alu instid0(VALU_DEP_4)
	v_mul_u32_u24_e32 v50, 0x10001, v18
	v_and_b32_e32 v18, 0xffff, v19
	v_mul_u32_u24_e32 v48, 0x10001, v48
	v_mul_u32_u24_e32 v49, 0x10001, v49
	v_pk_fma_f16 v19, v16, v35, v33
	v_pk_fma_f16 v26, v16, v50, v26
	v_mul_u32_u24_e32 v51, 0x10001, v18
	v_and_b32_e32 v18, 0xffff, v20
	v_pk_fma_f16 v20, v16, v43, v42
	v_pk_fma_f16 v27, v16, v46, v27
	;; [unrolled: 1-line block ×4, first 2 shown]
	v_mul_u32_u24_e32 v52, 0x10001, v18
	v_and_b32_e32 v18, 0xffff, v21
	v_pk_fma_f16 v21, v16, v36, v38
	v_pk_fma_f16 v31, v16, v48, v31
	s_delay_alu instid0(VALU_DEP_4) | instskip(NEXT) | instid1(VALU_DEP_4)
	v_pk_fma_f16 v30, v16, v52, v30
	v_mul_u32_u24_e32 v53, 0x10001, v18
	v_pk_fma_f16 v18, v16, v40, v41
	s_delay_alu instid0(VALU_DEP_2)
	v_pk_fma_f16 v32, v16, v53, v32
	v_pk_fma_f16 v16, v16, v49, v34
	ds_load_b128 v[34:37], v143 offset:976
	s_wait_dscnt 0x0
	v_dual_lshrrev_b32 v33, 16, v34 :: v_dual_lshrrev_b32 v38, 16, v35
	v_and_b32_e32 v34, 0xffff, v34
	v_dual_lshrrev_b32 v39, 16, v36 :: v_dual_lshrrev_b32 v40, 16, v37
	s_delay_alu instid0(VALU_DEP_3) | instskip(NEXT) | instid1(VALU_DEP_4)
	v_mul_u32_u24_e32 v33, 0x10001, v33
	v_mul_u32_u24_e32 v38, 0x10001, v38
	s_delay_alu instid0(VALU_DEP_4)
	v_mul_u32_u24_e32 v41, 0x10001, v34
	v_and_b32_e32 v34, 0xffff, v35
	v_mul_u32_u24_e32 v39, 0x10001, v39
	v_mul_u32_u24_e32 v40, 0x10001, v40
	v_pk_fma_f16 v33, v17, v33, v19
	v_pk_fma_f16 v41, v17, v41, v18
	v_mul_u32_u24_e32 v42, 0x10001, v34
	v_and_b32_e32 v34, 0xffff, v36
	v_pk_fma_f16 v38, v17, v38, v21
	v_pk_fma_f16 v39, v17, v39, v23
	;; [unrolled: 1-line block ×4, first 2 shown]
	v_mul_u32_u24_e32 v43, 0x10001, v34
	v_and_b32_e32 v34, 0xffff, v37
	s_delay_alu instid0(VALU_DEP_2) | instskip(NEXT) | instid1(VALU_DEP_2)
	v_pk_fma_f16 v43, v17, v43, v22
	v_mul_u32_u24_e32 v44, 0x10001, v34
	ds_load_b128 v[34:37], v143 offset:2000
	v_pk_fma_f16 v44, v17, v44, v24
	s_wait_dscnt 0x0
	v_dual_lshrrev_b32 v45, 16, v34 :: v_dual_lshrrev_b32 v46, 16, v35
	v_dual_lshrrev_b32 v47, 16, v36 :: v_dual_lshrrev_b32 v48, 16, v37
	v_and_b32_e32 v34, 0xffff, v34
	v_and_b32_e32 v35, 0xffff, v35
	v_and_b32_e32 v36, 0xffff, v36
	v_and_b32_e32 v37, 0xffff, v37
	v_mul_u32_u24_e32 v45, 0x10001, v45
	v_mul_u32_u24_e32 v34, 0x10001, v34
	;; [unrolled: 1-line block ×8, first 2 shown]
	v_pk_fma_f16 v34, v17, v34, v26
	v_pk_fma_f16 v45, v17, v45, v27
	;; [unrolled: 1-line block ×8, first 2 shown]
	ds_load_2addr_b32 v[20:21], v152 offset0:192 offset1:224
	ds_load_b128 v[16:19], v143 offset:992
	s_wait_dscnt 0x0
	v_dual_lshrrev_b32 v22, 16, v16 :: v_dual_lshrrev_b32 v23, 16, v17
	v_and_b32_e32 v16, 0xffff, v16
	v_dual_lshrrev_b32 v24, 16, v18 :: v_dual_lshrrev_b32 v25, 16, v19
	s_delay_alu instid0(VALU_DEP_3) | instskip(NEXT) | instid1(VALU_DEP_4)
	v_mul_u32_u24_e32 v27, 0x10001, v22
	v_mul_u32_u24_e32 v29, 0x10001, v23
	s_delay_alu instid0(VALU_DEP_4) | instskip(SKIP_3) | instid1(VALU_DEP_3)
	v_mul_u32_u24_e32 v26, 0x10001, v16
	v_and_b32_e32 v16, 0xffff, v17
	v_mul_u32_u24_e32 v31, 0x10001, v24
	v_mul_u32_u24_e32 v49, 0x10001, v25
	;; [unrolled: 1-line block ×3, first 2 shown]
	v_and_b32_e32 v16, 0xffff, v18
	s_delay_alu instid0(VALU_DEP_1) | instskip(SKIP_1) | instid1(VALU_DEP_1)
	v_mul_u32_u24_e32 v30, 0x10001, v16
	v_and_b32_e32 v16, 0xffff, v19
	v_mul_u32_u24_e32 v32, 0x10001, v16
	ds_load_b128 v[16:19], v143 offset:2016
	s_wait_dscnt 0x0
	v_dual_lshrrev_b32 v22, 16, v16 :: v_dual_lshrrev_b32 v23, 16, v17
	v_dual_lshrrev_b32 v24, 16, v18 :: v_dual_lshrrev_b32 v25, 16, v19
	v_and_b32_e32 v16, 0xffff, v16
	v_and_b32_e32 v17, 0xffff, v17
	;; [unrolled: 1-line block ×4, first 2 shown]
	v_mul_u32_u24_e32 v50, 0x10001, v22
	v_mul_u32_u24_e32 v16, 0x10001, v16
	;; [unrolled: 1-line block ×6, first 2 shown]
	v_pk_fma_f16 v22, v20, v26, v41
	v_pk_fma_f16 v24, v20, v28, v42
	;; [unrolled: 1-line block ×8, first 2 shown]
	ds_load_b128 v[16:19], v143 offset:1008
	v_mul_u32_u24_e32 v53, 0x10001, v25
	v_pk_fma_f16 v25, v20, v29, v38
	v_mul_u32_u24_e32 v51, 0x10001, v23
	v_pk_fma_f16 v23, v20, v27, v33
	v_pk_fma_f16 v27, v20, v31, v39
	v_pk_fma_f16 v29, v20, v49, v40
	v_pk_fma_f16 v31, v20, v50, v45
	v_pk_fma_f16 v33, v20, v51, v46
	v_pk_fma_f16 v35, v20, v52, v47
	v_pk_fma_f16 v20, v20, v53, v48
	s_wait_dscnt 0x0
	v_dual_lshrrev_b32 v38, 16, v16 :: v_dual_lshrrev_b32 v40, 16, v17
	v_and_b32_e32 v16, 0xffff, v16
	v_dual_lshrrev_b32 v42, 16, v18 :: v_dual_lshrrev_b32 v44, 16, v19
	s_delay_alu instid0(VALU_DEP_3) | instskip(NEXT) | instid1(VALU_DEP_4)
	v_mul_u32_u24_e32 v38, 0x10001, v38
	v_mul_u32_u24_e32 v40, 0x10001, v40
	s_delay_alu instid0(VALU_DEP_4)
	v_mul_u32_u24_e32 v37, 0x10001, v16
	v_and_b32_e32 v16, 0xffff, v17
	v_mul_u32_u24_e32 v42, 0x10001, v42
	v_mul_u32_u24_e32 v44, 0x10001, v44
	v_pk_fma_f16 v172, v21, v38, v23
	v_pk_fma_f16 v173, v21, v37, v22
	v_mul_u32_u24_e32 v39, 0x10001, v16
	v_and_b32_e32 v16, 0xffff, v18
	v_pk_fma_f16 v170, v21, v40, v25
	v_pk_fma_f16 v168, v21, v42, v27
	;; [unrolled: 1-line block ×4, first 2 shown]
	v_mul_u32_u24_e32 v41, 0x10001, v16
	v_and_b32_e32 v16, 0xffff, v19
	s_delay_alu instid0(VALU_DEP_2) | instskip(NEXT) | instid1(VALU_DEP_2)
	v_pk_fma_f16 v169, v21, v41, v26
	v_mul_u32_u24_e32 v43, 0x10001, v16
	ds_load_b128 v[16:19], v143 offset:2032
	s_wait_dscnt 0x0
	s_barrier_signal -1
	s_barrier_wait -1
	s_load_b32 s3, s[10:11], 0x4
	v_pk_fma_f16 v167, v21, v43, v28
	v_dual_lshrrev_b32 v45, 16, v16 :: v_dual_lshrrev_b32 v46, 16, v17
	v_dual_lshrrev_b32 v47, 16, v18 :: v_dual_lshrrev_b32 v48, 16, v19
	v_and_b32_e32 v16, 0xffff, v16
	v_and_b32_e32 v17, 0xffff, v17
	;; [unrolled: 1-line block ×4, first 2 shown]
	v_mul_u32_u24_e32 v45, 0x10001, v45
	v_mul_u32_u24_e32 v16, 0x10001, v16
	;; [unrolled: 1-line block ×8, first 2 shown]
	s_wait_kmcnt 0x0
	s_lshl_b32 s3, s3, 6
	v_pk_fma_f16 v165, v21, v16, v30
	v_pk_fma_f16 v164, v21, v45, v31
	;; [unrolled: 1-line block ×8, first 2 shown]
	s_add_co_i32 s4, s3, s4
	s_delay_alu instid0(SALU_CYCLE_1)
	s_cmp_ge_i32 s4, s30
	s_cbranch_scc0 .LBB17_9
; %bb.10:
	s_clause 0x19
	scratch_load_b32 v140, off, off offset:12
	scratch_load_b32 v141, off, off offset:16
	scratch_load_b32 v142, off, off offset:20
	scratch_load_b32 v143, off, off offset:24
	scratch_load_b32 v144, off, off offset:28
	scratch_load_b32 v145, off, off offset:32
	scratch_load_b32 v146, off, off offset:36
	scratch_load_b32 v147, off, off offset:40
	scratch_load_b32 v148, off, off offset:44
	scratch_load_b32 v149, off, off offset:48
	scratch_load_b32 v150, off, off offset:52
	scratch_load_b32 v151, off, off offset:56
	scratch_load_b32 v152, off, off offset:60
	scratch_load_b32 v153, off, off offset:64
	scratch_load_b32 v154, off, off offset:68
	scratch_load_b32 v155, off, off offset:72
	scratch_load_b32 v156, off, off offset:76
	scratch_load_b32 v157, off, off offset:80
	scratch_load_b32 v174, off, off offset:84
	scratch_load_b32 v175, off, off offset:88
	scratch_load_b32 v176, off, off offset:92
	scratch_load_b32 v177, off, off offset:96
	scratch_load_b32 v178, off, off offset:100
	scratch_load_b32 v179, off, off offset:104
	scratch_load_b32 v180, off, off offset:108
	scratch_load_b32 v181, off, off offset:112
	v_dual_mov_b32 v18, v138 :: v_dual_mov_b32 v51, 32
.LBB17_11:
	v_lshlrev_b32_e32 v62, 1, v124
	s_delay_alu instid0(VALU_DEP_2)
	v_cmp_lt_i32_e32 vcc_lo, v139, v51
	s_cmp_lg_u64 s[12:13], 0
	s_cselect_b32 s3, -1, 0
	s_cmp_eq_u32 s31, 0
	v_cndmask_b32_e32 v16, v18, v139, vcc_lo
	v_cmp_lt_i32_e32 vcc_lo, v137, v51
	s_cselect_b32 s4, -1, 0
	s_delay_alu instid0(SALU_CYCLE_1) | instskip(NEXT) | instid1(VALU_DEP_2)
	s_and_b32 s3, s4, s3
	v_dual_cndmask_b32 v28, v18, v137 :: v_dual_lshlrev_b32 v19, 2, v16
	v_cmp_lt_i32_e32 vcc_lo, v135, v51
	s_delay_alu instid0(VALU_DEP_2)
	v_lshlrev_b32_e32 v49, 2, v28
	ds_bpermute_b32 v16, v19, v86
	ds_bpermute_b32 v17, v19, v87
	ds_bpermute_b32 v20, v19, v84
	ds_bpermute_b32 v21, v19, v85
	ds_bpermute_b32 v22, v19, v82
	ds_bpermute_b32 v23, v19, v83
	ds_bpermute_b32 v24, v19, v80
	ds_bpermute_b32 v25, v19, v81
	ds_bpermute_b32 v26, v19, v76
	ds_bpermute_b32 v27, v19, v77
	ds_bpermute_b32 v28, v19, v78
	ds_bpermute_b32 v29, v19, v79
	ds_bpermute_b32 v30, v19, v74
	ds_bpermute_b32 v31, v19, v75
	ds_bpermute_b32 v32, v19, v72
	ds_bpermute_b32 v33, v19, v73
	v_cndmask_b32_e32 v19, v18, v135, vcc_lo
	v_cmp_lt_i32_e32 vcc_lo, v136, v51
	s_wait_dscnt 0xe
	v_pk_add_f32 v[16:17], v[86:87], v[16:17]
	s_delay_alu instid0(VALU_DEP_3)
	v_dual_cndmask_b32 v50, v18, v136 :: v_dual_lshlrev_b32 v19, 2, v19
	s_wait_dscnt 0xc
	v_pk_add_f32 v[20:21], v[84:85], v[20:21]
	s_wait_dscnt 0xa
	v_pk_add_f32 v[22:23], v[82:83], v[22:23]
	ds_bpermute_b32 v34, v49, v16
	s_wait_dscnt 0x9
	v_pk_add_f32 v[24:25], v[80:81], v[24:25]
	ds_bpermute_b32 v35, v49, v17
	;; [unrolled: 3-line block ×6, first 2 shown]
	ds_bpermute_b32 v40, v49, v24
	ds_bpermute_b32 v41, v49, v25
	;; [unrolled: 1-line block ×10, first 2 shown]
	v_cmp_lt_i32_e32 vcc_lo, v134, v51
	s_wait_dscnt 0xe
	v_pk_add_f32 v[16:17], v[16:17], v[34:35]
	v_lshlrev_b32_e32 v50, 2, v50
	s_wait_dscnt 0xc
	v_pk_add_f32 v[20:21], v[20:21], v[36:37]
	ds_bpermute_b32 v34, v19, v16
	ds_bpermute_b32 v35, v19, v17
	v_cndmask_b32_e32 v51, v18, v134, vcc_lo
	s_wait_dscnt 0xc
	v_pk_add_f32 v[22:23], v[22:23], v[38:39]
	ds_bpermute_b32 v36, v19, v20
	s_wait_dscnt 0xb
	v_pk_add_f32 v[24:25], v[24:25], v[40:41]
	ds_bpermute_b32 v37, v19, v21
	;; [unrolled: 3-line block ×6, first 2 shown]
	ds_bpermute_b32 v42, v19, v26
	ds_bpermute_b32 v43, v19, v27
	;; [unrolled: 1-line block ×8, first 2 shown]
	s_wait_dscnt 0xe
	v_pk_add_f32 v[16:17], v[16:17], v[34:35]
	s_and_b32 vcc_lo, exec_lo, s3
	s_wait_dscnt 0xc
	v_pk_add_f32 v[20:21], v[20:21], v[36:37]
	ds_bpermute_b32 v34, v50, v16
	ds_bpermute_b32 v35, v50, v17
	s_wait_dscnt 0xc
	v_pk_add_f32 v[22:23], v[22:23], v[38:39]
	ds_bpermute_b32 v36, v50, v20
	ds_bpermute_b32 v37, v50, v21
	s_wait_dscnt 0xc
	v_pk_add_f32 v[24:25], v[24:25], v[40:41]
	ds_bpermute_b32 v38, v50, v22
	s_wait_dscnt 0xb
	v_pk_add_f32 v[26:27], v[26:27], v[42:43]
	;; [unrolled: 3-line block ×5, first 2 shown]
	ds_bpermute_b32 v42, v50, v26
	ds_bpermute_b32 v43, v50, v27
	;; [unrolled: 1-line block ×8, first 2 shown]
	v_lshlrev_b32_e32 v48, 2, v51
	s_wait_dscnt 0xe
	v_pk_add_f32 v[16:17], v[16:17], v[34:35]
	s_wait_dscnt 0xc
	v_pk_add_f32 v[20:21], v[20:21], v[36:37]
	;; [unrolled: 2-line block ×3, first 2 shown]
	ds_bpermute_b32 v34, v48, v16
	ds_bpermute_b32 v35, v48, v17
	ds_bpermute_b32 v36, v48, v20
	s_wait_dscnt 0xb
	v_pk_add_f32 v[24:25], v[24:25], v[40:41]
	ds_bpermute_b32 v37, v48, v21
	ds_bpermute_b32 v38, v48, v22
	s_wait_dscnt 0xb
	v_pk_add_f32 v[26:27], v[26:27], v[42:43]
	ds_bpermute_b32 v39, v48, v23
	s_wait_dscnt 0xa
	v_pk_add_f32 v[28:29], v[28:29], v[32:33]
	;; [unrolled: 3-line block ×4, first 2 shown]
	ds_bpermute_b32 v32, v48, v26
	ds_bpermute_b32 v33, v48, v27
	;; [unrolled: 1-line block ×8, first 2 shown]
	s_wait_dscnt 0xe
	v_pk_add_f32 v[48:49], v[16:17], v[34:35]
	s_wait_dscnt 0xc
	v_pk_add_f32 v[46:47], v[20:21], v[36:37]
	;; [unrolled: 2-line block ×8, first 2 shown]
	s_cbranch_vccz .LBB17_13
; %bb.12:
	s_ashr_i32 s3, s2, 31
	v_dual_mov_b32 v16, 0 :: v_dual_max_num_f32 v17, v1, v1
	s_lshl_b64 s[4:5], s[2:3], 2
	v_dual_max_num_f32 v19, v3, v3 :: v_dual_max_num_f32 v20, v4, v4
	s_add_nc_u64 s[4:5], s[12:13], s[4:5]
	v_max_num_f32_e32 v18, v2, v2
	global_load_b128 v[30:33], v16, s[4:5]
	s_wait_xcnt 0x0
	v_dual_max_num_f32 v16, v0, v0 :: v_dual_max_num_f32 v27, v11, v11
	v_dual_max_num_f32 v21, v5, v5 :: v_dual_max_num_f32 v22, v6, v6
	;; [unrolled: 1-line block ×4, first 2 shown]
	s_wait_loadcnt 0x0
	v_dual_max_num_f32 v50, v12, v12 :: v_dual_max_num_f32 v63, v33, v33
	v_dual_max_num_f32 v28, v30, v30 :: v_dual_max_num_f32 v29, v31, v31
	s_delay_alu instid0(VALU_DEP_2) | instskip(NEXT) | instid1(VALU_DEP_2)
	v_dual_max_num_f32 v64, v32, v32 :: v_dual_max_num_f32 v23, v23, v63
	v_dual_max_num_f32 v16, v16, v28 :: v_dual_max_num_f32 v17, v17, v29
	s_delay_alu instid0(VALU_DEP_2)
	v_dual_max_num_f32 v18, v18, v64 :: v_dual_max_num_f32 v19, v19, v63
	v_dual_max_num_f32 v20, v20, v28 :: v_dual_max_num_f32 v21, v21, v29
	v_max_num_f32_e32 v22, v22, v64
	v_dual_max_num_f32 v26, v26, v64 :: v_dual_max_num_f32 v27, v27, v63
	v_sub_f32_e32 v0, v0, v16
	v_dual_max_num_f32 v24, v24, v28 :: v_dual_max_num_f32 v25, v25, v29
	v_dual_max_num_f32 v28, v50, v28 :: v_dual_sub_f32 v1, v1, v17
	v_dual_sub_f32 v50, v30, v16 :: v_dual_sub_f32 v51, v31, v17
	v_dual_sub_f32 v52, v2, v18 :: v_dual_sub_f32 v59, v31, v21
	;; [unrolled: 1-line block ×4, first 2 shown]
	v_dual_mul_f32 v2, 0x3fb8aa3b, v0 :: v_dual_sub_f32 v53, v32, v18
	v_dual_sub_f32 v54, v3, v19 :: v_dual_sub_f32 v55, v33, v19
	v_dual_sub_f32 v56, v4, v20 :: v_dual_sub_f32 v57, v30, v20
	;; [unrolled: 1-line block ×3, first 2 shown]
	v_sub_f32_e32 v66, v7, v23
	v_dual_sub_f32 v71, v31, v25 :: v_dual_sub_f32 v72, v10, v26
	v_dual_mul_f32 v3, 0x3fb8aa3b, v50 :: v_dual_mul_f32 v4, 0x3fb8aa3b, v1
	v_dual_mul_f32 v77, 0x3fb8aa3b, v60 :: v_dual_mul_f32 v80, 0x3fb8aa3b, v67
	v_fma_f32 v89, 0x3fb8aa3b, v0, -v2
	v_rndne_f32_e32 v90, v2
	v_dual_sub_f32 v69, v30, v24 :: v_dual_sub_f32 v70, v9, v25
	v_dual_mul_f32 v5, 0x3fb8aa3b, v51 :: v_dual_mul_f32 v6, 0x3fb8aa3b, v52
	v_dual_mul_f32 v9, 0x3fb8aa3b, v55 :: v_dual_mul_f32 v10, 0x3fb8aa3b, v56
	;; [unrolled: 1-line block ×4, first 2 shown]
	v_fma_f32 v91, 0x3fb8aa3b, v50, -v3
	v_rndne_f32_e32 v92, v3
	v_fma_f32 v93, 0x3fb8aa3b, v1, -v4
	v_rndne_f32_e32 v94, v4
	v_fma_f32 v119, 0x3fb8aa3b, v67, -v80
	v_dual_fmac_f32 v89, 0x32a5705f, v0 :: v_dual_sub_f32 v2, v2, v90
	v_dual_sub_f32 v73, v32, v26 :: v_dual_sub_f32 v74, v11, v27
	v_rndne_f32_e32 v96, v5
	v_rndne_f32_e32 v98, v6
	v_fma_f32 v105, 0x3fb8aa3b, v56, -v10
	v_rndne_f32_e32 v106, v10
	v_rndne_f32_e32 v116, v78
	v_fma_f32 v121, 0x3fb8aa3b, v68, -v81
	v_rndne_f32_e32 v129, v84
	v_fmac_f32_e32 v91, 0x32a5705f, v50
	v_dual_sub_f32 v3, v3, v92 :: v_dual_sub_f32 v4, v4, v94
	v_fmac_f32_e32 v93, 0x32a5705f, v1
	v_dual_fmac_f32 v119, 0x32a5705f, v67 :: v_dual_add_f32 v2, v2, v89
	v_dual_mul_f32 v11, 0x3fb8aa3b, v57 :: v_dual_mul_f32 v76, 0x3fb8aa3b, v59
	v_dual_mul_f32 v7, 0x3fb8aa3b, v53 :: v_dual_mul_f32 v8, 0x3fb8aa3b, v54
	;; [unrolled: 1-line block ×3, first 2 shown]
	v_fma_f32 v95, 0x3fb8aa3b, v51, -v5
	v_fma_f32 v97, 0x3fb8aa3b, v52, -v6
	;; [unrolled: 1-line block ×4, first 2 shown]
	v_dual_sub_f32 v5, v5, v96 :: v_dual_sub_f32 v10, v10, v106
	v_dual_sub_f32 v6, v6, v98 :: v_dual_fmac_f32 v105, 0x32a5705f, v56
	v_dual_sub_f32 v84, v84, v129 :: v_dual_sub_f32 v78, v78, v116
	v_dual_fmac_f32 v121, 0x32a5705f, v68 :: v_dual_add_f32 v4, v4, v93
	s_delay_alu instid0(VALU_DEP_3)
	v_dual_add_f32 v3, v3, v91 :: v_dual_add_f32 v10, v10, v105
	v_exp_f32_e32 v2, v2
	v_rndne_f32_e32 v112, v76
	v_mul_f32_e32 v87, 0x3fb8aa3b, v74
	v_cvt_i32_f32_e32 v90, v90
	v_dual_mul_f32 v79, 0x3fb8aa3b, v66 :: v_dual_mul_f32 v82, 0x3fb8aa3b, v69
	v_rndne_f32_e32 v102, v8
	v_rndne_f32_e32 v104, v9
	v_fma_f32 v109, 0x3fb8aa3b, v58, -v75
	v_rndne_f32_e32 v110, v75
	v_fma_f32 v132, 0x3fb8aa3b, v73, -v86
	v_fmac_f32_e32 v95, 0x32a5705f, v51
	v_exp_f32_e32 v3, v3
	v_exp_f32_e32 v4, v4
	v_fma_f32 v101, 0x3fb8aa3b, v54, -v8
	v_fma_f32 v111, 0x3fb8aa3b, v59, -v76
	;; [unrolled: 1-line block ×3, first 2 shown]
	v_cvt_i32_f32_e32 v92, v92
	v_cvt_i32_f32_e32 v94, v94
	v_sub_f32_e32 v76, v76, v112
	v_fma_f32 v134, 0x3fb8aa3b, v74, -v87
	v_rndne_f32_e32 v135, v87
	v_ldexp_f32 v2, v2, v90
	v_cmp_ngt_f32_e32 vcc_lo, 0xc2ce8ed0, v0
	v_fma_f32 v99, 0x3fb8aa3b, v53, -v7
	v_rndne_f32_e32 v100, v7
	v_fma_f32 v103, 0x3fb8aa3b, v55, -v9
	v_rndne_f32_e32 v125, v82
	v_rndne_f32_e32 v127, v83
	v_dual_fmac_f32 v97, 0x32a5705f, v52 :: v_dual_sub_f32 v8, v8, v102
	v_dual_sub_f32 v9, v9, v104 :: v_dual_sub_f32 v75, v75, v110
	v_dual_fmac_f32 v109, 0x32a5705f, v58 :: v_dual_fmac_f32 v132, 0x32a5705f, v73
	v_add_f32_e32 v5, v5, v95
	v_dual_fmac_f32 v101, 0x32a5705f, v54 :: v_dual_fmac_f32 v128, 0x32a5705f, v71
	v_dual_fmac_f32 v113, 0x32a5705f, v60 :: v_dual_fmac_f32 v134, 0x32a5705f, v74
	s_delay_alu instid0(VALU_DEP_2)
	v_dual_sub_f32 v87, v87, v135 :: v_dual_add_f32 v8, v8, v101
	v_ldexp_f32 v3, v3, v92
	v_ldexp_f32 v4, v4, v94
	v_cndmask_b32_e32 v2, 0, v2, vcc_lo
	v_cmp_ngt_f32_e32 vcc_lo, 0xc2ce8ed0, v50
	v_rndne_f32_e32 v114, v77
	v_rndne_f32_e32 v120, v80
	v_fma_f32 v123, 0x3fb8aa3b, v69, -v82
	v_fma_f32 v126, 0x3fb8aa3b, v70, -v83
	v_fmac_f32_e32 v99, 0x32a5705f, v53
	v_dual_sub_f32 v7, v7, v100 :: v_dual_sub_f32 v77, v77, v114
	v_dual_sub_f32 v82, v82, v125 :: v_dual_sub_f32 v83, v83, v127
	v_add_f32_e32 v6, v6, v97
	v_add_f32_e32 v75, v75, v109
	v_exp_f32_e32 v5, v5
	v_cvt_i32_f32_e32 v96, v96
	v_dual_add_f32 v87, v87, v134 :: v_dual_cndmask_b32 v3, 0, v3, vcc_lo
	v_cmp_ngt_f32_e32 vcc_lo, 0xc2ce8ed0, v1
	v_dual_mul_f32 v85, 0x3fb8aa3b, v72 :: v_dual_mul_f32 v88, 0x3fb8aa3b, v61
	v_dual_sub_f32 v80, v80, v120 :: v_dual_add_f32 v7, v7, v99
	v_add_f32_e32 v77, v77, v113
	v_exp_f32_e32 v6, v6
	v_cvt_i32_f32_e32 v98, v98
	v_ldexp_f32 v5, v5, v96
	v_cndmask_b32_e32 v4, 0, v4, vcc_lo
	v_cmp_ngt_f32_e32 vcc_lo, 0xc2ce8ed0, v51
	v_fma_f32 v117, 0x3fb8aa3b, v66, -v79
	v_rndne_f32_e32 v118, v79
	v_rndne_f32_e32 v131, v85
	v_fma_f32 v136, 0x3fb8aa3b, v61, -v88
	v_dual_fmac_f32 v103, 0x32a5705f, v55 :: v_dual_fmac_f32 v126, 0x32a5705f, v70
	v_exp_f32_e32 v7, v7
	v_cvt_i32_f32_e32 v100, v100
	v_ldexp_f32 v6, v6, v98
	v_cndmask_b32_e32 v5, 0, v5, vcc_lo
	v_cmp_ngt_f32_e32 vcc_lo, 0xc2ce8ed0, v52
	v_fma_f32 v107, 0x3fb8aa3b, v57, -v11
	v_rndne_f32_e32 v108, v11
	v_fma_f32 v130, 0x3fb8aa3b, v72, -v85
	v_dual_fmac_f32 v117, 0x32a5705f, v66 :: v_dual_fmac_f32 v136, 0x32a5705f, v61
	v_dual_sub_f32 v79, v79, v118 :: v_dual_sub_f32 v85, v85, v131
	v_add_f32_e32 v9, v9, v103
	v_exp_f32_e32 v8, v8
	v_cvt_i32_f32_e32 v102, v102
	v_ldexp_f32 v7, v7, v100
	v_cndmask_b32_e32 v6, 0, v6, vcc_lo
	v_cmp_ngt_f32_e32 vcc_lo, 0xc2ce8ed0, v53
	v_rndne_f32_e32 v122, v81
	v_dual_fmac_f32 v107, 0x32a5705f, v57 :: v_dual_fmac_f32 v130, 0x32a5705f, v72
	v_sub_f32_e32 v11, v11, v108
	v_add_f32_e32 v79, v79, v117
	v_exp_f32_e32 v9, v9
	v_cvt_i32_f32_e32 v104, v104
	v_ldexp_f32 v8, v8, v102
	v_cndmask_b32_e32 v7, 0, v7, vcc_lo
	v_cmp_ngt_f32_e32 vcc_lo, 0xc2ce8ed0, v54
	v_rndne_f32_e32 v133, v86
	v_fmac_f32_e32 v111, 0x32a5705f, v59
	v_dual_sub_f32 v81, v81, v122 :: v_dual_add_f32 v11, v11, v107
	v_exp_f32_e32 v10, v10
	v_cvt_i32_f32_e32 v106, v106
	v_ldexp_f32 v9, v9, v104
	v_cndmask_b32_e32 v8, 0, v8, vcc_lo
	v_cmp_ngt_f32_e32 vcc_lo, 0xc2ce8ed0, v55
	v_sub_f32_e32 v86, v86, v133
	v_dual_fmac_f32 v115, 0x32a5705f, v65 :: v_dual_add_f32 v76, v76, v111
	v_add_f32_e32 v81, v81, v121
	v_exp_f32_e32 v11, v11
	v_cvt_i32_f32_e32 v108, v108
	v_ldexp_f32 v10, v10, v106
	v_cndmask_b32_e32 v9, 0, v9, vcc_lo
	v_cmp_ngt_f32_e32 vcc_lo, 0xc2ce8ed0, v56
	v_exp_f32_e32 v75, v75
	v_exp_f32_e32 v76, v76
	v_cvt_i32_f32_e32 v110, v110
	v_cvt_i32_f32_e32 v112, v112
	v_ldexp_f32 v11, v11, v108
	v_cndmask_b32_e32 v10, 0, v10, vcc_lo
	v_cmp_ngt_f32_e32 vcc_lo, 0xc2ce8ed0, v57
	v_exp_f32_e32 v77, v77
	v_cvt_i32_f32_e32 v114, v114
	v_ldexp_f32 v75, v75, v110
	v_ldexp_f32 v76, v76, v112
	v_cndmask_b32_e32 v11, 0, v11, vcc_lo
	v_cmp_ngt_f32_e32 vcc_lo, 0xc2ce8ed0, v58
	v_dual_fmac_f32 v123, 0x32a5705f, v69 :: v_dual_add_f32 v78, v78, v115
	v_ldexp_f32 v77, v77, v114
	v_cvt_i32_f32_e32 v116, v116
	v_cndmask_b32_e32 v75, 0, v75, vcc_lo
	v_cmp_ngt_f32_e32 vcc_lo, 0xc2ce8ed0, v59
	v_exp_f32_e32 v78, v78
	v_dual_add_f32 v80, v80, v119 :: v_dual_add_f32 v83, v83, v126
	v_exp_f32_e32 v79, v79
	v_cndmask_b32_e32 v76, 0, v76, vcc_lo
	v_cmp_ngt_f32_e32 vcc_lo, 0xc2ce8ed0, v60
	v_cvt_i32_f32_e32 v118, v118
	s_delay_alu instid0(TRANS32_DEP_2)
	v_ldexp_f32 v78, v78, v116
	v_exp_f32_e32 v80, v80
	v_cvt_i32_f32_e32 v120, v120
	v_cndmask_b32_e32 v77, 0, v77, vcc_lo
	v_cmp_ngt_f32_e32 vcc_lo, 0xc2ce8ed0, v65
	v_ldexp_f32 v79, v79, v118
	v_dual_add_f32 v82, v82, v123 :: v_dual_add_f32 v84, v84, v128
	v_exp_f32_e32 v81, v81
	v_cndmask_b32_e32 v78, 0, v78, vcc_lo
	v_cmp_ngt_f32_e32 vcc_lo, 0xc2ce8ed0, v66
	v_cvt_i32_f32_e32 v122, v122
	v_ldexp_f32 v80, v80, v120
	v_exp_f32_e32 v82, v82
	v_cvt_i32_f32_e32 v125, v125
	v_cndmask_b32_e32 v79, 0, v79, vcc_lo
	v_cmp_ngt_f32_e32 vcc_lo, 0xc2ce8ed0, v67
	v_ldexp_f32 v81, v81, v122
	v_exp_f32_e32 v83, v83
	v_cvt_i32_f32_e32 v127, v127
	v_ldexp_f32 v82, v82, v125
	v_cndmask_b32_e32 v80, 0, v80, vcc_lo
	v_cmp_ngt_f32_e32 vcc_lo, 0xc2ce8ed0, v68
	v_dual_add_f32 v85, v85, v130 :: v_dual_add_f32 v86, v86, v132
	v_exp_f32_e32 v84, v84
	v_cvt_i32_f32_e32 v129, v129
	v_cndmask_b32_e32 v81, 0, v81, vcc_lo
	v_cmp_ngt_f32_e32 vcc_lo, 0xc2ce8ed0, v69
	v_ldexp_f32 v83, v83, v127
	v_exp_f32_e32 v85, v85
	v_cvt_i32_f32_e32 v131, v131
	v_ldexp_f32 v84, v84, v129
	v_cndmask_b32_e32 v82, 0, v82, vcc_lo
	v_cmp_ngt_f32_e32 vcc_lo, 0xc2ce8ed0, v70
	v_exp_f32_e32 v86, v86
	v_cvt_i32_f32_e32 v133, v133
	v_ldexp_f32 v85, v85, v131
	v_rndne_f32_e32 v137, v88
	v_cndmask_b32_e32 v83, 0, v83, vcc_lo
	v_cmp_ngt_f32_e32 vcc_lo, 0xc2ce8ed0, v71
	v_exp_f32_e32 v87, v87
	v_ldexp_f32 v86, v86, v133
	v_cvt_i32_f32_e32 v135, v135
	v_sub_f32_e32 v12, v12, v28
	v_cndmask_b32_e32 v84, 0, v84, vcc_lo
	v_cmp_ngt_f32_e32 vcc_lo, 0xc2ce8ed0, v72
	s_delay_alu instid0(TRANS32_DEP_1) | instid1(VALU_DEP_4)
	v_ldexp_f32 v87, v87, v135
	v_cndmask_b32_e32 v85, 0, v85, vcc_lo
	v_cmp_ngt_f32_e32 vcc_lo, 0xc2ce8ed0, v73
	v_cndmask_b32_e32 v86, 0, v86, vcc_lo
	v_cmp_nlt_f32_e32 vcc_lo, 0x42b17218, v0
	v_cndmask_b32_e32 v0, 0x7f800000, v2, vcc_lo
	v_cmp_nlt_f32_e32 vcc_lo, 0x42b17218, v50
	;; [unrolled: 2-line block ×12, first 2 shown]
	v_cvt_f16_f32_e32 v59, v0
	v_cndmask_b32_e32 v11, 0x7f800000, v76, vcc_lo
	v_cmp_nlt_f32_e32 vcc_lo, 0x42b17218, v60
	s_delay_alu instid0(VALU_DEP_3) | instskip(SKIP_3) | instid1(VALU_DEP_4)
	v_and_b32_e32 v59, 0xffff, v59
	v_cndmask_b32_e32 v50, 0x7f800000, v77, vcc_lo
	v_cmp_nlt_f32_e32 vcc_lo, 0x42b17218, v65
	v_cvt_f16_f32_e32 v65, v1
	v_mul_u32_u24_e32 v59, 0x10001, v59
	v_cndmask_b32_e32 v52, 0x7f800000, v78, vcc_lo
	v_cmp_nlt_f32_e32 vcc_lo, 0x42b17218, v66
	v_cvt_f16_f32_e32 v66, v4
	v_and_b32_e32 v65, 0xffff, v65
	v_pk_mul_f16 v173, v173, v59
	v_sub_f32_e32 v59, v88, v137
	v_cndmask_b32_e32 v51, 0x7f800000, v79, vcc_lo
	v_cmp_nlt_f32_e32 vcc_lo, 0x42b17218, v67
	v_cvt_f16_f32_e32 v67, v5
	v_and_b32_e32 v66, 0xffff, v66
	v_mul_u32_u24_e32 v65, 0x10001, v65
	v_cndmask_b32_e32 v53, 0x7f800000, v80, vcc_lo
	v_cmp_nlt_f32_e32 vcc_lo, 0x42b17218, v68
	v_cvt_f16_f32_e32 v68, v8
	v_and_b32_e32 v67, 0xffff, v67
	v_mul_u32_u24_e32 v66, 0x10001, v66
	v_pk_mul_f16 v172, v172, v65
	v_cndmask_b32_e32 v54, 0x7f800000, v81, vcc_lo
	v_cmp_nlt_f32_e32 vcc_lo, 0x42b17218, v69
	v_cvt_f16_f32_e32 v69, v9
	v_and_b32_e32 v68, 0xffff, v68
	v_mul_u32_u24_e32 v67, 0x10001, v67
	v_pk_mul_f16 v171, v171, v66
	v_cndmask_b32_e32 v56, 0x7f800000, v82, vcc_lo
	v_cmp_nlt_f32_e32 vcc_lo, 0x42b17218, v70
	v_and_b32_e32 v69, 0xffff, v69
	v_mul_u32_u24_e32 v68, 0x10001, v68
	v_pk_mul_f16 v170, v170, v67
	v_add_f32_e32 v67, v59, v136
	v_cndmask_b32_e32 v55, 0x7f800000, v83, vcc_lo
	v_cmp_nlt_f32_e32 vcc_lo, 0x42b17218, v71
	v_cvt_f16_f32_e32 v71, v51
	v_mul_u32_u24_e32 v69, 0x10001, v69
	v_pk_mul_f16 v169, v169, v68
	v_mul_f32_e32 v68, 0x3fb8aa3b, v12
	v_cndmask_b32_e32 v57, 0x7f800000, v84, vcc_lo
	v_cmp_nlt_f32_e32 vcc_lo, 0x42b17218, v72
	v_and_b32_e32 v71, 0xffff, v71
	v_cvt_f16_f32_e32 v72, v54
	v_pk_mul_f16 v168, v168, v69
	v_rndne_f32_e32 v69, v68
	v_cndmask_b32_e32 v58, 0x7f800000, v85, vcc_lo
	v_cmp_nlt_f32_e32 vcc_lo, 0x42b17218, v73
	v_mul_u32_u24_e32 v71, 0x10001, v71
	v_and_b32_e32 v72, 0xffff, v72
	v_cvt_f16_f32_e32 v73, v55
	v_cvt_f16_f32_e32 v75, v58
	v_cndmask_b32_e32 v60, 0x7f800000, v86, vcc_lo
	v_cmp_ngt_f32_e32 vcc_lo, 0xc2ce8ed0, v74
	v_pk_mul_f16 v166, v166, v71
	v_sub_f32_e32 v71, v30, v28
	v_and_b32_e32 v65, 0xffff, v75
	v_mul_u32_u24_e32 v72, 0x10001, v72
	v_cndmask_b32_e32 v66, 0, v87, vcc_lo
	v_cmp_nlt_f32_e32 vcc_lo, 0x42b17218, v74
	v_and_b32_e32 v73, 0xffff, v73
	v_mul_u32_u24_e32 v65, 0x10001, v65
	v_pk_mul_f16 v165, v165, v72
	v_cndmask_b32_e32 v59, 0x7f800000, v66, vcc_lo
	v_exp_f32_e32 v66, v67
	s_delay_alu instid0(VALU_DEP_3)
	v_pk_mul_f16 v163, v163, v65
	v_cvt_i32_f32_e32 v65, v137
	v_fma_f32 v67, 0x3fb8aa3b, v12, -v68
	v_cmp_ngt_f32_e32 vcc_lo, 0xc2ce8ed0, v61
	v_mul_u32_u24_e32 v73, 0x10001, v73
	s_delay_alu instid0(TRANS32_DEP_1) | instid1(VALU_DEP_4)
	v_ldexp_f32 v30, v66, v65
	s_delay_alu instid0(VALU_DEP_4) | instskip(SKIP_3) | instid1(VALU_DEP_3)
	v_fmac_f32_e32 v67, 0x32a5705f, v12
	v_dual_sub_f32 v65, v68, v69 :: v_dual_mul_f32 v68, 0x3fb8aa3b, v71
	v_cvt_i32_f32_e32 v69, v69
	v_pk_mul_f16 v164, v164, v73
	v_add_f32_e32 v65, v65, v67
	s_delay_alu instid0(VALU_DEP_4) | instskip(SKIP_4) | instid1(VALU_DEP_3)
	v_fma_f32 v67, 0x3fb8aa3b, v71, -v68
	v_rndne_f32_e32 v72, v68
	v_cndmask_b32_e32 v30, 0, v30, vcc_lo
	v_cmp_nlt_f32_e32 vcc_lo, 0x42b17218, v61
	v_exp_f32_e32 v65, v65
	v_dual_fmac_f32 v67, 0x32a5705f, v71 :: v_dual_sub_f32 v68, v68, v72
	s_delay_alu instid0(VALU_DEP_3) | instskip(SKIP_1) | instid1(TRANS32_DEP_1)
	v_cndmask_b32_e32 v61, 0x7f800000, v30, vcc_lo
	v_cmp_ngt_f32_e32 vcc_lo, 0xc2ce8ed0, v12
	v_ldexp_f32 v30, v65, v69
	s_delay_alu instid0(VALU_DEP_4) | instskip(SKIP_2) | instid1(VALU_DEP_3)
	v_add_f32_e32 v65, v68, v67
	v_cvt_f16_f32_e32 v70, v50
	v_cvt_i32_f32_e32 v67, v72
	v_exp_f32_e32 v65, v65
	s_delay_alu instid0(VALU_DEP_2) | instskip(NEXT) | instid1(VALU_DEP_1)
	v_and_b32_e32 v70, 0xffff, v70
	v_mul_u32_u24_e32 v70, 0x10001, v70
	s_delay_alu instid0(VALU_DEP_1) | instskip(SKIP_1) | instid1(VALU_DEP_1)
	v_pk_mul_f16 v167, v167, v70
	v_cvt_f16_f32_e32 v70, v59
	v_and_b32_e32 v66, 0xffff, v70
	v_max_num_f32_e32 v70, v13, v13
	v_pk_fma_f32 v[48:49], v[48:49], v[0:1], v[2:3]
	s_delay_alu instid0(VALU_DEP_3) | instskip(NEXT) | instid1(VALU_DEP_3)
	v_mul_u32_u24_e32 v66, 0x10001, v66
	v_max_num_f32_e32 v29, v70, v29
	v_max_num_f32_e32 v70, v14, v14
	v_pk_fma_f32 v[46:47], v[46:47], v[4:5], v[6:7]
	s_delay_alu instid0(VALU_DEP_4) | instskip(NEXT) | instid1(VALU_DEP_4)
	v_pk_mul_f16 v162, v162, v66
	v_dual_sub_f32 v13, v13, v29 :: v_dual_sub_f32 v69, v31, v29
	v_ldexp_f32 v31, v65, v67
	v_cndmask_b32_e32 v30, 0, v30, vcc_lo
	v_cmp_nlt_f32_e32 vcc_lo, 0x42b17218, v12
	s_delay_alu instid0(VALU_DEP_4) | instskip(SKIP_1) | instid1(VALU_DEP_4)
	v_mul_f32_e32 v66, 0x3fb8aa3b, v13
	v_mul_f32_e32 v67, 0x3fb8aa3b, v69
	v_cndmask_b32_e32 v12, 0x7f800000, v30, vcc_lo
	s_delay_alu instid0(VALU_DEP_3)
	v_fma_f32 v30, 0x3fb8aa3b, v13, -v66
	v_rndne_f32_e32 v68, v66
	v_cmp_ngt_f32_e32 vcc_lo, 0xc2ce8ed0, v71
	v_fma_f32 v72, 0x3fb8aa3b, v69, -v67
	v_rndne_f32_e32 v73, v67
	v_fmac_f32_e32 v30, 0x32a5705f, v13
	v_dual_sub_f32 v66, v66, v68 :: v_dual_cndmask_b32 v31, 0, v31
	v_cmp_nlt_f32_e32 vcc_lo, 0x42b17218, v71
	v_fmac_f32_e32 v72, 0x32a5705f, v69
	s_delay_alu instid0(VALU_DEP_3)
	v_dual_sub_f32 v67, v67, v73 :: v_dual_add_f32 v66, v66, v30
	v_max_num_f32_e32 v30, v70, v64
	v_cvt_f16_f32_e32 v65, v12
	v_max_num_f32_e32 v71, v15, v15
	v_pk_fma_f32 v[44:45], v[44:45], v[8:9], v[10:11]
	v_exp_f32_e32 v64, v66
	v_nop
	v_cvt_i32_f32_e32 v66, v68
	v_sub_f32_e32 v68, v14, v30
	v_cndmask_b32_e32 v14, 0x7f800000, v31, vcc_lo
	v_cmp_ngt_f32_e32 vcc_lo, 0xc2ce8ed0, v13
	v_and_b32_e32 v65, 0xffff, v65
	v_pk_fma_f32 v[42:43], v[42:43], v[50:51], v[52:53]
	v_ldexp_f32 v31, v64, v66
	v_mul_f32_e32 v66, 0x3fb8aa3b, v68
	v_add_f32_e32 v64, v67, v72
	v_mul_u32_u24_e32 v65, 0x10001, v65
	s_delay_alu instid0(VALU_DEP_4) | instskip(NEXT) | instid1(VALU_DEP_4)
	v_cndmask_b32_e32 v31, 0, v31, vcc_lo
	v_fma_f32 v67, 0x3fb8aa3b, v68, -v66
	v_rndne_f32_e32 v70, v66
	v_cmp_nlt_f32_e32 vcc_lo, 0x42b17218, v13
	v_exp_f32_e32 v64, v64
	v_pk_mul_f16 v161, v161, v65
	s_delay_alu instid0(VALU_DEP_3)
	v_dual_fmac_f32 v67, 0x32a5705f, v68 :: v_dual_sub_f32 v66, v66, v70
	v_cndmask_b32_e32 v13, 0x7f800000, v31, vcc_lo
	v_cvt_i32_f32_e32 v31, v73
	v_cmp_ngt_f32_e32 vcc_lo, 0xc2ce8ed0, v69
	v_pk_fma_f32 v[40:41], v[40:41], v[54:55], v[56:57]
	v_add_f32_e32 v66, v66, v67
	v_cvt_f16_f32_e32 v65, v13
	v_ldexp_f32 v64, v64, v31
	v_max_num_f32_e32 v31, v71, v63
	v_cvt_i32_f32_e32 v67, v70
	s_delay_alu instid0(VALU_DEP_3)
	v_dual_cndmask_b32 v63, 0, v64 :: v_dual_sub_f32 v64, v32, v30
	v_and_b32_e32 v32, 0xffff, v65
	v_exp_f32_e32 v65, v66
	v_dual_sub_f32 v66, v15, v31 :: v_dual_sub_f32 v72, v33, v31
	v_cmp_nlt_f32_e32 vcc_lo, 0x42b17218, v69
	v_mul_f32_e32 v70, 0x3fb8aa3b, v64
	v_mul_u32_u24_e32 v69, 0x10001, v32
	s_delay_alu instid0(VALU_DEP_4) | instskip(NEXT) | instid1(TRANS32_DEP_1)
	v_mul_f32_e32 v73, 0x3fb8aa3b, v72
	v_ldexp_f32 v32, v65, v67
	s_delay_alu instid0(VALU_DEP_3) | instskip(NEXT) | instid1(VALU_DEP_3)
	v_pk_mul_f16 v160, v160, v69
	v_rndne_f32_e32 v74, v73
	v_cndmask_b32_e32 v15, 0x7f800000, v63, vcc_lo
	v_mul_f32_e32 v63, 0x3fb8aa3b, v66
	v_fma_f32 v65, 0x3fb8aa3b, v64, -v70
	v_rndne_f32_e32 v67, v70
	v_cmp_ngt_f32_e32 vcc_lo, 0xc2ce8ed0, v68
	s_delay_alu instid0(VALU_DEP_4) | instskip(SKIP_1) | instid1(VALU_DEP_4)
	v_fma_f32 v71, 0x3fb8aa3b, v66, -v63
	v_rndne_f32_e32 v33, v63
	v_dual_fmac_f32 v65, 0x32a5705f, v64 :: v_dual_sub_f32 v70, v70, v67
	s_delay_alu instid0(VALU_DEP_3) | instskip(NEXT) | instid1(VALU_DEP_3)
	v_dual_cndmask_b32 v32, 0, v32 :: v_dual_fmac_f32 v71, 0x32a5705f, v66
	v_sub_f32_e32 v63, v63, v33
	v_cmp_nlt_f32_e32 vcc_lo, 0x42b17218, v68
	s_delay_alu instid0(VALU_DEP_4)
	v_add_f32_e32 v65, v70, v65
	v_fma_f32 v70, 0x3fb8aa3b, v72, -v73
	v_cvt_i32_f32_e32 v33, v33
	v_dual_add_f32 v63, v63, v71 :: v_dual_cndmask_b32 v32, 0x7f800000, v32
	v_sub_f32_e32 v68, v73, v74
	v_cmp_ngt_f32_e32 vcc_lo, 0xc2ce8ed0, v66
	v_exp_f32_e32 v65, v65
	s_delay_alu instid0(VALU_DEP_3)
	v_exp_f32_e32 v63, v63
	v_cvt_i32_f32_e32 v67, v67
	v_pk_fma_f32 v[36:37], v[36:37], v[12:13], v[14:15]
	v_pk_fma_f32 v[38:39], v[38:39], v[58:59], v[60:61]
	s_delay_alu instid0(TRANS32_DEP_2) | instid1(VALU_DEP_3)
	v_ldexp_f32 v65, v65, v67
	s_delay_alu instid0(TRANS32_DEP_1) | instskip(NEXT) | instid1(VALU_DEP_1)
	v_ldexp_f32 v33, v63, v33
	v_dual_fmac_f32 v70, 0x32a5705f, v72 :: v_dual_cndmask_b32 v33, 0, v33
	s_delay_alu instid0(VALU_DEP_1) | instskip(SKIP_2) | instid1(VALU_DEP_3)
	v_add_f32_e32 v68, v68, v70
	v_cmp_ngt_f32_e32 vcc_lo, 0xc2ce8ed0, v64
	v_cvt_f16_f32_e32 v70, v32
	v_exp_f32_e32 v63, v68
	v_nop
	v_cvt_i32_f32_e32 v68, v74
	s_delay_alu instid0(VALU_DEP_3)
	v_and_b32_e32 v67, 0xffff, v70
	s_delay_alu instid0(TRANS32_DEP_1) | instid1(VALU_DEP_2)
	v_ldexp_f32 v63, v63, v68
	v_cndmask_b32_e32 v65, 0, v65, vcc_lo
	v_cmp_nlt_f32_e32 vcc_lo, 0x42b17218, v66
	s_delay_alu instid0(VALU_DEP_4) | instskip(SKIP_2) | instid1(VALU_DEP_3)
	v_mul_u32_u24_e32 v67, 0x10001, v67
	v_cndmask_b32_e32 v33, 0x7f800000, v33, vcc_lo
	v_cmp_ngt_f32_e32 vcc_lo, 0xc2ce8ed0, v72
	v_pk_mul_f16 v159, v159, v67
	s_delay_alu instid0(VALU_DEP_3) | instskip(SKIP_2) | instid1(VALU_DEP_3)
	v_cvt_f16_f32_e32 v66, v33
	v_cndmask_b32_e32 v63, 0, v63, vcc_lo
	v_cmp_nlt_f32_e32 vcc_lo, 0x42b17218, v64
	v_and_b32_e32 v0, 0xffff, v66
	v_cndmask_b32_e32 v64, 0x7f800000, v65, vcc_lo
	v_cmp_nlt_f32_e32 vcc_lo, 0x42b17218, v72
	s_delay_alu instid0(VALU_DEP_3)
	v_mul_u32_u24_e32 v50, 0x10001, v0
	v_mov_b64_e32 v[0:1], v[16:17]
	v_mov_b64_e32 v[2:3], v[18:19]
	v_cndmask_b32_e32 v65, 0x7f800000, v63, vcc_lo
	v_mov_b64_e32 v[4:5], v[20:21]
	v_mov_b64_e32 v[6:7], v[22:23]
	v_mov_b64_e32 v[8:9], v[24:25]
	v_mov_b64_e32 v[10:11], v[26:27]
	v_mov_b64_e32 v[12:13], v[28:29]
	v_mov_b64_e32 v[14:15], v[30:31]
	v_pk_fma_f32 v[34:35], v[34:35], v[32:33], v[64:65]
	v_pk_mul_f16 v158, v158, v50
.LBB17_13:
	s_mov_b32 s3, exec_lo
	s_wait_loadcnt 0x4
	s_wait_xcnt 0x0
	v_cmpx_gt_i32_e64 s22, v177
	s_cbranch_execz .LBB17_90
; %bb.14:
	s_load_b32 s0, s[0:1], 0xd4
	v_mov_b32_e32 v16, 1.0
	s_wait_kmcnt 0x0
	s_cmp_lg_u32 s0, 1
	s_cselect_b32 s3, -1, 0
	s_cmp_eq_u32 s0, 1
	s_cselect_b32 s4, -1, 0
	s_and_b32 vcc_lo, exec_lo, s3
	s_cbranch_vccnz .LBB17_16
; %bb.15:
	v_div_scale_f32 v16, null, v48, v48, 1.0
	s_delay_alu instid0(VALU_DEP_1) | instskip(SKIP_1) | instid1(TRANS32_DEP_1)
	v_rcp_f32_e32 v17, v16
	v_nop
	v_fma_f32 v18, -v16, v17, 1.0
	s_delay_alu instid0(VALU_DEP_1) | instskip(SKIP_1) | instid1(VALU_DEP_1)
	v_fmac_f32_e32 v17, v18, v17
	v_div_scale_f32 v18, vcc_lo, 1.0, v48, 1.0
	v_mul_f32_e32 v19, v18, v17
	s_delay_alu instid0(VALU_DEP_1) | instskip(NEXT) | instid1(VALU_DEP_1)
	v_fma_f32 v20, -v16, v19, v18
	v_fmac_f32_e32 v19, v20, v17
	s_delay_alu instid0(VALU_DEP_1) | instskip(NEXT) | instid1(VALU_DEP_1)
	v_fma_f32 v16, -v16, v19, v18
	v_div_fmas_f32 v16, v16, v17, v19
	s_delay_alu instid0(VALU_DEP_1)
	v_div_fixup_f32 v16, v16, v48, 1.0
.LBB17_16:
	s_mul_i32 s1, s28, s22
	v_cvt_f32_f16_e64 v22, v173
	s_add_co_i32 s1, s1, s33
	v_cmp_eq_u32_e32 vcc_lo, 0, v124
	v_dual_add_nc_u32 v17, s1, v175 :: v_dual_lshrrev_b32 v19, 16, v173
	v_mov_b32_e32 v21, 0
	s_and_b32 s3, vcc_lo, s3
	s_delay_alu instid0(VALU_DEP_2) | instskip(NEXT) | instid1(VALU_DEP_3)
	v_mul_lo_u32 v17, v17, s23
	v_cvt_f32_f16_e32 v23, v19
	s_delay_alu instid0(VALU_DEP_2) | instskip(NEXT) | instid1(VALU_DEP_2)
	v_add_nc_u32_e32 v18, s2, v17
	v_pk_mul_f32 v[22:23], v[16:17], v[22:23] op_sel_hi:[0,1]
	s_delay_alu instid0(VALU_DEP_2) | instskip(NEXT) | instid1(VALU_DEP_1)
	v_mad_u32 v18, s0, v18, s31
	v_lshl_add_u32 v20, v18, 6, v62
	s_delay_alu instid0(VALU_DEP_1)
	v_lshl_add_u64 v[20:21], v[20:21], 2, s[16:17]
	global_store_b64 v[20:21], v[22:23], off
	s_wait_xcnt 0x0
	s_and_saveexec_b32 s5, s3
	s_cbranch_execz .LBB17_18
; %bb.17:
	v_dual_mov_b32 v20, v0 :: v_dual_mov_b32 v21, v48
	global_store_b64 v18, v[20:21], s[18:19] scale_offset
.LBB17_18:
	s_wait_xcnt 0x0
	s_or_b32 exec_lo, exec_lo, s5
	v_cndmask_b32_e64 v16, 0, 1, s4
	v_mov_b32_e32 v0, 1.0
	s_and_not1_b32 vcc_lo, exec_lo, s4
	s_cbranch_vccnz .LBB17_20
; %bb.19:
	v_div_scale_f32 v0, null, v49, v49, 1.0
	s_delay_alu instid0(VALU_DEP_1) | instskip(SKIP_1) | instid1(TRANS32_DEP_1)
	v_rcp_f32_e32 v18, v0
	v_nop
	v_fma_f32 v19, -v0, v18, 1.0
	s_delay_alu instid0(VALU_DEP_1) | instskip(SKIP_1) | instid1(VALU_DEP_1)
	v_fmac_f32_e32 v18, v19, v18
	v_div_scale_f32 v19, vcc_lo, 1.0, v49, 1.0
	v_mul_f32_e32 v20, v19, v18
	s_delay_alu instid0(VALU_DEP_1) | instskip(NEXT) | instid1(VALU_DEP_1)
	v_fma_f32 v21, -v0, v20, v19
	v_fmac_f32_e32 v20, v21, v18
	s_delay_alu instid0(VALU_DEP_1) | instskip(NEXT) | instid1(VALU_DEP_1)
	v_fma_f32 v0, -v0, v20, v19
	v_div_fmas_f32 v0, v0, v18, v20
	s_delay_alu instid0(VALU_DEP_1)
	v_div_fixup_f32 v0, v0, v49, 1.0
.LBB17_20:
	s_add_co_i32 s6, s2, 1
	s_delay_alu instid0(SALU_CYCLE_1) | instskip(SKIP_2) | instid1(VALU_DEP_3)
	v_dual_mov_b32 v21, 0 :: v_dual_add_nc_u32 v18, s6, v17
	v_lshrrev_b32_e32 v19, 16, v172
	v_cvt_f32_f16_e64 v22, v172
	v_mad_u32 v18, s0, v18, s31
	s_delay_alu instid0(VALU_DEP_3) | instskip(NEXT) | instid1(VALU_DEP_1)
	v_cvt_f32_f16_e32 v23, v19
	v_pk_mul_f32 v[22:23], v[0:1], v[22:23] op_sel_hi:[0,1]
	s_delay_alu instid0(VALU_DEP_3) | instskip(NEXT) | instid1(VALU_DEP_1)
	v_lshl_add_u32 v20, v18, 6, v62
	v_lshl_add_u64 v[20:21], v[20:21], 2, s[16:17]
	global_store_b64 v[20:21], v[22:23], off
	s_wait_xcnt 0x0
	s_and_saveexec_b32 s4, s3
	s_cbranch_execz .LBB17_22
; %bb.21:
	v_mov_b32_e32 v48, v1
	global_store_b64 v18, v[48:49], s[18:19] scale_offset
.LBB17_22:
	s_wait_xcnt 0x0
	s_or_b32 exec_lo, exec_lo, s4
	v_cmp_ne_u32_e32 vcc_lo, 1, v16
	v_mov_b32_e32 v0, 1.0
	s_cbranch_vccnz .LBB17_24
; %bb.23:
	v_div_scale_f32 v0, null, v46, v46, 1.0
	s_delay_alu instid0(VALU_DEP_1) | instskip(SKIP_1) | instid1(TRANS32_DEP_1)
	v_rcp_f32_e32 v1, v0
	v_nop
	v_fma_f32 v18, -v0, v1, 1.0
	s_delay_alu instid0(VALU_DEP_1) | instskip(SKIP_1) | instid1(VALU_DEP_1)
	v_fmac_f32_e32 v1, v18, v1
	v_div_scale_f32 v18, vcc_lo, 1.0, v46, 1.0
	v_mul_f32_e32 v19, v18, v1
	s_delay_alu instid0(VALU_DEP_1) | instskip(NEXT) | instid1(VALU_DEP_1)
	v_fma_f32 v20, -v0, v19, v18
	v_fmac_f32_e32 v19, v20, v1
	s_delay_alu instid0(VALU_DEP_1) | instskip(NEXT) | instid1(VALU_DEP_1)
	v_fma_f32 v0, -v0, v19, v18
	v_div_fmas_f32 v0, v0, v1, v19
	s_delay_alu instid0(VALU_DEP_1)
	v_div_fixup_f32 v0, v0, v46, 1.0
.LBB17_24:
	s_add_co_i32 s5, s2, 2
	s_delay_alu instid0(SALU_CYCLE_1) | instskip(SKIP_2) | instid1(VALU_DEP_3)
	v_dual_mov_b32 v19, 0 :: v_dual_add_nc_u32 v1, s5, v17
	v_lshrrev_b32_e32 v21, 16, v171
	v_cvt_f32_f16_e64 v20, v171
	v_mad_u32 v1, s0, v1, s31
	s_delay_alu instid0(VALU_DEP_3) | instskip(NEXT) | instid1(VALU_DEP_2)
	v_cvt_f32_f16_e32 v21, v21
	v_lshl_add_u32 v18, v1, 6, v62
	s_delay_alu instid0(VALU_DEP_2) | instskip(NEXT) | instid1(VALU_DEP_2)
	v_pk_mul_f32 v[20:21], v[0:1], v[20:21] op_sel_hi:[0,1]
	v_lshl_add_u64 v[18:19], v[18:19], 2, s[16:17]
	global_store_b64 v[18:19], v[20:21], off
	s_wait_xcnt 0x0
	s_and_saveexec_b32 s4, s3
	s_cbranch_execz .LBB17_26
; %bb.25:
	v_dual_mov_b32 v18, v2 :: v_dual_mov_b32 v19, v46
	global_store_b64 v1, v[18:19], s[18:19] scale_offset
.LBB17_26:
	s_wait_xcnt 0x0
	s_or_b32 exec_lo, exec_lo, s4
	v_cmp_ne_u32_e32 vcc_lo, 1, v16
	v_mov_b32_e32 v0, 1.0
	s_cbranch_vccnz .LBB17_28
; %bb.27:
	v_div_scale_f32 v0, null, v47, v47, 1.0
	s_delay_alu instid0(VALU_DEP_1) | instskip(SKIP_1) | instid1(TRANS32_DEP_1)
	v_rcp_f32_e32 v1, v0
	v_nop
	v_fma_f32 v2, -v0, v1, 1.0
	s_delay_alu instid0(VALU_DEP_1) | instskip(SKIP_1) | instid1(VALU_DEP_1)
	v_fmac_f32_e32 v1, v2, v1
	v_div_scale_f32 v2, vcc_lo, 1.0, v47, 1.0
	v_mul_f32_e32 v18, v2, v1
	s_delay_alu instid0(VALU_DEP_1) | instskip(NEXT) | instid1(VALU_DEP_1)
	v_fma_f32 v19, -v0, v18, v2
	v_fmac_f32_e32 v18, v19, v1
	s_delay_alu instid0(VALU_DEP_1) | instskip(NEXT) | instid1(VALU_DEP_1)
	v_fma_f32 v0, -v0, v18, v2
	v_div_fmas_f32 v0, v0, v1, v18
	s_delay_alu instid0(VALU_DEP_1)
	v_div_fixup_f32 v0, v0, v47, 1.0
.LBB17_28:
	s_add_co_i32 s4, s2, 3
	s_delay_alu instid0(SALU_CYCLE_1) | instskip(SKIP_2) | instid1(VALU_DEP_3)
	v_dual_mov_b32 v19, 0 :: v_dual_add_nc_u32 v1, s4, v17
	v_lshrrev_b32_e32 v2, 16, v170
	v_cvt_f32_f16_e64 v20, v170
	v_mad_u32 v1, s0, v1, s31
	s_delay_alu instid0(VALU_DEP_3) | instskip(NEXT) | instid1(VALU_DEP_2)
	v_cvt_f32_f16_e32 v21, v2
	v_lshl_add_u32 v18, v1, 6, v62
	s_delay_alu instid0(VALU_DEP_2) | instskip(NEXT) | instid1(VALU_DEP_2)
	v_pk_mul_f32 v[20:21], v[0:1], v[20:21] op_sel_hi:[0,1]
	v_lshl_add_u64 v[18:19], v[18:19], 2, s[16:17]
	global_store_b64 v[18:19], v[20:21], off
	s_wait_xcnt 0x0
	s_and_saveexec_b32 s7, s3
	s_cbranch_execz .LBB17_30
; %bb.29:
	v_mov_b32_e32 v46, v3
	global_store_b64 v1, v[46:47], s[18:19] scale_offset
.LBB17_30:
	s_wait_xcnt 0x0
	s_or_b32 exec_lo, exec_lo, s7
	s_wait_loadcnt 0x0
	v_cmp_gt_i32_e32 vcc_lo, s22, v181
	s_and_b32 exec_lo, exec_lo, vcc_lo
	s_cbranch_execz .LBB17_90
; %bb.31:
	v_cmp_ne_u32_e32 vcc_lo, 1, v16
	v_mov_b32_e32 v0, 1.0
	s_cbranch_vccnz .LBB17_33
; %bb.32:
	v_div_scale_f32 v0, null, v44, v44, 1.0
	s_delay_alu instid0(VALU_DEP_1) | instskip(SKIP_1) | instid1(TRANS32_DEP_1)
	v_rcp_f32_e32 v1, v0
	v_nop
	v_fma_f32 v2, -v0, v1, 1.0
	s_delay_alu instid0(VALU_DEP_1) | instskip(SKIP_1) | instid1(VALU_DEP_1)
	v_fmac_f32_e32 v1, v2, v1
	v_div_scale_f32 v2, vcc_lo, 1.0, v44, 1.0
	v_mul_f32_e32 v3, v2, v1
	s_delay_alu instid0(VALU_DEP_1) | instskip(NEXT) | instid1(VALU_DEP_1)
	v_fma_f32 v17, -v0, v3, v2
	v_fmac_f32_e32 v3, v17, v1
	s_delay_alu instid0(VALU_DEP_1) | instskip(NEXT) | instid1(VALU_DEP_1)
	v_fma_f32 v0, -v0, v3, v2
	v_div_fmas_f32 v0, v0, v1, v3
	s_delay_alu instid0(VALU_DEP_1)
	v_div_fixup_f32 v0, v0, v44, 1.0
.LBB17_33:
	v_dual_add_nc_u32 v1, s1, v174 :: v_dual_lshrrev_b32 v17, 16, v169
	v_mov_b32_e32 v3, 0
	v_cvt_f32_f16_e64 v18, v169
	s_delay_alu instid0(VALU_DEP_3) | instskip(NEXT) | instid1(VALU_DEP_4)
	v_mad_u32 v1, v1, s23, s2
	v_cvt_f32_f16_e32 v19, v17
	s_delay_alu instid0(VALU_DEP_2) | instskip(NEXT) | instid1(VALU_DEP_1)
	v_mad_u32 v1, s0, v1, s31
	v_lshl_add_u32 v2, v1, 6, v62
	s_delay_alu instid0(VALU_DEP_3) | instskip(NEXT) | instid1(VALU_DEP_2)
	v_pk_mul_f32 v[18:19], v[0:1], v[18:19] op_sel_hi:[0,1]
	v_lshl_add_u64 v[2:3], v[2:3], 2, s[16:17]
	global_store_b64 v[2:3], v[18:19], off
	s_wait_xcnt 0x0
	s_and_saveexec_b32 s7, s3
	s_cbranch_execz .LBB17_35
; %bb.34:
	v_dual_mov_b32 v2, v4 :: v_dual_mov_b32 v3, v44
	global_store_b64 v1, v[2:3], s[18:19] scale_offset
.LBB17_35:
	s_wait_xcnt 0x0
	s_or_b32 exec_lo, exec_lo, s7
	v_cmp_gt_i32_e32 vcc_lo, s22, v180
	s_and_b32 exec_lo, exec_lo, vcc_lo
	s_cbranch_execz .LBB17_90
; %bb.36:
	v_cmp_ne_u32_e32 vcc_lo, 1, v16
	v_mov_b32_e32 v0, 1.0
	s_cbranch_vccnz .LBB17_38
; %bb.37:
	v_div_scale_f32 v0, null, v45, v45, 1.0
	s_delay_alu instid0(VALU_DEP_1) | instskip(SKIP_1) | instid1(TRANS32_DEP_1)
	v_rcp_f32_e32 v1, v0
	v_nop
	v_fma_f32 v2, -v0, v1, 1.0
	s_delay_alu instid0(VALU_DEP_1) | instskip(SKIP_1) | instid1(VALU_DEP_1)
	v_fmac_f32_e32 v1, v2, v1
	v_div_scale_f32 v2, vcc_lo, 1.0, v45, 1.0
	v_mul_f32_e32 v3, v2, v1
	s_delay_alu instid0(VALU_DEP_1) | instskip(NEXT) | instid1(VALU_DEP_1)
	v_fma_f32 v4, -v0, v3, v2
	v_fmac_f32_e32 v3, v4, v1
	s_delay_alu instid0(VALU_DEP_1) | instskip(NEXT) | instid1(VALU_DEP_1)
	v_fma_f32 v0, -v0, v3, v2
	v_div_fmas_f32 v0, v0, v1, v3
	s_delay_alu instid0(VALU_DEP_1)
	v_div_fixup_f32 v0, v0, v45, 1.0
.LBB17_38:
	v_dual_add_nc_u32 v1, s1, v156 :: v_dual_mov_b32 v3, 0
	v_lshrrev_b32_e32 v4, 16, v168
	v_cvt_f32_f16_e64 v18, v168
	s_delay_alu instid0(VALU_DEP_3) | instskip(NEXT) | instid1(VALU_DEP_3)
	v_mad_u32 v1, v1, s23, s6
	v_cvt_f32_f16_e32 v19, v4
	s_delay_alu instid0(VALU_DEP_2) | instskip(NEXT) | instid1(VALU_DEP_1)
	v_mad_u32 v1, s0, v1, s31
	v_lshl_add_u32 v2, v1, 6, v62
	s_delay_alu instid0(VALU_DEP_3) | instskip(NEXT) | instid1(VALU_DEP_2)
	v_pk_mul_f32 v[18:19], v[0:1], v[18:19] op_sel_hi:[0,1]
	v_lshl_add_u64 v[2:3], v[2:3], 2, s[16:17]
	global_store_b64 v[2:3], v[18:19], off
	s_wait_xcnt 0x0
	s_and_saveexec_b32 s7, s3
	s_cbranch_execz .LBB17_40
; %bb.39:
	v_mov_b32_e32 v44, v5
	global_store_b64 v1, v[44:45], s[18:19] scale_offset
.LBB17_40:
	s_wait_xcnt 0x0
	s_or_b32 exec_lo, exec_lo, s7
	v_cmp_gt_i32_e32 vcc_lo, s22, v179
	s_and_b32 exec_lo, exec_lo, vcc_lo
	s_cbranch_execz .LBB17_90
; %bb.41:
	v_cmp_ne_u32_e32 vcc_lo, 1, v16
	v_mov_b32_e32 v0, 1.0
	s_cbranch_vccnz .LBB17_43
; %bb.42:
	v_div_scale_f32 v0, null, v42, v42, 1.0
	s_delay_alu instid0(VALU_DEP_1) | instskip(SKIP_1) | instid1(TRANS32_DEP_1)
	v_rcp_f32_e32 v1, v0
	v_nop
	v_fma_f32 v2, -v0, v1, 1.0
	s_delay_alu instid0(VALU_DEP_1) | instskip(SKIP_1) | instid1(VALU_DEP_1)
	v_fmac_f32_e32 v1, v2, v1
	v_div_scale_f32 v2, vcc_lo, 1.0, v42, 1.0
	v_mul_f32_e32 v3, v2, v1
	s_delay_alu instid0(VALU_DEP_1) | instskip(NEXT) | instid1(VALU_DEP_1)
	v_fma_f32 v4, -v0, v3, v2
	v_fmac_f32_e32 v3, v4, v1
	s_delay_alu instid0(VALU_DEP_1) | instskip(NEXT) | instid1(VALU_DEP_1)
	v_fma_f32 v0, -v0, v3, v2
	v_div_fmas_f32 v0, v0, v1, v3
	s_delay_alu instid0(VALU_DEP_1)
	v_div_fixup_f32 v0, v0, v42, 1.0
.LBB17_43:
	v_dual_add_nc_u32 v1, s1, v153 :: v_dual_lshrrev_b32 v5, 16, v167
	v_mov_b32_e32 v3, 0
	v_cvt_f32_f16_e64 v4, v167
	s_delay_alu instid0(VALU_DEP_3) | instskip(NEXT) | instid1(VALU_DEP_4)
	v_mad_u32 v1, v1, s23, s5
	v_cvt_f32_f16_e32 v5, v5
	s_delay_alu instid0(VALU_DEP_2) | instskip(NEXT) | instid1(VALU_DEP_1)
	v_mad_u32 v1, s0, v1, s31
	v_lshl_add_u32 v2, v1, 6, v62
	s_delay_alu instid0(VALU_DEP_3) | instskip(NEXT) | instid1(VALU_DEP_2)
	v_pk_mul_f32 v[4:5], v[0:1], v[4:5] op_sel_hi:[0,1]
	v_lshl_add_u64 v[2:3], v[2:3], 2, s[16:17]
	global_store_b64 v[2:3], v[4:5], off
	s_wait_xcnt 0x0
	s_and_saveexec_b32 s7, s3
	s_cbranch_execz .LBB17_45
; %bb.44:
	v_dual_mov_b32 v2, v6 :: v_dual_mov_b32 v3, v42
	global_store_b64 v1, v[2:3], s[18:19] scale_offset
.LBB17_45:
	s_wait_xcnt 0x0
	s_or_b32 exec_lo, exec_lo, s7
	v_cmp_gt_i32_e32 vcc_lo, s22, v178
	s_and_b32 exec_lo, exec_lo, vcc_lo
	s_cbranch_execz .LBB17_90
; %bb.46:
	v_cmp_ne_u32_e32 vcc_lo, 1, v16
	v_mov_b32_e32 v0, 1.0
	s_cbranch_vccnz .LBB17_48
; %bb.47:
	v_div_scale_f32 v0, null, v43, v43, 1.0
	s_delay_alu instid0(VALU_DEP_1) | instskip(SKIP_1) | instid1(TRANS32_DEP_1)
	v_rcp_f32_e32 v1, v0
	v_nop
	v_fma_f32 v2, -v0, v1, 1.0
	s_delay_alu instid0(VALU_DEP_1) | instskip(SKIP_1) | instid1(VALU_DEP_1)
	v_fmac_f32_e32 v1, v2, v1
	v_div_scale_f32 v2, vcc_lo, 1.0, v43, 1.0
	v_mul_f32_e32 v3, v2, v1
	s_delay_alu instid0(VALU_DEP_1) | instskip(NEXT) | instid1(VALU_DEP_1)
	v_fma_f32 v4, -v0, v3, v2
	v_fmac_f32_e32 v3, v4, v1
	s_delay_alu instid0(VALU_DEP_1) | instskip(NEXT) | instid1(VALU_DEP_1)
	v_fma_f32 v0, -v0, v3, v2
	v_div_fmas_f32 v0, v0, v1, v3
	s_delay_alu instid0(VALU_DEP_1)
	v_div_fixup_f32 v0, v0, v43, 1.0
.LBB17_48:
	v_dual_add_nc_u32 v1, s1, v151 :: v_dual_lshrrev_b32 v5, 16, v166
	v_mov_b32_e32 v3, 0
	v_cvt_f32_f16_e64 v4, v166
	s_delay_alu instid0(VALU_DEP_3) | instskip(NEXT) | instid1(VALU_DEP_4)
	v_mad_u32 v1, v1, s23, s4
	v_cvt_f32_f16_e32 v5, v5
	s_delay_alu instid0(VALU_DEP_2) | instskip(NEXT) | instid1(VALU_DEP_1)
	v_mad_u32 v1, s0, v1, s31
	v_lshl_add_u32 v2, v1, 6, v62
	s_delay_alu instid0(VALU_DEP_3) | instskip(NEXT) | instid1(VALU_DEP_2)
	v_pk_mul_f32 v[4:5], v[0:1], v[4:5] op_sel_hi:[0,1]
	v_lshl_add_u64 v[2:3], v[2:3], 2, s[16:17]
	global_store_b64 v[2:3], v[4:5], off
	s_wait_xcnt 0x0
	s_and_saveexec_b32 s7, s3
	s_cbranch_execz .LBB17_50
; %bb.49:
	v_mov_b32_e32 v42, v7
	global_store_b64 v1, v[42:43], s[18:19] scale_offset
.LBB17_50:
	s_wait_xcnt 0x0
	s_or_b32 exec_lo, exec_lo, s7
	v_cmp_gt_i32_e32 vcc_lo, s22, v176
	s_and_b32 exec_lo, exec_lo, vcc_lo
	s_cbranch_execz .LBB17_90
; %bb.51:
	v_cmp_ne_u32_e32 vcc_lo, 1, v16
	v_mov_b32_e32 v0, 1.0
	s_cbranch_vccnz .LBB17_53
; %bb.52:
	v_div_scale_f32 v0, null, v40, v40, 1.0
	s_delay_alu instid0(VALU_DEP_1) | instskip(SKIP_1) | instid1(TRANS32_DEP_1)
	v_rcp_f32_e32 v1, v0
	v_nop
	v_fma_f32 v2, -v0, v1, 1.0
	s_delay_alu instid0(VALU_DEP_1) | instskip(SKIP_1) | instid1(VALU_DEP_1)
	v_fmac_f32_e32 v1, v2, v1
	v_div_scale_f32 v2, vcc_lo, 1.0, v40, 1.0
	v_mul_f32_e32 v3, v2, v1
	s_delay_alu instid0(VALU_DEP_1) | instskip(NEXT) | instid1(VALU_DEP_1)
	v_fma_f32 v4, -v0, v3, v2
	v_fmac_f32_e32 v3, v4, v1
	s_delay_alu instid0(VALU_DEP_1) | instskip(NEXT) | instid1(VALU_DEP_1)
	v_fma_f32 v0, -v0, v3, v2
	v_div_fmas_f32 v0, v0, v1, v3
	s_delay_alu instid0(VALU_DEP_1)
	v_div_fixup_f32 v0, v0, v40, 1.0
.LBB17_53:
	v_dual_add_nc_u32 v1, s1, v148 :: v_dual_lshrrev_b32 v5, 16, v165
	v_mov_b32_e32 v3, 0
	v_cvt_f32_f16_e64 v4, v165
	s_delay_alu instid0(VALU_DEP_3) | instskip(NEXT) | instid1(VALU_DEP_4)
	v_mad_u32 v1, v1, s23, s2
	v_cvt_f32_f16_e32 v5, v5
	s_delay_alu instid0(VALU_DEP_2) | instskip(NEXT) | instid1(VALU_DEP_1)
	v_mad_u32 v1, s0, v1, s31
	v_lshl_add_u32 v2, v1, 6, v62
	s_delay_alu instid0(VALU_DEP_3) | instskip(NEXT) | instid1(VALU_DEP_2)
	v_pk_mul_f32 v[4:5], v[0:1], v[4:5] op_sel_hi:[0,1]
	v_lshl_add_u64 v[2:3], v[2:3], 2, s[16:17]
	global_store_b64 v[2:3], v[4:5], off
	s_wait_xcnt 0x0
	s_and_saveexec_b32 s7, s3
	s_cbranch_execz .LBB17_55
; %bb.54:
	v_dual_mov_b32 v2, v8 :: v_dual_mov_b32 v3, v40
	global_store_b64 v1, v[2:3], s[18:19] scale_offset
.LBB17_55:
	s_wait_xcnt 0x0
	s_or_b32 exec_lo, exec_lo, s7
	v_cmp_gt_i32_e32 vcc_lo, s22, v157
	s_and_b32 exec_lo, exec_lo, vcc_lo
	s_cbranch_execz .LBB17_90
; %bb.56:
	v_cmp_ne_u32_e32 vcc_lo, 1, v16
	v_mov_b32_e32 v0, 1.0
	s_cbranch_vccnz .LBB17_58
; %bb.57:
	v_div_scale_f32 v0, null, v41, v41, 1.0
	s_delay_alu instid0(VALU_DEP_1) | instskip(SKIP_1) | instid1(TRANS32_DEP_1)
	v_rcp_f32_e32 v1, v0
	v_nop
	v_fma_f32 v2, -v0, v1, 1.0
	s_delay_alu instid0(VALU_DEP_1) | instskip(SKIP_1) | instid1(VALU_DEP_1)
	v_fmac_f32_e32 v1, v2, v1
	v_div_scale_f32 v2, vcc_lo, 1.0, v41, 1.0
	v_mul_f32_e32 v3, v2, v1
	s_delay_alu instid0(VALU_DEP_1) | instskip(NEXT) | instid1(VALU_DEP_1)
	v_fma_f32 v4, -v0, v3, v2
	v_fmac_f32_e32 v3, v4, v1
	s_delay_alu instid0(VALU_DEP_1) | instskip(NEXT) | instid1(VALU_DEP_1)
	v_fma_f32 v0, -v0, v3, v2
	v_div_fmas_f32 v0, v0, v1, v3
	s_delay_alu instid0(VALU_DEP_1)
	v_div_fixup_f32 v0, v0, v41, 1.0
.LBB17_58:
	v_dual_add_nc_u32 v1, s1, v145 :: v_dual_lshrrev_b32 v5, 16, v164
	v_mov_b32_e32 v3, 0
	v_cvt_f32_f16_e64 v4, v164
	s_delay_alu instid0(VALU_DEP_3) | instskip(NEXT) | instid1(VALU_DEP_4)
	v_mad_u32 v1, v1, s23, s6
	v_cvt_f32_f16_e32 v5, v5
	s_delay_alu instid0(VALU_DEP_2) | instskip(NEXT) | instid1(VALU_DEP_1)
	v_mad_u32 v1, s0, v1, s31
	v_lshl_add_u32 v2, v1, 6, v62
	s_delay_alu instid0(VALU_DEP_3) | instskip(NEXT) | instid1(VALU_DEP_2)
	v_pk_mul_f32 v[4:5], v[0:1], v[4:5] op_sel_hi:[0,1]
	v_lshl_add_u64 v[2:3], v[2:3], 2, s[16:17]
	global_store_b64 v[2:3], v[4:5], off
	s_wait_xcnt 0x0
	s_and_saveexec_b32 s7, s3
	s_cbranch_execz .LBB17_60
; %bb.59:
	v_mov_b32_e32 v40, v9
	global_store_b64 v1, v[40:41], s[18:19] scale_offset
.LBB17_60:
	s_wait_xcnt 0x0
	s_or_b32 exec_lo, exec_lo, s7
	v_cmp_gt_i32_e32 vcc_lo, s22, v155
	s_and_b32 exec_lo, exec_lo, vcc_lo
	s_cbranch_execz .LBB17_90
; %bb.61:
	v_cmp_ne_u32_e32 vcc_lo, 1, v16
	v_mov_b32_e32 v0, 1.0
	s_cbranch_vccnz .LBB17_63
; %bb.62:
	v_div_scale_f32 v0, null, v38, v38, 1.0
	s_delay_alu instid0(VALU_DEP_1) | instskip(SKIP_1) | instid1(TRANS32_DEP_1)
	v_rcp_f32_e32 v1, v0
	v_nop
	v_fma_f32 v2, -v0, v1, 1.0
	s_delay_alu instid0(VALU_DEP_1) | instskip(SKIP_1) | instid1(VALU_DEP_1)
	v_fmac_f32_e32 v1, v2, v1
	v_div_scale_f32 v2, vcc_lo, 1.0, v38, 1.0
	v_mul_f32_e32 v3, v2, v1
	s_delay_alu instid0(VALU_DEP_1) | instskip(NEXT) | instid1(VALU_DEP_1)
	v_fma_f32 v4, -v0, v3, v2
	v_fmac_f32_e32 v3, v4, v1
	s_delay_alu instid0(VALU_DEP_1) | instskip(NEXT) | instid1(VALU_DEP_1)
	v_fma_f32 v0, -v0, v3, v2
	v_div_fmas_f32 v0, v0, v1, v3
	s_delay_alu instid0(VALU_DEP_1)
	v_div_fixup_f32 v0, v0, v38, 1.0
.LBB17_63:
	v_dual_add_nc_u32 v1, s1, v142 :: v_dual_lshrrev_b32 v5, 16, v163
	v_mov_b32_e32 v3, 0
	v_cvt_f32_f16_e64 v4, v163
	s_delay_alu instid0(VALU_DEP_3) | instskip(NEXT) | instid1(VALU_DEP_4)
	v_mad_u32 v1, v1, s23, s5
	v_cvt_f32_f16_e32 v5, v5
	s_delay_alu instid0(VALU_DEP_2) | instskip(NEXT) | instid1(VALU_DEP_1)
	v_mad_u32 v1, s0, v1, s31
	v_lshl_add_u32 v2, v1, 6, v62
	s_delay_alu instid0(VALU_DEP_3) | instskip(NEXT) | instid1(VALU_DEP_2)
	v_pk_mul_f32 v[4:5], v[0:1], v[4:5] op_sel_hi:[0,1]
	v_lshl_add_u64 v[2:3], v[2:3], 2, s[16:17]
	global_store_b64 v[2:3], v[4:5], off
	s_wait_xcnt 0x0
	s_and_saveexec_b32 s7, s3
	s_cbranch_execz .LBB17_65
; %bb.64:
	v_dual_mov_b32 v2, v10 :: v_dual_mov_b32 v3, v38
	global_store_b64 v1, v[2:3], s[18:19] scale_offset
.LBB17_65:
	s_wait_xcnt 0x0
	s_or_b32 exec_lo, exec_lo, s7
	v_cmp_gt_i32_e32 vcc_lo, s22, v154
	s_and_b32 exec_lo, exec_lo, vcc_lo
	s_cbranch_execz .LBB17_90
; %bb.66:
	v_cmp_ne_u32_e32 vcc_lo, 1, v16
	v_mov_b32_e32 v0, 1.0
	s_cbranch_vccnz .LBB17_68
; %bb.67:
	v_div_scale_f32 v0, null, v39, v39, 1.0
	s_delay_alu instid0(VALU_DEP_1) | instskip(SKIP_1) | instid1(TRANS32_DEP_1)
	v_rcp_f32_e32 v1, v0
	v_nop
	v_fma_f32 v2, -v0, v1, 1.0
	s_delay_alu instid0(VALU_DEP_1) | instskip(SKIP_1) | instid1(VALU_DEP_1)
	v_fmac_f32_e32 v1, v2, v1
	v_div_scale_f32 v2, vcc_lo, 1.0, v39, 1.0
	v_mul_f32_e32 v3, v2, v1
	s_delay_alu instid0(VALU_DEP_1) | instskip(NEXT) | instid1(VALU_DEP_1)
	v_fma_f32 v4, -v0, v3, v2
	v_fmac_f32_e32 v3, v4, v1
	s_delay_alu instid0(VALU_DEP_1) | instskip(NEXT) | instid1(VALU_DEP_1)
	v_fma_f32 v0, -v0, v3, v2
	v_div_fmas_f32 v0, v0, v1, v3
	s_delay_alu instid0(VALU_DEP_1)
	v_div_fixup_f32 v0, v0, v39, 1.0
.LBB17_68:
	v_dual_add_nc_u32 v1, s1, v140 :: v_dual_lshrrev_b32 v5, 16, v162
	v_mov_b32_e32 v3, 0
	v_cvt_f32_f16_e64 v4, v162
	s_delay_alu instid0(VALU_DEP_3) | instskip(NEXT) | instid1(VALU_DEP_4)
	v_mad_u32 v1, v1, s23, s4
	v_cvt_f32_f16_e32 v5, v5
	s_delay_alu instid0(VALU_DEP_2) | instskip(NEXT) | instid1(VALU_DEP_1)
	v_mad_u32 v1, s0, v1, s31
	v_lshl_add_u32 v2, v1, 6, v62
	s_delay_alu instid0(VALU_DEP_3) | instskip(NEXT) | instid1(VALU_DEP_2)
	v_pk_mul_f32 v[4:5], v[0:1], v[4:5] op_sel_hi:[0,1]
	v_lshl_add_u64 v[2:3], v[2:3], 2, s[16:17]
	global_store_b64 v[2:3], v[4:5], off
	s_wait_xcnt 0x0
	s_and_saveexec_b32 s7, s3
	s_cbranch_execz .LBB17_70
; %bb.69:
	v_mov_b32_e32 v38, v11
	global_store_b64 v1, v[38:39], s[18:19] scale_offset
.LBB17_70:
	s_wait_xcnt 0x0
	s_or_b32 exec_lo, exec_lo, s7
	v_cmp_gt_i32_e32 vcc_lo, s22, v152
	s_and_b32 exec_lo, exec_lo, vcc_lo
	s_cbranch_execz .LBB17_90
; %bb.71:
	v_cmp_ne_u32_e32 vcc_lo, 1, v16
	v_mov_b32_e32 v0, 1.0
	s_cbranch_vccnz .LBB17_73
; %bb.72:
	v_div_scale_f32 v0, null, v36, v36, 1.0
	s_delay_alu instid0(VALU_DEP_1) | instskip(SKIP_1) | instid1(TRANS32_DEP_1)
	v_rcp_f32_e32 v1, v0
	v_nop
	v_fma_f32 v2, -v0, v1, 1.0
	s_delay_alu instid0(VALU_DEP_1) | instskip(SKIP_1) | instid1(VALU_DEP_1)
	v_fmac_f32_e32 v1, v2, v1
	v_div_scale_f32 v2, vcc_lo, 1.0, v36, 1.0
	v_mul_f32_e32 v3, v2, v1
	s_delay_alu instid0(VALU_DEP_1) | instskip(NEXT) | instid1(VALU_DEP_1)
	v_fma_f32 v4, -v0, v3, v2
	v_fmac_f32_e32 v3, v4, v1
	s_delay_alu instid0(VALU_DEP_1) | instskip(NEXT) | instid1(VALU_DEP_1)
	v_fma_f32 v0, -v0, v3, v2
	v_div_fmas_f32 v0, v0, v1, v3
	s_delay_alu instid0(VALU_DEP_1)
	v_div_fixup_f32 v0, v0, v36, 1.0
.LBB17_73:
	v_dual_add_nc_u32 v1, s1, v150 :: v_dual_lshrrev_b32 v5, 16, v161
	v_mov_b32_e32 v3, 0
	v_cvt_f32_f16_e64 v4, v161
	s_delay_alu instid0(VALU_DEP_3) | instskip(NEXT) | instid1(VALU_DEP_4)
	v_mad_u32 v1, v1, s23, s2
	v_cvt_f32_f16_e32 v5, v5
	s_delay_alu instid0(VALU_DEP_2) | instskip(NEXT) | instid1(VALU_DEP_1)
	v_mad_u32 v1, s0, v1, s31
	v_lshl_add_u32 v2, v1, 6, v62
	s_delay_alu instid0(VALU_DEP_3) | instskip(NEXT) | instid1(VALU_DEP_2)
	v_pk_mul_f32 v[4:5], v[0:1], v[4:5] op_sel_hi:[0,1]
	v_lshl_add_u64 v[2:3], v[2:3], 2, s[16:17]
	global_store_b64 v[2:3], v[4:5], off
	s_wait_xcnt 0x0
	s_and_saveexec_b32 s2, s3
	s_cbranch_execz .LBB17_75
; %bb.74:
	v_dual_mov_b32 v2, v12 :: v_dual_mov_b32 v3, v36
	global_store_b64 v1, v[2:3], s[18:19] scale_offset
.LBB17_75:
	s_wait_xcnt 0x0
	s_or_b32 exec_lo, exec_lo, s2
	v_cmp_gt_i32_e32 vcc_lo, s22, v149
	s_and_b32 exec_lo, exec_lo, vcc_lo
	s_cbranch_execz .LBB17_90
; %bb.76:
	v_cmp_ne_u32_e32 vcc_lo, 1, v16
	v_mov_b32_e32 v0, 1.0
	s_cbranch_vccnz .LBB17_78
; %bb.77:
	v_div_scale_f32 v0, null, v37, v37, 1.0
	s_delay_alu instid0(VALU_DEP_1) | instskip(SKIP_1) | instid1(TRANS32_DEP_1)
	v_rcp_f32_e32 v1, v0
	v_nop
	v_fma_f32 v2, -v0, v1, 1.0
	s_delay_alu instid0(VALU_DEP_1) | instskip(SKIP_1) | instid1(VALU_DEP_1)
	v_fmac_f32_e32 v1, v2, v1
	v_div_scale_f32 v2, vcc_lo, 1.0, v37, 1.0
	v_mul_f32_e32 v3, v2, v1
	s_delay_alu instid0(VALU_DEP_1) | instskip(NEXT) | instid1(VALU_DEP_1)
	v_fma_f32 v4, -v0, v3, v2
	v_fmac_f32_e32 v3, v4, v1
	s_delay_alu instid0(VALU_DEP_1) | instskip(NEXT) | instid1(VALU_DEP_1)
	v_fma_f32 v0, -v0, v3, v2
	v_div_fmas_f32 v0, v0, v1, v3
	s_delay_alu instid0(VALU_DEP_1)
	v_div_fixup_f32 v0, v0, v37, 1.0
.LBB17_78:
	v_dual_add_nc_u32 v1, s1, v147 :: v_dual_lshrrev_b32 v5, 16, v160
	v_mov_b32_e32 v3, 0
	v_cvt_f32_f16_e64 v4, v160
	s_delay_alu instid0(VALU_DEP_3) | instskip(NEXT) | instid1(VALU_DEP_4)
	v_mad_u32 v1, v1, s23, s6
	v_cvt_f32_f16_e32 v5, v5
	s_delay_alu instid0(VALU_DEP_2) | instskip(NEXT) | instid1(VALU_DEP_1)
	v_mad_u32 v1, s0, v1, s31
	v_lshl_add_u32 v2, v1, 6, v62
	s_delay_alu instid0(VALU_DEP_3) | instskip(NEXT) | instid1(VALU_DEP_2)
	v_pk_mul_f32 v[4:5], v[0:1], v[4:5] op_sel_hi:[0,1]
	v_lshl_add_u64 v[2:3], v[2:3], 2, s[16:17]
	global_store_b64 v[2:3], v[4:5], off
	s_wait_xcnt 0x0
	s_and_saveexec_b32 s2, s3
	s_cbranch_execz .LBB17_80
; %bb.79:
	v_mov_b32_e32 v36, v13
	global_store_b64 v1, v[36:37], s[18:19] scale_offset
.LBB17_80:
	s_wait_xcnt 0x0
	s_or_b32 exec_lo, exec_lo, s2
	v_cmp_gt_i32_e32 vcc_lo, s22, v146
	s_and_b32 exec_lo, exec_lo, vcc_lo
	s_cbranch_execz .LBB17_90
; %bb.81:
	v_cmp_ne_u32_e32 vcc_lo, 1, v16
	v_mov_b32_e32 v0, 1.0
	s_cbranch_vccnz .LBB17_83
; %bb.82:
	v_div_scale_f32 v0, null, v34, v34, 1.0
	s_delay_alu instid0(VALU_DEP_1) | instskip(SKIP_1) | instid1(TRANS32_DEP_1)
	v_rcp_f32_e32 v1, v0
	v_nop
	v_fma_f32 v2, -v0, v1, 1.0
	s_delay_alu instid0(VALU_DEP_1) | instskip(SKIP_1) | instid1(VALU_DEP_1)
	v_fmac_f32_e32 v1, v2, v1
	v_div_scale_f32 v2, vcc_lo, 1.0, v34, 1.0
	v_mul_f32_e32 v3, v2, v1
	s_delay_alu instid0(VALU_DEP_1) | instskip(NEXT) | instid1(VALU_DEP_1)
	v_fma_f32 v4, -v0, v3, v2
	v_fmac_f32_e32 v3, v4, v1
	s_delay_alu instid0(VALU_DEP_1) | instskip(NEXT) | instid1(VALU_DEP_1)
	v_fma_f32 v0, -v0, v3, v2
	v_div_fmas_f32 v0, v0, v1, v3
	s_delay_alu instid0(VALU_DEP_1)
	v_div_fixup_f32 v0, v0, v34, 1.0
.LBB17_83:
	v_dual_add_nc_u32 v1, s1, v144 :: v_dual_lshrrev_b32 v5, 16, v159
	v_mov_b32_e32 v3, 0
	v_cvt_f32_f16_e64 v4, v159
	s_delay_alu instid0(VALU_DEP_3) | instskip(NEXT) | instid1(VALU_DEP_4)
	v_mad_u32 v1, v1, s23, s5
	v_cvt_f32_f16_e32 v5, v5
	s_delay_alu instid0(VALU_DEP_2) | instskip(NEXT) | instid1(VALU_DEP_1)
	v_mad_u32 v1, s0, v1, s31
	v_lshl_add_u32 v2, v1, 6, v62
	s_delay_alu instid0(VALU_DEP_3) | instskip(NEXT) | instid1(VALU_DEP_2)
	v_pk_mul_f32 v[4:5], v[0:1], v[4:5] op_sel_hi:[0,1]
	v_lshl_add_u64 v[2:3], v[2:3], 2, s[16:17]
	global_store_b64 v[2:3], v[4:5], off
	s_wait_xcnt 0x0
	s_and_saveexec_b32 s2, s3
	s_cbranch_execz .LBB17_85
; %bb.84:
	v_dual_mov_b32 v2, v14 :: v_dual_mov_b32 v3, v34
	global_store_b64 v1, v[2:3], s[18:19] scale_offset
.LBB17_85:
	s_wait_xcnt 0x0
	s_or_b32 exec_lo, exec_lo, s2
	v_cmp_gt_i32_e32 vcc_lo, s22, v143
	s_and_b32 exec_lo, exec_lo, vcc_lo
	s_cbranch_execz .LBB17_90
; %bb.86:
	v_cmp_ne_u32_e32 vcc_lo, 1, v16
	v_mov_b32_e32 v0, 1.0
	s_cbranch_vccnz .LBB17_88
; %bb.87:
	v_div_scale_f32 v0, null, v35, v35, 1.0
	s_delay_alu instid0(VALU_DEP_1) | instskip(SKIP_1) | instid1(TRANS32_DEP_1)
	v_rcp_f32_e32 v1, v0
	v_nop
	v_fma_f32 v2, -v0, v1, 1.0
	s_delay_alu instid0(VALU_DEP_1) | instskip(SKIP_1) | instid1(VALU_DEP_1)
	v_fmac_f32_e32 v1, v2, v1
	v_div_scale_f32 v2, vcc_lo, 1.0, v35, 1.0
	v_mul_f32_e32 v3, v2, v1
	s_delay_alu instid0(VALU_DEP_1) | instskip(NEXT) | instid1(VALU_DEP_1)
	v_fma_f32 v4, -v0, v3, v2
	v_fmac_f32_e32 v3, v4, v1
	s_delay_alu instid0(VALU_DEP_1) | instskip(NEXT) | instid1(VALU_DEP_1)
	v_fma_f32 v0, -v0, v3, v2
	v_div_fmas_f32 v0, v0, v1, v3
	s_delay_alu instid0(VALU_DEP_1)
	v_div_fixup_f32 v0, v0, v35, 1.0
.LBB17_88:
	v_dual_add_nc_u32 v1, s1, v141 :: v_dual_lshrrev_b32 v5, 16, v158
	v_mov_b32_e32 v3, 0
	v_cvt_f32_f16_e64 v4, v158
	s_delay_alu instid0(VALU_DEP_3) | instskip(NEXT) | instid1(VALU_DEP_4)
	v_mad_u32 v1, v1, s23, s4
	v_cvt_f32_f16_e32 v5, v5
	s_delay_alu instid0(VALU_DEP_2) | instskip(NEXT) | instid1(VALU_DEP_1)
	v_mad_u32 v1, s0, v1, s31
	v_lshl_add_u32 v2, v1, 6, v62
	s_delay_alu instid0(VALU_DEP_3) | instskip(NEXT) | instid1(VALU_DEP_2)
	v_pk_mul_f32 v[4:5], v[0:1], v[4:5] op_sel_hi:[0,1]
	v_lshl_add_u64 v[2:3], v[2:3], 2, s[16:17]
	global_store_b64 v[2:3], v[4:5], off
	s_wait_xcnt 0x0
	s_and_b32 exec_lo, exec_lo, s3
	s_cbranch_execz .LBB17_90
; %bb.89:
	v_mov_b32_e32 v34, v15
	global_store_b64 v1, v[34:35], s[18:19] scale_offset
.LBB17_90:
	s_sendmsg sendmsg(MSG_DEALLOC_VGPRS)
	s_endpgm
	.section	.rodata,"a",@progbits
	.p2align	6, 0x0
	.amdhsa_kernel _ZL15flash_attn_tileILi64ELi64ELi16ELi4ELb0EEvPKcS1_S1_S1_S1_PKiPfP15HIP_vector_typeIfLj2EEffffjfiS5_IjLj3EEiiiiiiiiiiiliiliiiiil
		.amdhsa_group_segment_fixed_size 25600
		.amdhsa_private_segment_fixed_size 120
		.amdhsa_kernarg_size 464
		.amdhsa_user_sgpr_count 2
		.amdhsa_user_sgpr_dispatch_ptr 0
		.amdhsa_user_sgpr_queue_ptr 0
		.amdhsa_user_sgpr_kernarg_segment_ptr 1
		.amdhsa_user_sgpr_dispatch_id 0
		.amdhsa_user_sgpr_kernarg_preload_length 0
		.amdhsa_user_sgpr_kernarg_preload_offset 0
		.amdhsa_user_sgpr_private_segment_size 0
		.amdhsa_wavefront_size32 1
		.amdhsa_uses_dynamic_stack 0
		.amdhsa_enable_private_segment 1
		.amdhsa_system_sgpr_workgroup_id_x 1
		.amdhsa_system_sgpr_workgroup_id_y 1
		.amdhsa_system_sgpr_workgroup_id_z 1
		.amdhsa_system_sgpr_workgroup_info 0
		.amdhsa_system_vgpr_workitem_id 1
		.amdhsa_next_free_vgpr 192
		.amdhsa_next_free_sgpr 47
		.amdhsa_named_barrier_count 0
		.amdhsa_reserve_vcc 1
		.amdhsa_float_round_mode_32 0
		.amdhsa_float_round_mode_16_64 0
		.amdhsa_float_denorm_mode_32 3
		.amdhsa_float_denorm_mode_16_64 3
		.amdhsa_fp16_overflow 0
		.amdhsa_memory_ordered 1
		.amdhsa_forward_progress 1
		.amdhsa_inst_pref_size 255
		.amdhsa_round_robin_scheduling 0
		.amdhsa_exception_fp_ieee_invalid_op 0
		.amdhsa_exception_fp_denorm_src 0
		.amdhsa_exception_fp_ieee_div_zero 0
		.amdhsa_exception_fp_ieee_overflow 0
		.amdhsa_exception_fp_ieee_underflow 0
		.amdhsa_exception_fp_ieee_inexact 0
		.amdhsa_exception_int_div_zero 0
	.end_amdhsa_kernel
	.section	.text._ZL15flash_attn_tileILi64ELi64ELi16ELi4ELb0EEvPKcS1_S1_S1_S1_PKiPfP15HIP_vector_typeIfLj2EEffffjfiS5_IjLj3EEiiiiiiiiiiiliiliiiiil,"axG",@progbits,_ZL15flash_attn_tileILi64ELi64ELi16ELi4ELb0EEvPKcS1_S1_S1_S1_PKiPfP15HIP_vector_typeIfLj2EEffffjfiS5_IjLj3EEiiiiiiiiiiiliiliiiiil,comdat
.Lfunc_end17:
	.size	_ZL15flash_attn_tileILi64ELi64ELi16ELi4ELb0EEvPKcS1_S1_S1_S1_PKiPfP15HIP_vector_typeIfLj2EEffffjfiS5_IjLj3EEiiiiiiiiiiiliiliiiiil, .Lfunc_end17-_ZL15flash_attn_tileILi64ELi64ELi16ELi4ELb0EEvPKcS1_S1_S1_S1_PKiPfP15HIP_vector_typeIfLj2EEffffjfiS5_IjLj3EEiiiiiiiiiiiliiliiiiil
                                        ; -- End function
	.set _ZL15flash_attn_tileILi64ELi64ELi16ELi4ELb0EEvPKcS1_S1_S1_S1_PKiPfP15HIP_vector_typeIfLj2EEffffjfiS5_IjLj3EEiiiiiiiiiiiliiliiiiil.num_vgpr, 192
	.set _ZL15flash_attn_tileILi64ELi64ELi16ELi4ELb0EEvPKcS1_S1_S1_S1_PKiPfP15HIP_vector_typeIfLj2EEffffjfiS5_IjLj3EEiiiiiiiiiiiliiliiiiil.num_agpr, 0
	.set _ZL15flash_attn_tileILi64ELi64ELi16ELi4ELb0EEvPKcS1_S1_S1_S1_PKiPfP15HIP_vector_typeIfLj2EEffffjfiS5_IjLj3EEiiiiiiiiiiiliiliiiiil.numbered_sgpr, 47
	.set _ZL15flash_attn_tileILi64ELi64ELi16ELi4ELb0EEvPKcS1_S1_S1_S1_PKiPfP15HIP_vector_typeIfLj2EEffffjfiS5_IjLj3EEiiiiiiiiiiiliiliiiiil.num_named_barrier, 0
	.set _ZL15flash_attn_tileILi64ELi64ELi16ELi4ELb0EEvPKcS1_S1_S1_S1_PKiPfP15HIP_vector_typeIfLj2EEffffjfiS5_IjLj3EEiiiiiiiiiiiliiliiiiil.private_seg_size, 120
	.set _ZL15flash_attn_tileILi64ELi64ELi16ELi4ELb0EEvPKcS1_S1_S1_S1_PKiPfP15HIP_vector_typeIfLj2EEffffjfiS5_IjLj3EEiiiiiiiiiiiliiliiiiil.uses_vcc, 1
	.set _ZL15flash_attn_tileILi64ELi64ELi16ELi4ELb0EEvPKcS1_S1_S1_S1_PKiPfP15HIP_vector_typeIfLj2EEffffjfiS5_IjLj3EEiiiiiiiiiiiliiliiiiil.uses_flat_scratch, 1
	.set _ZL15flash_attn_tileILi64ELi64ELi16ELi4ELb0EEvPKcS1_S1_S1_S1_PKiPfP15HIP_vector_typeIfLj2EEffffjfiS5_IjLj3EEiiiiiiiiiiiliiliiiiil.has_dyn_sized_stack, 0
	.set _ZL15flash_attn_tileILi64ELi64ELi16ELi4ELb0EEvPKcS1_S1_S1_S1_PKiPfP15HIP_vector_typeIfLj2EEffffjfiS5_IjLj3EEiiiiiiiiiiiliiliiiiil.has_recursion, 0
	.set _ZL15flash_attn_tileILi64ELi64ELi16ELi4ELb0EEvPKcS1_S1_S1_S1_PKiPfP15HIP_vector_typeIfLj2EEffffjfiS5_IjLj3EEiiiiiiiiiiiliiliiiiil.has_indirect_call, 0
	.section	.AMDGPU.csdata,"",@progbits
; Kernel info:
; codeLenInByte = 50908
; TotalNumSgprs: 49
; NumVgprs: 192
; ScratchSize: 120
; MemoryBound: 0
; FloatMode: 240
; IeeeMode: 1
; LDSByteSize: 25600 bytes/workgroup (compile time only)
; SGPRBlocks: 0
; VGPRBlocks: 11
; NumSGPRsForWavesPerEU: 49
; NumVGPRsForWavesPerEU: 192
; NamedBarCnt: 0
; Occupancy: 5
; WaveLimiterHint : 0
; COMPUTE_PGM_RSRC2:SCRATCH_EN: 1
; COMPUTE_PGM_RSRC2:USER_SGPR: 2
; COMPUTE_PGM_RSRC2:TRAP_HANDLER: 0
; COMPUTE_PGM_RSRC2:TGID_X_EN: 1
; COMPUTE_PGM_RSRC2:TGID_Y_EN: 1
; COMPUTE_PGM_RSRC2:TGID_Z_EN: 1
; COMPUTE_PGM_RSRC2:TIDIG_COMP_CNT: 1
	.section	.text._ZL25flash_attn_mask_to_KV_maxILi16EEvPK7__half2Piiii,"axG",@progbits,_ZL25flash_attn_mask_to_KV_maxILi16EEvPK7__half2Piiii,comdat
	.globl	_ZL25flash_attn_mask_to_KV_maxILi16EEvPK7__half2Piiii ; -- Begin function _ZL25flash_attn_mask_to_KV_maxILi16EEvPK7__half2Piiii
	.p2align	8
	.type	_ZL25flash_attn_mask_to_KV_maxILi16EEvPK7__half2Piiii,@function
_ZL25flash_attn_mask_to_KV_maxILi16EEvPK7__half2Piiii: ; @_ZL25flash_attn_mask_to_KV_maxILi16EEvPK7__half2Piiii
; %bb.0:
	s_load_b128 s[4:7], s[0:1], 0x0
	s_mov_b32 s2, exec_lo
	v_cmpx_gt_u32_e32 32, v0
; %bb.1:
	v_dual_mov_b32 v2, 1 :: v_dual_lshlrev_b32 v1, 2, v0
	ds_store_b32 v1, v2
; %bb.2:
	s_or_b32 exec_lo, exec_lo, s2
	s_clause 0x1
	s_load_b96 s[8:10], s[0:1], 0x10
	s_load_b32 s11, s[0:1], 0x20
	s_wait_xcnt 0x0
	s_bfe_u32 s1, ttmp6, 0x4000c
	s_bfe_u32 s2, ttmp6, 0x40010
	s_add_co_i32 s1, s1, 1
	s_add_co_i32 s2, s2, 1
	s_and_b32 s0, ttmp6, 15
	s_bfe_u32 s3, ttmp6, 0x40004
	s_mul_i32 s1, ttmp9, s1
	s_mul_i32 s2, ttmp7, s2
	s_getreg_b32 s12, hwreg(HW_REG_IB_STS2, 6, 4)
	s_add_co_i32 s0, s0, s1
	s_add_co_i32 s3, s3, s2
	s_cmp_eq_u32 s12, 0
	v_dual_lshrrev_b32 v1, 3, v0 :: v_dual_bitop2_b32 v2, 31, v0 bitop3:0x40
	s_cselect_b32 s1, ttmp9, s0
	s_cselect_b32 s12, ttmp7, s3
	s_wait_dscnt 0x0
	s_barrier_signal -1
	s_wait_kmcnt 0x0
	s_mul_i32 s0, s1, s9
	s_mul_i32 s2, s10, s12
	s_lshl_b32 s0, s0, 4
	s_barrier_wait -1
	s_add_co_i32 s2, s2, s0
	v_cmp_eq_u32_e64 s0, 0, v2
	s_ashr_i32 s3, s2, 31
	v_lshlrev_b32_e32 v2, 2, v2
	s_lshl_b64 s[2:3], s[2:3], 2
	s_delay_alu instid0(SALU_CYCLE_1)
	s_add_nc_u64 s[2:3], s[4:5], s[2:3]
	s_lshl_b32 s5, s8, 8
	s_branch .LBB18_4
.LBB18_3:                               ;   in Loop: Header=BB18_4 Depth=1
	s_or_b32 exec_lo, exec_lo, s8
	s_wait_dscnt 0x0
	s_barrier_signal -1
	s_barrier_wait -1
	ds_load_b32 v3, v2
	s_wait_dscnt 0x0
	s_barrier_signal -1
	s_barrier_wait -1
	v_cmp_ne_u32_e32 vcc_lo, 0, v3
	s_cmp_lg_u32 vcc_lo, exec_lo
	s_cselect_b32 s8, -1, 0
	s_delay_alu instid0(SALU_CYCLE_1)
	s_and_b32 vcc_lo, exec_lo, s8
	s_cbranch_vccnz .LBB18_68
.LBB18_4:                               ; =>This Inner Loop Header: Depth=1
	s_mov_b32 s4, s5
	s_addk_co_i32 s5, 0xff00
	s_delay_alu instid0(SALU_CYCLE_1)
	s_cmp_lt_i32 s5, 0
	s_cbranch_scc1 .LBB18_67
; %bb.5:                                ;   in Loop: Header=BB18_4 Depth=1
	s_lshr_b32 s8, s5, 1
	s_delay_alu instid0(SALU_CYCLE_1) | instskip(SKIP_4) | instid1(VALU_DEP_2)
	v_add_nc_u32_e32 v3, s8, v0
	global_load_b32 v4, v3, s[2:3] scale_offset
	s_wait_loadcnt 0x0
	v_lshrrev_b32_e32 v5, 16, v4
	v_cmp_class_f16_e64 s8, v4, 0x204
	v_cmp_class_f16_e64 s10, v5, 0x204
	s_and_b32 s13, s8, s10
	s_mov_b32 s10, 0
	s_and_saveexec_b32 s8, s13
	s_cbranch_execz .LBB18_65
; %bb.6:                                ;   in Loop: Header=BB18_4 Depth=1
	v_add_nc_u32_e32 v3, s9, v3
	s_mov_b32 s13, 0
	global_load_b32 v4, v3, s[2:3] scale_offset
	s_wait_loadcnt 0x0
	v_cmp_class_f16_e64 s14, v4, 0x204
	s_and_saveexec_b32 s10, s14
	s_cbranch_execz .LBB18_64
; %bb.7:                                ;   in Loop: Header=BB18_4 Depth=1
	v_lshrrev_b32_e32 v4, 16, v4
	s_mov_b32 s14, 0
	s_delay_alu instid0(VALU_DEP_1)
	v_cmp_class_f16_e64 s15, v4, 0x204
	s_and_saveexec_b32 s13, s15
	s_cbranch_execz .LBB18_63
; %bb.8:                                ;   in Loop: Header=BB18_4 Depth=1
	v_add_nc_u32_e32 v3, s9, v3
	s_mov_b32 s15, 0
	global_load_b32 v4, v3, s[2:3] scale_offset
	s_wait_loadcnt 0x0
	v_cmp_class_f16_e64 s16, v4, 0x204
	s_and_saveexec_b32 s14, s16
	s_cbranch_execz .LBB18_62
; %bb.9:                                ;   in Loop: Header=BB18_4 Depth=1
	v_lshrrev_b32_e32 v4, 16, v4
	s_mov_b32 s16, 0
	s_delay_alu instid0(VALU_DEP_1)
	v_cmp_class_f16_e64 s17, v4, 0x204
	s_and_saveexec_b32 s15, s17
	s_cbranch_execz .LBB18_61
; %bb.10:                               ;   in Loop: Header=BB18_4 Depth=1
	v_add_nc_u32_e32 v3, s9, v3
	s_mov_b32 s17, 0
	global_load_b32 v4, v3, s[2:3] scale_offset
	s_wait_loadcnt 0x0
	v_cmp_class_f16_e64 s18, v4, 0x204
	s_and_saveexec_b32 s16, s18
	s_cbranch_execz .LBB18_60
; %bb.11:                               ;   in Loop: Header=BB18_4 Depth=1
	v_lshrrev_b32_e32 v4, 16, v4
	s_mov_b32 s18, 0
	s_delay_alu instid0(VALU_DEP_1)
	v_cmp_class_f16_e64 s19, v4, 0x204
	s_and_saveexec_b32 s17, s19
	s_cbranch_execz .LBB18_59
; %bb.12:                               ;   in Loop: Header=BB18_4 Depth=1
	v_add_nc_u32_e32 v3, s9, v3
	s_mov_b32 s19, 0
	global_load_b32 v4, v3, s[2:3] scale_offset
	s_wait_loadcnt 0x0
	v_cmp_class_f16_e64 s20, v4, 0x204
	s_and_saveexec_b32 s18, s20
	s_cbranch_execz .LBB18_58
; %bb.13:                               ;   in Loop: Header=BB18_4 Depth=1
	;; [unrolled: 15-line block ×12, first 2 shown]
	v_lshrrev_b32_e32 v4, 16, v4
	s_mov_b32 s41, 0
	s_delay_alu instid0(VALU_DEP_1)
	v_cmp_class_f16_e64 s42, v4, 0x204
	s_and_saveexec_b32 s40, s42
	s_cbranch_execz .LBB18_37
; %bb.34:                               ;   in Loop: Header=BB18_4 Depth=1
	v_add_nc_u32_e32 v3, s9, v3
	global_load_b32 v3, v3, s[2:3] scale_offset
	s_wait_loadcnt 0x0
	v_cmp_class_f16_e64 s43, v3, 0x204
	s_and_saveexec_b32 s42, s43
; %bb.35:                               ;   in Loop: Header=BB18_4 Depth=1
	v_lshrrev_b32_e32 v3, 16, v3
	s_delay_alu instid0(VALU_DEP_1)
	v_cmp_class_f16_e64 s41, v3, 0x204
	s_and_b32 s41, s41, exec_lo
; %bb.36:                               ;   in Loop: Header=BB18_4 Depth=1
	s_or_b32 exec_lo, exec_lo, s42
	s_delay_alu instid0(SALU_CYCLE_1)
	s_and_b32 s41, s41, exec_lo
.LBB18_37:                              ;   in Loop: Header=BB18_4 Depth=1
	s_or_b32 exec_lo, exec_lo, s40
	s_delay_alu instid0(SALU_CYCLE_1)
	s_and_b32 s40, s41, exec_lo
.LBB18_38:                              ;   in Loop: Header=BB18_4 Depth=1
	s_or_b32 exec_lo, exec_lo, s39
	s_delay_alu instid0(SALU_CYCLE_1)
	s_and_b32 s39, s40, exec_lo
.LBB18_39:                              ;   in Loop: Header=BB18_4 Depth=1
	s_or_b32 exec_lo, exec_lo, s38
	s_delay_alu instid0(SALU_CYCLE_1)
	s_and_b32 s38, s39, exec_lo
.LBB18_40:                              ;   in Loop: Header=BB18_4 Depth=1
	s_or_b32 exec_lo, exec_lo, s37
	s_delay_alu instid0(SALU_CYCLE_1)
	s_and_b32 s37, s38, exec_lo
.LBB18_41:                              ;   in Loop: Header=BB18_4 Depth=1
	s_or_b32 exec_lo, exec_lo, s36
	s_delay_alu instid0(SALU_CYCLE_1)
	s_and_b32 s36, s37, exec_lo
.LBB18_42:                              ;   in Loop: Header=BB18_4 Depth=1
	s_or_b32 exec_lo, exec_lo, s35
	s_delay_alu instid0(SALU_CYCLE_1)
	s_and_b32 s35, s36, exec_lo
.LBB18_43:                              ;   in Loop: Header=BB18_4 Depth=1
	s_or_b32 exec_lo, exec_lo, s34
	s_delay_alu instid0(SALU_CYCLE_1)
	s_and_b32 s34, s35, exec_lo
.LBB18_44:                              ;   in Loop: Header=BB18_4 Depth=1
	s_or_b32 exec_lo, exec_lo, s33
	s_delay_alu instid0(SALU_CYCLE_1)
	s_and_b32 s33, s34, exec_lo
.LBB18_45:                              ;   in Loop: Header=BB18_4 Depth=1
	s_or_b32 exec_lo, exec_lo, s31
	s_delay_alu instid0(SALU_CYCLE_1)
	s_and_b32 s31, s33, exec_lo
.LBB18_46:                              ;   in Loop: Header=BB18_4 Depth=1
	s_or_b32 exec_lo, exec_lo, s30
	s_delay_alu instid0(SALU_CYCLE_1)
	s_and_b32 s30, s31, exec_lo
.LBB18_47:                              ;   in Loop: Header=BB18_4 Depth=1
	s_or_b32 exec_lo, exec_lo, s29
	s_delay_alu instid0(SALU_CYCLE_1)
	s_and_b32 s29, s30, exec_lo
.LBB18_48:                              ;   in Loop: Header=BB18_4 Depth=1
	s_or_b32 exec_lo, exec_lo, s28
	s_delay_alu instid0(SALU_CYCLE_1)
	s_and_b32 s28, s29, exec_lo
.LBB18_49:                              ;   in Loop: Header=BB18_4 Depth=1
	s_or_b32 exec_lo, exec_lo, s27
	s_delay_alu instid0(SALU_CYCLE_1)
	s_and_b32 s27, s28, exec_lo
.LBB18_50:                              ;   in Loop: Header=BB18_4 Depth=1
	s_or_b32 exec_lo, exec_lo, s26
	s_delay_alu instid0(SALU_CYCLE_1)
	s_and_b32 s26, s27, exec_lo
.LBB18_51:                              ;   in Loop: Header=BB18_4 Depth=1
	s_or_b32 exec_lo, exec_lo, s25
	s_delay_alu instid0(SALU_CYCLE_1)
	s_and_b32 s25, s26, exec_lo
.LBB18_52:                              ;   in Loop: Header=BB18_4 Depth=1
	s_or_b32 exec_lo, exec_lo, s24
	s_delay_alu instid0(SALU_CYCLE_1)
	s_and_b32 s24, s25, exec_lo
.LBB18_53:                              ;   in Loop: Header=BB18_4 Depth=1
	s_or_b32 exec_lo, exec_lo, s23
	s_delay_alu instid0(SALU_CYCLE_1)
	s_and_b32 s23, s24, exec_lo
.LBB18_54:                              ;   in Loop: Header=BB18_4 Depth=1
	s_or_b32 exec_lo, exec_lo, s22
	s_delay_alu instid0(SALU_CYCLE_1)
	s_and_b32 s22, s23, exec_lo
.LBB18_55:                              ;   in Loop: Header=BB18_4 Depth=1
	s_or_b32 exec_lo, exec_lo, s21
	s_delay_alu instid0(SALU_CYCLE_1)
	s_and_b32 s21, s22, exec_lo
.LBB18_56:                              ;   in Loop: Header=BB18_4 Depth=1
	s_or_b32 exec_lo, exec_lo, s20
	s_delay_alu instid0(SALU_CYCLE_1)
	s_and_b32 s20, s21, exec_lo
.LBB18_57:                              ;   in Loop: Header=BB18_4 Depth=1
	s_or_b32 exec_lo, exec_lo, s19
	s_delay_alu instid0(SALU_CYCLE_1)
	s_and_b32 s19, s20, exec_lo
.LBB18_58:                              ;   in Loop: Header=BB18_4 Depth=1
	s_or_b32 exec_lo, exec_lo, s18
	s_delay_alu instid0(SALU_CYCLE_1)
	s_and_b32 s18, s19, exec_lo
.LBB18_59:                              ;   in Loop: Header=BB18_4 Depth=1
	s_or_b32 exec_lo, exec_lo, s17
	s_delay_alu instid0(SALU_CYCLE_1)
	s_and_b32 s17, s18, exec_lo
.LBB18_60:                              ;   in Loop: Header=BB18_4 Depth=1
	s_or_b32 exec_lo, exec_lo, s16
	s_delay_alu instid0(SALU_CYCLE_1)
	s_and_b32 s16, s17, exec_lo
.LBB18_61:                              ;   in Loop: Header=BB18_4 Depth=1
	s_or_b32 exec_lo, exec_lo, s15
	s_delay_alu instid0(SALU_CYCLE_1)
	s_and_b32 s15, s16, exec_lo
.LBB18_62:                              ;   in Loop: Header=BB18_4 Depth=1
	s_or_b32 exec_lo, exec_lo, s14
	s_delay_alu instid0(SALU_CYCLE_1)
	s_and_b32 s14, s15, exec_lo
.LBB18_63:                              ;   in Loop: Header=BB18_4 Depth=1
	s_or_b32 exec_lo, exec_lo, s13
	s_delay_alu instid0(SALU_CYCLE_1)
	s_and_b32 s13, s14, exec_lo
.LBB18_64:                              ;   in Loop: Header=BB18_4 Depth=1
	s_or_b32 exec_lo, exec_lo, s10
	s_delay_alu instid0(SALU_CYCLE_1)
	s_and_b32 s10, s13, exec_lo
.LBB18_65:                              ;   in Loop: Header=BB18_4 Depth=1
	s_or_b32 exec_lo, exec_lo, s8
	v_cndmask_b32_e64 v3, 0, 1, s10
	s_mov_b32 s13, exec_lo
	s_delay_alu instid0(VALU_DEP_1)
	v_cmp_ne_u32_e32 vcc_lo, 0, v3
	s_and_saveexec_b32 s8, s0
	s_cbranch_execz .LBB18_3
; %bb.66:                               ;   in Loop: Header=BB18_4 Depth=1
	s_cmp_eq_u32 vcc_lo, s13
	s_cselect_b32 s10, -1, 0
	s_delay_alu instid0(SALU_CYCLE_1)
	v_cndmask_b32_e64 v3, 0, 1, s10
	ds_store_b32 v1, v3
	s_branch .LBB18_3
.LBB18_67:                              ;   in Loop: Header=BB18_4 Depth=1
	s_cbranch_execz .LBB18_4
.LBB18_68:
	s_mov_b32 s0, exec_lo
	v_cmpx_eq_u32_e32 0, v0
	s_cbranch_execz .LBB18_70
; %bb.69:
	s_mul_i32 s0, s11, s12
	v_mov_b32_e32 v1, s4
	s_add_co_i32 s0, s0, s1
	s_delay_alu instid0(SALU_CYCLE_1)
	v_mov_b32_e32 v0, s0
	global_store_b32 v0, v1, s[6:7] scale_offset
.LBB18_70:
	s_endpgm
	.section	.rodata,"a",@progbits
	.p2align	6, 0x0
	.amdhsa_kernel _ZL25flash_attn_mask_to_KV_maxILi16EEvPK7__half2Piiii
		.amdhsa_group_segment_fixed_size 128
		.amdhsa_private_segment_fixed_size 0
		.amdhsa_kernarg_size 288
		.amdhsa_user_sgpr_count 2
		.amdhsa_user_sgpr_dispatch_ptr 0
		.amdhsa_user_sgpr_queue_ptr 0
		.amdhsa_user_sgpr_kernarg_segment_ptr 1
		.amdhsa_user_sgpr_dispatch_id 0
		.amdhsa_user_sgpr_kernarg_preload_length 0
		.amdhsa_user_sgpr_kernarg_preload_offset 0
		.amdhsa_user_sgpr_private_segment_size 0
		.amdhsa_wavefront_size32 1
		.amdhsa_uses_dynamic_stack 0
		.amdhsa_enable_private_segment 0
		.amdhsa_system_sgpr_workgroup_id_x 1
		.amdhsa_system_sgpr_workgroup_id_y 1
		.amdhsa_system_sgpr_workgroup_id_z 0
		.amdhsa_system_sgpr_workgroup_info 0
		.amdhsa_system_vgpr_workitem_id 0
		.amdhsa_next_free_vgpr 6
		.amdhsa_next_free_sgpr 44
		.amdhsa_named_barrier_count 0
		.amdhsa_reserve_vcc 1
		.amdhsa_float_round_mode_32 0
		.amdhsa_float_round_mode_16_64 0
		.amdhsa_float_denorm_mode_32 3
		.amdhsa_float_denorm_mode_16_64 3
		.amdhsa_fp16_overflow 0
		.amdhsa_memory_ordered 1
		.amdhsa_forward_progress 1
		.amdhsa_inst_pref_size 16
		.amdhsa_round_robin_scheduling 0
		.amdhsa_exception_fp_ieee_invalid_op 0
		.amdhsa_exception_fp_denorm_src 0
		.amdhsa_exception_fp_ieee_div_zero 0
		.amdhsa_exception_fp_ieee_overflow 0
		.amdhsa_exception_fp_ieee_underflow 0
		.amdhsa_exception_fp_ieee_inexact 0
		.amdhsa_exception_int_div_zero 0
	.end_amdhsa_kernel
	.section	.text._ZL25flash_attn_mask_to_KV_maxILi16EEvPK7__half2Piiii,"axG",@progbits,_ZL25flash_attn_mask_to_KV_maxILi16EEvPK7__half2Piiii,comdat
.Lfunc_end18:
	.size	_ZL25flash_attn_mask_to_KV_maxILi16EEvPK7__half2Piiii, .Lfunc_end18-_ZL25flash_attn_mask_to_KV_maxILi16EEvPK7__half2Piiii
                                        ; -- End function
	.set _ZL25flash_attn_mask_to_KV_maxILi16EEvPK7__half2Piiii.num_vgpr, 6
	.set _ZL25flash_attn_mask_to_KV_maxILi16EEvPK7__half2Piiii.num_agpr, 0
	.set _ZL25flash_attn_mask_to_KV_maxILi16EEvPK7__half2Piiii.numbered_sgpr, 44
	.set _ZL25flash_attn_mask_to_KV_maxILi16EEvPK7__half2Piiii.num_named_barrier, 0
	.set _ZL25flash_attn_mask_to_KV_maxILi16EEvPK7__half2Piiii.private_seg_size, 0
	.set _ZL25flash_attn_mask_to_KV_maxILi16EEvPK7__half2Piiii.uses_vcc, 1
	.set _ZL25flash_attn_mask_to_KV_maxILi16EEvPK7__half2Piiii.uses_flat_scratch, 0
	.set _ZL25flash_attn_mask_to_KV_maxILi16EEvPK7__half2Piiii.has_dyn_sized_stack, 0
	.set _ZL25flash_attn_mask_to_KV_maxILi16EEvPK7__half2Piiii.has_recursion, 0
	.set _ZL25flash_attn_mask_to_KV_maxILi16EEvPK7__half2Piiii.has_indirect_call, 0
	.section	.AMDGPU.csdata,"",@progbits
; Kernel info:
; codeLenInByte = 1948
; TotalNumSgprs: 46
; NumVgprs: 6
; ScratchSize: 0
; MemoryBound: 0
; FloatMode: 240
; IeeeMode: 1
; LDSByteSize: 128 bytes/workgroup (compile time only)
; SGPRBlocks: 0
; VGPRBlocks: 0
; NumSGPRsForWavesPerEU: 46
; NumVGPRsForWavesPerEU: 6
; NamedBarCnt: 0
; Occupancy: 16
; WaveLimiterHint : 0
; COMPUTE_PGM_RSRC2:SCRATCH_EN: 0
; COMPUTE_PGM_RSRC2:USER_SGPR: 2
; COMPUTE_PGM_RSRC2:TRAP_HANDLER: 0
; COMPUTE_PGM_RSRC2:TGID_X_EN: 1
; COMPUTE_PGM_RSRC2:TGID_Y_EN: 1
; COMPUTE_PGM_RSRC2:TGID_Z_EN: 0
; COMPUTE_PGM_RSRC2:TIDIG_COMP_CNT: 0
	.section	.text._ZL33flash_attn_stream_k_fixup_uniformILi64ELi16ELi4EEvPfPK15HIP_vector_typeIfLj2EEiiiiiiS1_IjLj3EES5_S5_,"axG",@progbits,_ZL33flash_attn_stream_k_fixup_uniformILi64ELi16ELi4EEvPfPK15HIP_vector_typeIfLj2EEiiiiiiS1_IjLj3EES5_S5_,comdat
	.globl	_ZL33flash_attn_stream_k_fixup_uniformILi64ELi16ELi4EEvPfPK15HIP_vector_typeIfLj2EEiiiiiiS1_IjLj3EES5_S5_ ; -- Begin function _ZL33flash_attn_stream_k_fixup_uniformILi64ELi16ELi4EEvPfPK15HIP_vector_typeIfLj2EEiiiiiiS1_IjLj3EES5_S5_
	.p2align	8
	.type	_ZL33flash_attn_stream_k_fixup_uniformILi64ELi16ELi4EEvPfPK15HIP_vector_typeIfLj2EEiiiiiiS1_IjLj3EES5_S5_,@function
_ZL33flash_attn_stream_k_fixup_uniformILi64ELi16ELi4EEvPfPK15HIP_vector_typeIfLj2EEiiiiiiS1_IjLj3EES5_S5_: ; @_ZL33flash_attn_stream_k_fixup_uniformILi64ELi16ELi4EEvPfPK15HIP_vector_typeIfLj2EEiiiiiiS1_IjLj3EES5_S5_
; %bb.0:
	s_load_b256 s[4:11], s[0:1], 0x1c
	s_bfe_u32 s2, ttmp6, 0x40014
	s_lshr_b32 s3, ttmp7, 16
	s_add_co_i32 s2, s2, 1
	s_bfe_u32 s13, ttmp6, 0x40010
	s_mul_i32 s2, s3, s2
	s_bfe_u32 s12, ttmp6, 0x40008
	s_and_b32 s15, ttmp7, 0xffff
	s_add_co_i32 s13, s13, 1
	s_bfe_u32 s14, ttmp6, 0x4000c
	s_add_co_i32 s12, s12, s2
	s_mul_i32 s2, s15, s13
	s_bfe_u32 s13, ttmp6, 0x40004
	s_add_co_i32 s14, s14, 1
	s_add_co_i32 s13, s13, s2
	s_and_b32 s2, ttmp6, 15
	s_mul_i32 s14, ttmp9, s14
	s_getreg_b32 s20, hwreg(HW_REG_IB_STS2, 6, 4)
	s_add_co_i32 s2, s2, s14
	s_load_b128 s[16:19], s[0:1], 0x3c
	s_cmp_eq_u32 s20, 0
	s_cselect_b32 s14, ttmp9, s2
	s_cselect_b32 s13, s15, s13
	s_wait_kmcnt 0x0
	s_mul_hi_u32 s2, s7, s14
	s_cselect_b32 s12, s3, s12
	s_add_co_i32 s2, s14, s2
	s_delay_alu instid0(SALU_CYCLE_1) | instskip(NEXT) | instid1(SALU_CYCLE_1)
	s_lshr_b32 s7, s2, s8
	s_mul_i32 s2, s7, s9
	s_delay_alu instid0(SALU_CYCLE_1) | instskip(NEXT) | instid1(SALU_CYCLE_1)
	s_sub_co_i32 s8, s14, s2
	s_mul_hi_u32 s2, s8, s10
	s_delay_alu instid0(SALU_CYCLE_1) | instskip(SKIP_2) | instid1(SALU_CYCLE_1)
	s_add_co_i32 s9, s8, s2
	s_load_b64 s[2:3], s[0:1], 0x10
	s_lshr_b32 s15, s9, s11
	s_mul_i32 s9, s15, s16
	s_delay_alu instid0(SALU_CYCLE_1) | instskip(NEXT) | instid1(SALU_CYCLE_1)
	s_sub_co_i32 s8, s8, s9
	s_mul_hi_u32 s9, s8, s17
	s_delay_alu instid0(SALU_CYCLE_1) | instskip(NEXT) | instid1(SALU_CYCLE_1)
	s_add_co_i32 s9, s8, s9
	s_lshr_b32 s9, s9, s18
	s_delay_alu instid0(SALU_CYCLE_1) | instskip(SKIP_2) | instid1(SALU_CYCLE_1)
	s_mul_i32 s10, s9, s19
	s_lshl_b32 s17, s9, 2
	s_sub_co_i32 s16, s8, s10
	s_lshl_b32 s8, s16, 4
	s_delay_alu instid0(SALU_CYCLE_1) | instskip(SKIP_4) | instid1(SALU_CYCLE_1)
	s_add_co_i32 s8, s8, s13
	s_wait_kmcnt 0x0
	s_cmp_lt_i32 s8, s2
	s_cselect_b32 s8, -1, 0
	s_add_co_i32 s9, s17, s12
	s_cmp_lt_i32 s9, s5
	s_cselect_b32 s9, -1, 0
	s_delay_alu instid0(SALU_CYCLE_1) | instskip(NEXT) | instid1(SALU_CYCLE_1)
	s_and_b32 s8, s8, s9
	s_and_not1_b32 vcc_lo, exec_lo, s8
	s_cbranch_vccnz .LBB19_6
; %bb.1:
	s_mul_i32 s2, s7, s2
	s_load_b128 s[8:11], s[0:1], 0x0
	s_wait_xcnt 0x0
	s_add_co_i32 s0, s2, s13
	s_mul_i32 s15, s15, s5
	s_mul_i32 s0, s0, s3
	;; [unrolled: 1-line block ×3, first 2 shown]
	s_add_co_i32 s0, s0, s12
	s_lshl_b32 s1, s1, 10
	s_add_co_i32 s0, s0, s15
	s_mul_i32 s7, s6, s14
	s_add_co_i32 s0, s0, s17
	s_lshl_b32 s5, s13, 2
	s_lshl_b32 s0, s0, 6
	s_add_co_i32 s15, s7, s6
	s_add_co_i32 s1, s1, s0
	;; [unrolled: 1-line block ×3, first 2 shown]
	v_or_b32_e32 v4, s1, v0
	s_lshl_b32 s1, s15, 6
	s_add_co_i32 s2, s15, -2
	s_add_co_i32 s0, s0, s1
	s_delay_alu instid0(SALU_CYCLE_1)
	s_sub_co_i32 s0, s0, 64
	s_wait_kmcnt 0x0
	global_load_b32 v3, v4, s[8:9] scale_offset
	s_ashr_i32 s1, s0, 31
	v_ashrrev_i32_e32 v5, 31, v4
	s_lshl_b64 s[0:1], s[0:1], 3
	s_cmp_lt_i32 s2, s7
	s_add_nc_u64 s[0:1], s[10:11], s[0:1]
	s_load_b32 s16, s[0:1], 0x4
	s_cbranch_scc1 .LBB19_4
; %bb.2:
	s_wait_xcnt 0x0
	s_load_b32 s0, s[0:1], 0x0
	s_add_co_i32 s14, s14, 1
	s_lshl_b32 s3, s13, 8
	s_wait_xcnt 0x0
	s_mul_i32 s1, s6, s14
	s_lshl_b32 s6, s12, 6
	s_lshl_b32 s13, s1, 12
	s_add_co_i32 s6, s6, s3
	s_lshl_b32 s1, s1, 6
	s_add_co_i32 s6, s6, s13
	s_lshl_b32 s2, s4, 8
	s_wait_kmcnt 0x0
	v_dual_mov_b32 v2, s16 :: v_dual_bitop2_b32 v0, s6, v0 bitop3:0x54
	s_add_co_i32 s1, s12, s1
	s_lshl_b32 s4, s4, 6
	s_ashr_i32 s3, s2, 31
	s_add_co_i32 s1, s1, s4
	v_add_nc_u32_e32 v0, 0xffffe000, v0
	s_lshl_b64 s[2:3], s[2:3], 2
	s_add_co_i32 s4, s1, s5
	s_add_nc_u64 s[2:3], s[10:11], s[2:3]
	s_add_co_i32 s1, s15, -1
	s_addk_co_i32 s4, 0xff80
.LBB19_3:                               ; =>This Inner Loop Header: Depth=1
	global_load_b32 v7, v0, s[2:3] scale_offset
	s_ashr_i32 s5, s4, 31
	v_max_num_f32_e64 v1, s0, s0
	s_lshl_b64 s[12:13], s[4:5], 3
	s_delay_alu instid0(SALU_CYCLE_1) | instskip(SKIP_1) | instid1(VALU_DEP_1)
	s_add_nc_u64 s[12:13], s[10:11], s[12:13]
	s_load_b64 s[12:13], s[12:13], 0x0
	v_readfirstlane_b32 s5, v1
	v_add_nc_u32_e32 v0, 0xfffff000, v0
	s_wait_kmcnt 0x0
	v_max_num_f32_e64 v1, s12, s12
	s_delay_alu instid0(VALU_DEP_1) | instskip(SKIP_1) | instid1(SALU_CYCLE_3)
	v_readfirstlane_b32 s6, v1
	s_max_num_f32 s5, s5, s6
	s_sub_f32 s0, s0, s5
	s_sub_f32 s6, s12, s5
	s_delay_alu instid0(SALU_CYCLE_2) | instskip(NEXT) | instid1(SALU_CYCLE_2)
	s_mul_f32 s12, s0, 0x3fb8aa3b
	s_mul_f32 s14, s6, 0x3fb8aa3b
	s_delay_alu instid0(SALU_CYCLE_2)
	s_xor_b32 s15, s12, 0x80000000
	s_rndne_f32 s16, s12
	s_fmamk_f32 s15, s0, 0x3fb8aa3b, s15
	s_cmp_nlt_f32 s0, 0xc2ce8ed0
	s_rndne_f32 s17, s14
	s_sub_f32 s12, s12, s16
	s_fmamk_f32 s15, s0, 0x32a5705f, s15
	s_cselect_b32 vcc_lo, -1, 0
	s_cmp_ngt_f32 s0, 0x42b17218
	s_delay_alu instid0(SALU_CYCLE_1) | instskip(SKIP_2) | instid1(SALU_CYCLE_1)
	s_add_f32 s12, s12, s15
	s_cvt_i32_f32 s15, s16
	s_sub_f32 s16, s14, s17
	v_s_exp_f32 s12, s12
	v_nop
	s_delay_alu instid0(TRANS32_DEP_1) | instskip(SKIP_1) | instid1(VALU_DEP_1)
	v_ldexp_f32 v1, s12, s15
	s_cvt_i32_f32 s12, s17
	v_cndmask_b32_e32 v1, 0, v1, vcc_lo
	s_cselect_b32 vcc_lo, -1, 0
	s_cmp_ge_f32 s0, 0xc1a00000
	s_delay_alu instid0(VALU_DEP_1)
	v_cndmask_b32_e32 v1, 0x7f800000, v1, vcc_lo
	s_cselect_b32 vcc_lo, -1, 0
	s_xor_b32 s0, s14, 0x80000000
	s_cmp_nlt_f32 s6, 0xc2ce8ed0
	s_fmamk_f32 s0, s6, 0x3fb8aa3b, s0
	v_cndmask_b32_e32 v10, 0, v1, vcc_lo
	s_delay_alu instid0(SALU_CYCLE_2) | instskip(NEXT) | instid1(SALU_CYCLE_3)
	s_fmamk_f32 s0, s6, 0x32a5705f, s0
	s_add_f32 s0, s16, s0
	s_delay_alu instid0(SALU_CYCLE_3) | instskip(SKIP_1) | instid1(TRANS32_DEP_1)
	v_s_exp_f32 s0, s0
	v_nop
	v_ldexp_f32 v6, s0, s12
	s_cselect_b32 s0, -1, 0
	s_cmp_ngt_f32 s6, 0x42b17218
	s_delay_alu instid0(VALU_DEP_1) | instskip(SKIP_2) | instid1(VALU_DEP_1)
	v_cndmask_b32_e64 v6, 0, v6, s0
	s_cselect_b32 s0, -1, 0
	s_cmp_ge_f32 s6, 0xc1a00000
	v_cndmask_b32_e64 v8, 0x7f800000, v6, s0
	s_cselect_b32 s0, -1, 0
	v_mov_b32_e32 v6, s13
	s_add_co_i32 s1, s1, -1
	s_sub_co_i32 s4, s4, 64
	v_cndmask_b32_e64 v8, 0, v8, s0
	s_cmp_le_i32 s1, s7
	s_mov_b32 s0, s5
	s_wait_loadcnt 0x0
	s_delay_alu instid0(VALU_DEP_1) | instskip(NEXT) | instid1(VALU_DEP_1)
	v_pk_mul_f32 v[6:7], v[6:7], v[8:9] op_sel_hi:[1,0]
	v_pk_fma_f32 v[2:3], v[2:3], v[10:11], v[6:7] op_sel_hi:[1,0,1]
	s_cbranch_scc0 .LBB19_3
	s_branch .LBB19_5
.LBB19_4:
	s_wait_kmcnt 0x0
	v_mov_b32_e32 v2, s16
.LBB19_5:
	v_lshl_add_u64 v[0:1], v[4:5], 2, s[8:9]
	s_wait_loadcnt 0x0
	s_delay_alu instid0(VALU_DEP_2) | instskip(NEXT) | instid1(VALU_DEP_1)
	v_div_scale_f32 v4, null, v2, v2, v3
	v_rcp_f32_e32 v5, v4
	v_nop
	s_delay_alu instid0(TRANS32_DEP_1) | instskip(NEXT) | instid1(VALU_DEP_1)
	v_fma_f32 v6, -v4, v5, 1.0
	v_fmac_f32_e32 v5, v6, v5
	v_div_scale_f32 v6, vcc_lo, v3, v2, v3
	s_delay_alu instid0(VALU_DEP_1) | instskip(NEXT) | instid1(VALU_DEP_1)
	v_mul_f32_e32 v7, v6, v5
	v_fma_f32 v8, -v4, v7, v6
	s_delay_alu instid0(VALU_DEP_1) | instskip(NEXT) | instid1(VALU_DEP_1)
	v_fmac_f32_e32 v7, v8, v5
	v_fma_f32 v4, -v4, v7, v6
	s_delay_alu instid0(VALU_DEP_1) | instskip(NEXT) | instid1(VALU_DEP_1)
	v_div_fmas_f32 v4, v4, v5, v7
	v_div_fixup_f32 v2, v4, v2, v3
	global_store_b32 v[0:1], v2, off
.LBB19_6:
	s_endpgm
	.section	.rodata,"a",@progbits
	.p2align	6, 0x0
	.amdhsa_kernel _ZL33flash_attn_stream_k_fixup_uniformILi64ELi16ELi4EEvPfPK15HIP_vector_typeIfLj2EEiiiiiiS1_IjLj3EES5_S5_
		.amdhsa_group_segment_fixed_size 0
		.amdhsa_private_segment_fixed_size 0
		.amdhsa_kernarg_size 76
		.amdhsa_user_sgpr_count 2
		.amdhsa_user_sgpr_dispatch_ptr 0
		.amdhsa_user_sgpr_queue_ptr 0
		.amdhsa_user_sgpr_kernarg_segment_ptr 1
		.amdhsa_user_sgpr_dispatch_id 0
		.amdhsa_user_sgpr_kernarg_preload_length 0
		.amdhsa_user_sgpr_kernarg_preload_offset 0
		.amdhsa_user_sgpr_private_segment_size 0
		.amdhsa_wavefront_size32 1
		.amdhsa_uses_dynamic_stack 0
		.amdhsa_enable_private_segment 0
		.amdhsa_system_sgpr_workgroup_id_x 1
		.amdhsa_system_sgpr_workgroup_id_y 1
		.amdhsa_system_sgpr_workgroup_id_z 1
		.amdhsa_system_sgpr_workgroup_info 0
		.amdhsa_system_vgpr_workitem_id 0
		.amdhsa_next_free_vgpr 12
		.amdhsa_next_free_sgpr 21
		.amdhsa_named_barrier_count 0
		.amdhsa_reserve_vcc 1
		.amdhsa_float_round_mode_32 0
		.amdhsa_float_round_mode_16_64 0
		.amdhsa_float_denorm_mode_32 3
		.amdhsa_float_denorm_mode_16_64 3
		.amdhsa_fp16_overflow 0
		.amdhsa_memory_ordered 1
		.amdhsa_forward_progress 1
		.amdhsa_inst_pref_size 9
		.amdhsa_round_robin_scheduling 0
		.amdhsa_exception_fp_ieee_invalid_op 0
		.amdhsa_exception_fp_denorm_src 0
		.amdhsa_exception_fp_ieee_div_zero 0
		.amdhsa_exception_fp_ieee_overflow 0
		.amdhsa_exception_fp_ieee_underflow 0
		.amdhsa_exception_fp_ieee_inexact 0
		.amdhsa_exception_int_div_zero 0
	.end_amdhsa_kernel
	.section	.text._ZL33flash_attn_stream_k_fixup_uniformILi64ELi16ELi4EEvPfPK15HIP_vector_typeIfLj2EEiiiiiiS1_IjLj3EES5_S5_,"axG",@progbits,_ZL33flash_attn_stream_k_fixup_uniformILi64ELi16ELi4EEvPfPK15HIP_vector_typeIfLj2EEiiiiiiS1_IjLj3EES5_S5_,comdat
.Lfunc_end19:
	.size	_ZL33flash_attn_stream_k_fixup_uniformILi64ELi16ELi4EEvPfPK15HIP_vector_typeIfLj2EEiiiiiiS1_IjLj3EES5_S5_, .Lfunc_end19-_ZL33flash_attn_stream_k_fixup_uniformILi64ELi16ELi4EEvPfPK15HIP_vector_typeIfLj2EEiiiiiiS1_IjLj3EES5_S5_
                                        ; -- End function
	.set _ZL33flash_attn_stream_k_fixup_uniformILi64ELi16ELi4EEvPfPK15HIP_vector_typeIfLj2EEiiiiiiS1_IjLj3EES5_S5_.num_vgpr, 12
	.set _ZL33flash_attn_stream_k_fixup_uniformILi64ELi16ELi4EEvPfPK15HIP_vector_typeIfLj2EEiiiiiiS1_IjLj3EES5_S5_.num_agpr, 0
	.set _ZL33flash_attn_stream_k_fixup_uniformILi64ELi16ELi4EEvPfPK15HIP_vector_typeIfLj2EEiiiiiiS1_IjLj3EES5_S5_.numbered_sgpr, 21
	.set _ZL33flash_attn_stream_k_fixup_uniformILi64ELi16ELi4EEvPfPK15HIP_vector_typeIfLj2EEiiiiiiS1_IjLj3EES5_S5_.num_named_barrier, 0
	.set _ZL33flash_attn_stream_k_fixup_uniformILi64ELi16ELi4EEvPfPK15HIP_vector_typeIfLj2EEiiiiiiS1_IjLj3EES5_S5_.private_seg_size, 0
	.set _ZL33flash_attn_stream_k_fixup_uniformILi64ELi16ELi4EEvPfPK15HIP_vector_typeIfLj2EEiiiiiiS1_IjLj3EES5_S5_.uses_vcc, 1
	.set _ZL33flash_attn_stream_k_fixup_uniformILi64ELi16ELi4EEvPfPK15HIP_vector_typeIfLj2EEiiiiiiS1_IjLj3EES5_S5_.uses_flat_scratch, 0
	.set _ZL33flash_attn_stream_k_fixup_uniformILi64ELi16ELi4EEvPfPK15HIP_vector_typeIfLj2EEiiiiiiS1_IjLj3EES5_S5_.has_dyn_sized_stack, 0
	.set _ZL33flash_attn_stream_k_fixup_uniformILi64ELi16ELi4EEvPfPK15HIP_vector_typeIfLj2EEiiiiiiS1_IjLj3EES5_S5_.has_recursion, 0
	.set _ZL33flash_attn_stream_k_fixup_uniformILi64ELi16ELi4EEvPfPK15HIP_vector_typeIfLj2EEiiiiiiS1_IjLj3EES5_S5_.has_indirect_call, 0
	.section	.AMDGPU.csdata,"",@progbits
; Kernel info:
; codeLenInByte = 1092
; TotalNumSgprs: 23
; NumVgprs: 12
; ScratchSize: 0
; MemoryBound: 0
; FloatMode: 240
; IeeeMode: 1
; LDSByteSize: 0 bytes/workgroup (compile time only)
; SGPRBlocks: 0
; VGPRBlocks: 0
; NumSGPRsForWavesPerEU: 23
; NumVGPRsForWavesPerEU: 12
; NamedBarCnt: 0
; Occupancy: 16
; WaveLimiterHint : 0
; COMPUTE_PGM_RSRC2:SCRATCH_EN: 0
; COMPUTE_PGM_RSRC2:USER_SGPR: 2
; COMPUTE_PGM_RSRC2:TRAP_HANDLER: 0
; COMPUTE_PGM_RSRC2:TGID_X_EN: 1
; COMPUTE_PGM_RSRC2:TGID_Y_EN: 1
; COMPUTE_PGM_RSRC2:TGID_Z_EN: 1
; COMPUTE_PGM_RSRC2:TIDIG_COMP_CNT: 0
	.section	.text._ZL33flash_attn_stream_k_fixup_generalILi64ELi16ELi4EEvPfPK15HIP_vector_typeIfLj2EEiiiiS1_IjLj3EES5_S5_S5_,"axG",@progbits,_ZL33flash_attn_stream_k_fixup_generalILi64ELi16ELi4EEvPfPK15HIP_vector_typeIfLj2EEiiiiS1_IjLj3EES5_S5_S5_,comdat
	.globl	_ZL33flash_attn_stream_k_fixup_generalILi64ELi16ELi4EEvPfPK15HIP_vector_typeIfLj2EEiiiiS1_IjLj3EES5_S5_S5_ ; -- Begin function _ZL33flash_attn_stream_k_fixup_generalILi64ELi16ELi4EEvPfPK15HIP_vector_typeIfLj2EEiiiiS1_IjLj3EES5_S5_S5_
	.p2align	8
	.type	_ZL33flash_attn_stream_k_fixup_generalILi64ELi16ELi4EEvPfPK15HIP_vector_typeIfLj2EEiiiiS1_IjLj3EES5_S5_S5_,@function
_ZL33flash_attn_stream_k_fixup_generalILi64ELi16ELi4EEvPfPK15HIP_vector_typeIfLj2EEiiiiS1_IjLj3EES5_S5_S5_: ; @_ZL33flash_attn_stream_k_fixup_generalILi64ELi16ELi4EEvPfPK15HIP_vector_typeIfLj2EEiiiiS1_IjLj3EES5_S5_S5_
; %bb.0:
	s_clause 0x1
	s_load_b128 s[4:7], s[0:1], 0x10
	s_load_b32 s16, s[0:1], 0x50
	s_bfe_u32 s2, ttmp6, 0x4000c
	s_and_b32 s3, ttmp6, 15
	s_add_co_i32 s2, s2, 1
	s_getreg_b32 s15, hwreg(HW_REG_IB_STS2, 6, 4)
	s_mul_i32 s2, ttmp9, s2
	s_mov_b32 s17, 0
	s_add_co_i32 s3, s3, s2
	s_cmp_eq_u32 s15, 0
	s_cselect_b32 s2, ttmp9, s3
	s_delay_alu instid0(SALU_CYCLE_1) | instskip(SKIP_3) | instid1(SALU_CYCLE_1)
	s_ashr_i32 s3, s2, 31
	s_wait_kmcnt 0x0
	s_ashr_i32 s19, s7, 31
	s_mov_b32 s18, s7
	s_mul_u64 s[8:9], s[18:19], s[2:3]
	s_delay_alu instid0(SALU_CYCLE_1) | instskip(NEXT) | instid1(SALU_CYCLE_1)
	s_and_b64 s[10:11], s[8:9], 0xffffffff00000000
	s_cmp_lg_u64 s[10:11], 0
	s_cbranch_scc0 .LBB20_21
; %bb.1:
	s_add_nc_u64 s[10:11], s[16:17], 0
	s_mov_b32 s23, s17
	s_xor_b64 s[10:11], s[10:11], 0
	s_mov_b32 s27, s17
	s_cvt_f32_u32 s3, s10
	s_cvt_f32_u32 s7, s11
	s_sub_nc_u64 s[20:21], 0, s[10:11]
	s_delay_alu instid0(SALU_CYCLE_2) | instskip(NEXT) | instid1(SALU_CYCLE_3)
	s_fmamk_f32 s3, s7, 0x4f800000, s3
	v_s_rcp_f32 s3, s3
	s_delay_alu instid0(TRANS32_DEP_1) | instskip(NEXT) | instid1(SALU_CYCLE_3)
	s_mul_f32 s3, s3, 0x5f7ffffc
	s_mul_f32 s7, s3, 0x2f800000
	s_delay_alu instid0(SALU_CYCLE_3) | instskip(NEXT) | instid1(SALU_CYCLE_3)
	s_trunc_f32 s7, s7
	s_fmamk_f32 s3, s7, 0xcf800000, s3
	s_cvt_u32_f32 s13, s7
	s_delay_alu instid0(SALU_CYCLE_2) | instskip(NEXT) | instid1(SALU_CYCLE_3)
	s_cvt_u32_f32 s12, s3
	s_mul_u64 s[24:25], s[20:21], s[12:13]
	s_delay_alu instid0(SALU_CYCLE_1)
	s_mul_hi_u32 s29, s12, s25
	s_mul_i32 s28, s12, s25
	s_mul_hi_u32 s22, s12, s24
	s_mul_i32 s7, s13, s24
	s_add_nc_u64 s[22:23], s[22:23], s[28:29]
	s_mul_hi_u32 s3, s13, s24
	s_mul_hi_u32 s14, s13, s25
	s_add_co_u32 s7, s22, s7
	s_add_co_ci_u32 s26, s23, s3
	s_mul_i32 s24, s13, s25
	s_add_co_ci_u32 s25, s14, 0
	s_delay_alu instid0(SALU_CYCLE_1) | instskip(SKIP_3) | instid1(SALU_CYCLE_1)
	s_add_nc_u64 s[22:23], s[26:27], s[24:25]
	s_mov_b32 s25, s17
	s_add_co_u32 s12, s12, s22
	s_cselect_b32 s3, -1, 0
	s_cmp_lg_u32 s3, 0
	s_add_co_ci_u32 s13, s13, s23
	s_mov_b32 s23, s17
	s_mul_u64 s[20:21], s[20:21], s[12:13]
	s_delay_alu instid0(SALU_CYCLE_1)
	s_mul_hi_u32 s27, s12, s21
	s_mul_i32 s26, s12, s21
	s_mul_hi_u32 s22, s12, s20
	s_mul_i32 s7, s13, s20
	s_add_nc_u64 s[22:23], s[22:23], s[26:27]
	s_mul_hi_u32 s3, s13, s20
	s_mul_hi_u32 s14, s13, s21
	s_add_co_u32 s7, s22, s7
	s_add_co_ci_u32 s24, s23, s3
	s_mul_i32 s20, s13, s21
	s_add_co_ci_u32 s21, s14, 0
	s_mov_b32 s23, s17
	s_add_nc_u64 s[20:21], s[24:25], s[20:21]
	s_delay_alu instid0(SALU_CYCLE_1) | instskip(SKIP_1) | instid1(SALU_CYCLE_1)
	s_add_co_u32 s3, s12, s20
	s_cselect_b32 s7, -1, 0
	s_cmp_lg_u32 s7, 0
	s_add_co_ci_u32 s7, s13, s21
	s_ashr_i32 s12, s9, 31
	s_delay_alu instid0(SALU_CYCLE_1) | instskip(NEXT) | instid1(SALU_CYCLE_1)
	s_mov_b32 s13, s12
	s_add_nc_u64 s[20:21], s[8:9], s[12:13]
	s_delay_alu instid0(SALU_CYCLE_1) | instskip(NEXT) | instid1(SALU_CYCLE_1)
	s_xor_b64 s[20:21], s[20:21], s[12:13]
	s_mul_hi_u32 s27, s20, s7
	s_mul_i32 s26, s20, s7
	s_mul_hi_u32 s22, s20, s3
	s_mul_hi_u32 s14, s21, s3
	s_mul_i32 s3, s21, s3
	s_add_nc_u64 s[22:23], s[22:23], s[26:27]
	s_mul_hi_u32 s9, s21, s7
	s_add_co_u32 s3, s22, s3
	s_add_co_ci_u32 s24, s23, s14
	s_mul_i32 s26, s21, s7
	s_add_co_ci_u32 s27, s9, 0
	s_delay_alu instid0(SALU_CYCLE_1) | instskip(NEXT) | instid1(SALU_CYCLE_1)
	s_add_nc_u64 s[22:23], s[24:25], s[26:27]
	s_and_b64 s[24:25], s[22:23], 0xffffffff00000000
	s_delay_alu instid0(SALU_CYCLE_1) | instskip(NEXT) | instid1(SALU_CYCLE_1)
	s_or_b32 s24, s24, s22
	s_mul_u64 s[22:23], s[10:11], s[24:25]
	s_add_nc_u64 s[26:27], s[24:25], 1
	s_sub_co_u32 s3, s20, s22
	s_cselect_b32 s7, -1, 0
	s_sub_co_i32 s9, s21, s23
	s_cmp_lg_u32 s7, 0
	s_add_nc_u64 s[28:29], s[24:25], 2
	s_sub_co_ci_u32 s9, s9, s11
	s_sub_co_u32 s14, s3, s10
	s_cselect_b32 s20, -1, 0
	s_delay_alu instid0(SALU_CYCLE_1) | instskip(SKIP_1) | instid1(SALU_CYCLE_1)
	s_cmp_lg_u32 s20, 0
	s_sub_co_ci_u32 s9, s9, 0
	s_cmp_ge_u32 s9, s11
	s_cselect_b32 s20, -1, 0
	s_cmp_ge_u32 s14, s10
	s_cselect_b32 s14, -1, 0
	s_cmp_eq_u32 s9, s11
	s_cselect_b32 s9, s14, s20
	s_delay_alu instid0(SALU_CYCLE_1) | instskip(SKIP_4) | instid1(SALU_CYCLE_1)
	s_cmp_lg_u32 s9, 0
	s_cselect_b32 s9, s28, s26
	s_cselect_b32 s14, s29, s27
	s_cmp_lg_u32 s7, 0
	s_sub_co_ci_u32 s7, s21, s23
	s_cmp_ge_u32 s7, s11
	s_cselect_b32 s20, -1, 0
	s_cmp_ge_u32 s3, s10
	s_cselect_b32 s3, -1, 0
	s_cmp_eq_u32 s7, s11
	s_cselect_b32 s3, s3, s20
	s_delay_alu instid0(SALU_CYCLE_1) | instskip(SKIP_4) | instid1(SALU_CYCLE_1)
	s_cmp_lg_u32 s3, 0
	s_mov_b32 s3, s17
	s_cselect_b32 s11, s14, s25
	s_cselect_b32 s10, s9, s24
	s_xor_b64 s[12:13], s[12:13], 0
	s_xor_b64 s[10:11], s[10:11], s[12:13]
	s_delay_alu instid0(SALU_CYCLE_1)
	s_sub_nc_u64 s[20:21], s[10:11], s[12:13]
	s_and_not1_b32 vcc_lo, exec_lo, s3
	s_cbranch_vccnz .LBB20_3
.LBB20_2:
	v_cvt_f32_u32_e32 v1, s16
	s_sub_co_i32 s7, 0, s16
	s_mov_b32 s21, 0
	s_delay_alu instid0(VALU_DEP_1) | instskip(SKIP_1) | instid1(TRANS32_DEP_1)
	v_rcp_iflag_f32_e32 v1, v1
	v_nop
	v_mul_f32_e32 v1, 0x4f7ffffe, v1
	s_delay_alu instid0(VALU_DEP_1) | instskip(NEXT) | instid1(VALU_DEP_1)
	v_cvt_u32_f32_e32 v1, v1
	v_readfirstlane_b32 s3, v1
	s_mul_i32 s7, s7, s3
	s_delay_alu instid0(SALU_CYCLE_1) | instskip(NEXT) | instid1(SALU_CYCLE_1)
	s_mul_hi_u32 s7, s3, s7
	s_add_co_i32 s3, s3, s7
	s_delay_alu instid0(SALU_CYCLE_1) | instskip(NEXT) | instid1(SALU_CYCLE_1)
	s_mul_hi_u32 s3, s8, s3
	s_mul_i32 s7, s3, s16
	s_delay_alu instid0(SALU_CYCLE_1)
	s_sub_co_i32 s7, s8, s7
	s_add_co_i32 s8, s3, 1
	s_sub_co_i32 s9, s7, s16
	s_cmp_ge_u32 s7, s16
	s_cselect_b32 s3, s8, s3
	s_cselect_b32 s7, s9, s7
	s_add_co_i32 s8, s3, 1
	s_cmp_ge_u32 s7, s16
	s_cselect_b32 s20, s8, s3
.LBB20_3:
	s_add_co_i32 s8, s2, 1
	s_delay_alu instid0(SALU_CYCLE_1) | instskip(NEXT) | instid1(SALU_CYCLE_1)
	s_ashr_i32 s9, s8, 31
	s_mul_u64 s[8:9], s[18:19], s[8:9]
	s_delay_alu instid0(SALU_CYCLE_1) | instskip(NEXT) | instid1(SALU_CYCLE_1)
	s_and_b64 s[10:11], s[8:9], 0xffffffff00000000
	s_cmp_lg_u64 s[10:11], 0
	s_cbranch_scc0 .LBB20_22
; %bb.4:
	s_add_nc_u64 s[10:11], s[16:17], 0
	s_delay_alu instid0(SALU_CYCLE_1) | instskip(SKIP_4) | instid1(SALU_CYCLE_2)
	s_xor_b64 s[12:13], s[10:11], 0
	s_mov_b32 s11, 0
	s_cvt_f32_u32 s3, s12
	s_cvt_f32_u32 s7, s13
	s_sub_nc_u64 s[24:25], 0, s[12:13]
	s_fmamk_f32 s3, s7, 0x4f800000, s3
	s_delay_alu instid0(SALU_CYCLE_3) | instskip(NEXT) | instid1(TRANS32_DEP_1)
	v_s_rcp_f32 s3, s3
	s_mul_f32 s3, s3, 0x5f7ffffc
	s_delay_alu instid0(SALU_CYCLE_3) | instskip(NEXT) | instid1(SALU_CYCLE_3)
	s_mul_f32 s7, s3, 0x2f800000
	s_trunc_f32 s7, s7
	s_delay_alu instid0(SALU_CYCLE_3) | instskip(SKIP_1) | instid1(SALU_CYCLE_2)
	s_fmamk_f32 s3, s7, 0xcf800000, s3
	s_cvt_u32_f32 s23, s7
	s_cvt_u32_f32 s22, s3
	s_delay_alu instid0(SALU_CYCLE_3) | instskip(NEXT) | instid1(SALU_CYCLE_1)
	s_mul_u64 s[26:27], s[24:25], s[22:23]
	s_mul_hi_u32 s29, s22, s27
	s_mul_i32 s28, s22, s27
	s_mul_hi_u32 s10, s22, s26
	s_mul_i32 s7, s23, s26
	s_add_nc_u64 s[28:29], s[10:11], s[28:29]
	s_mul_hi_u32 s3, s23, s26
	s_mul_hi_u32 s14, s23, s27
	s_add_co_u32 s7, s28, s7
	s_add_co_ci_u32 s10, s29, s3
	s_mul_i32 s26, s23, s27
	s_add_co_ci_u32 s27, s14, 0
	s_delay_alu instid0(SALU_CYCLE_1) | instskip(NEXT) | instid1(SALU_CYCLE_1)
	s_add_nc_u64 s[26:27], s[10:11], s[26:27]
	s_add_co_u32 s22, s22, s26
	s_cselect_b32 s3, -1, 0
	s_delay_alu instid0(SALU_CYCLE_1) | instskip(SKIP_1) | instid1(SALU_CYCLE_1)
	s_cmp_lg_u32 s3, 0
	s_add_co_ci_u32 s23, s23, s27
	s_mul_u64 s[24:25], s[24:25], s[22:23]
	s_delay_alu instid0(SALU_CYCLE_1)
	s_mul_hi_u32 s27, s22, s25
	s_mul_i32 s26, s22, s25
	s_mul_hi_u32 s10, s22, s24
	s_mul_i32 s7, s23, s24
	s_add_nc_u64 s[26:27], s[10:11], s[26:27]
	s_mul_hi_u32 s3, s23, s24
	s_mul_hi_u32 s14, s23, s25
	s_add_co_u32 s7, s26, s7
	s_add_co_ci_u32 s10, s27, s3
	s_mul_i32 s24, s23, s25
	s_add_co_ci_u32 s25, s14, 0
	s_delay_alu instid0(SALU_CYCLE_1) | instskip(NEXT) | instid1(SALU_CYCLE_1)
	s_add_nc_u64 s[24:25], s[10:11], s[24:25]
	s_add_co_u32 s3, s22, s24
	s_cselect_b32 s7, -1, 0
	s_delay_alu instid0(SALU_CYCLE_1) | instskip(SKIP_2) | instid1(SALU_CYCLE_1)
	s_cmp_lg_u32 s7, 0
	s_add_co_ci_u32 s7, s23, s25
	s_ashr_i32 s22, s9, 31
	s_mov_b32 s23, s22
	s_delay_alu instid0(SALU_CYCLE_1) | instskip(NEXT) | instid1(SALU_CYCLE_1)
	s_add_nc_u64 s[24:25], s[8:9], s[22:23]
	s_xor_b64 s[24:25], s[24:25], s[22:23]
	s_delay_alu instid0(SALU_CYCLE_1)
	s_mul_hi_u32 s27, s24, s7
	s_mul_i32 s26, s24, s7
	s_mul_hi_u32 s10, s24, s3
	s_mul_hi_u32 s14, s25, s3
	s_mul_i32 s3, s25, s3
	s_add_nc_u64 s[26:27], s[10:11], s[26:27]
	s_mul_hi_u32 s9, s25, s7
	s_add_co_u32 s3, s26, s3
	s_add_co_ci_u32 s10, s27, s14
	s_mul_i32 s28, s25, s7
	s_add_co_ci_u32 s29, s9, 0
	s_delay_alu instid0(SALU_CYCLE_1) | instskip(NEXT) | instid1(SALU_CYCLE_1)
	s_add_nc_u64 s[26:27], s[10:11], s[28:29]
	s_and_b64 s[28:29], s[26:27], 0xffffffff00000000
	s_delay_alu instid0(SALU_CYCLE_1) | instskip(NEXT) | instid1(SALU_CYCLE_1)
	s_or_b32 s28, s28, s26
	s_mul_u64 s[26:27], s[12:13], s[28:29]
	s_add_nc_u64 s[30:31], s[28:29], 1
	s_sub_co_u32 s3, s24, s26
	s_cselect_b32 s7, -1, 0
	s_sub_co_i32 s9, s25, s27
	s_cmp_lg_u32 s7, 0
	s_add_nc_u64 s[34:35], s[28:29], 2
	s_sub_co_ci_u32 s9, s9, s13
	s_sub_co_u32 s10, s3, s12
	s_cselect_b32 s14, -1, 0
	s_delay_alu instid0(SALU_CYCLE_1) | instskip(SKIP_1) | instid1(SALU_CYCLE_1)
	s_cmp_lg_u32 s14, 0
	s_sub_co_ci_u32 s9, s9, 0
	s_cmp_ge_u32 s9, s13
	s_cselect_b32 s14, -1, 0
	s_cmp_ge_u32 s10, s12
	s_cselect_b32 s10, -1, 0
	s_cmp_eq_u32 s9, s13
	s_cselect_b32 s9, s10, s14
	s_delay_alu instid0(SALU_CYCLE_1) | instskip(SKIP_4) | instid1(SALU_CYCLE_1)
	s_cmp_lg_u32 s9, 0
	s_cselect_b32 s9, s34, s30
	s_cselect_b32 s10, s35, s31
	s_cmp_lg_u32 s7, 0
	s_sub_co_ci_u32 s7, s25, s27
	s_cmp_ge_u32 s7, s13
	s_cselect_b32 s14, -1, 0
	s_cmp_ge_u32 s3, s12
	s_cselect_b32 s3, -1, 0
	s_cmp_eq_u32 s7, s13
	s_cselect_b32 s3, s3, s14
	s_delay_alu instid0(SALU_CYCLE_1) | instskip(SKIP_3) | instid1(SALU_CYCLE_1)
	s_cmp_lg_u32 s3, 0
	s_cselect_b32 s13, s10, s29
	s_cselect_b32 s12, s9, s28
	s_xor_b64 s[22:23], s[22:23], 0
	s_xor_b64 s[12:13], s[12:13], s[22:23]
	s_delay_alu instid0(SALU_CYCLE_1)
	s_sub_nc_u64 s[24:25], s[12:13], s[22:23]
	s_load_b96 s[12:14], s[0:1], 0x44
	s_cbranch_execnz .LBB20_6
.LBB20_5:
	v_cvt_f32_u32_e32 v1, s16
	s_sub_co_i32 s7, 0, s16
	s_delay_alu instid0(VALU_DEP_1) | instskip(SKIP_1) | instid1(TRANS32_DEP_1)
	v_rcp_iflag_f32_e32 v1, v1
	v_nop
	v_mul_f32_e32 v1, 0x4f7ffffe, v1
	s_delay_alu instid0(VALU_DEP_1) | instskip(NEXT) | instid1(VALU_DEP_1)
	v_cvt_u32_f32_e32 v1, v1
	v_readfirstlane_b32 s3, v1
	s_mul_i32 s7, s7, s3
	s_delay_alu instid0(SALU_CYCLE_1) | instskip(NEXT) | instid1(SALU_CYCLE_1)
	s_mul_hi_u32 s7, s3, s7
	s_add_co_i32 s3, s3, s7
	s_delay_alu instid0(SALU_CYCLE_1) | instskip(NEXT) | instid1(SALU_CYCLE_1)
	s_mul_hi_u32 s3, s8, s3
	s_mul_i32 s7, s3, s16
	s_delay_alu instid0(SALU_CYCLE_1)
	s_sub_co_i32 s7, s8, s7
	s_add_co_i32 s8, s3, 1
	s_sub_co_i32 s9, s7, s16
	s_cmp_ge_u32 s7, s16
	s_cselect_b32 s3, s8, s3
	s_cselect_b32 s7, s9, s7
	s_add_co_i32 s8, s3, 1
	s_cmp_ge_u32 s7, s16
	s_cselect_b32 s24, s8, s3
.LBB20_6:
	s_delay_alu instid0(SALU_CYCLE_1)
	s_cmp_eq_u32 s20, s24
	s_mov_b64 s[8:9], 0xffffffff
	s_cselect_b32 s3, -1, 0
	s_and_b64 s[8:9], s[20:21], s[8:9]
	s_mov_b32 s23, 0
	s_wait_kmcnt 0x0
	s_mov_b32 s22, s12
	s_mov_b32 s25, s23
	s_mul_u64 s[10:11], s[8:9], s[22:23]
	s_delay_alu instid0(SALU_CYCLE_1) | instskip(SKIP_2) | instid1(SALU_CYCLE_1)
	s_add_co_i32 s7, s11, s20
	s_mul_u64 s[10:11], s[24:25], s[22:23]
	s_lshr_b32 s12, s7, s13
	s_mul_i32 s7, s12, s14
	s_delay_alu instid0(SALU_CYCLE_1) | instskip(SKIP_2) | instid1(SALU_CYCLE_1)
	s_cmp_eq_u32 s7, s20
	s_cselect_b32 s7, -1, 0
	s_add_co_i32 s10, s11, s24
	s_lshr_b32 s10, s10, s13
	s_delay_alu instid0(SALU_CYCLE_1)
	s_cmp_eq_u32 s12, s10
	s_mul_i32 s10, s10, s14
	s_cselect_b32 s11, -1, 0
	s_cmp_lg_u32 s10, s24
	s_cselect_b32 s10, -1, 0
	s_or_b32 s3, s3, s7
	s_and_b32 s10, s11, s10
	s_delay_alu instid0(SALU_CYCLE_1) | instskip(NEXT) | instid1(SALU_CYCLE_1)
	s_or_b32 s3, s3, s10
	s_and_b32 vcc_lo, exec_lo, s3
	s_cbranch_vccnz .LBB20_24
; %bb.7:
	s_load_b256 s[24:31], s[0:1], 0x20
	s_bfe_u32 s7, ttmp6, 0x40014
	s_bfe_u32 s33, ttmp6, 0x40010
	s_lshr_b32 s3, ttmp7, 16
	s_add_co_i32 s7, s7, 1
	s_and_b32 s21, ttmp7, 0xffff
	s_add_co_i32 s33, s33, 1
	s_bfe_u32 s10, ttmp6, 0x40008
	s_mul_i32 s7, s3, s7
	s_bfe_u32 s34, ttmp6, 0x40004
	s_mul_i32 s33, s21, s33
	s_mov_b32 s11, s23
	s_add_co_i32 s35, s10, s7
	s_add_co_i32 s34, s34, s33
	s_cmp_eq_u32 s15, 0
	s_cselect_b32 s7, s21, s34
	s_cselect_b32 s3, s3, s35
	s_wait_kmcnt 0x0
	s_mov_b32 s10, s24
	s_delay_alu instid0(SALU_CYCLE_1) | instskip(NEXT) | instid1(SALU_CYCLE_1)
	s_mul_u64 s[8:9], s[8:9], s[10:11]
	s_add_co_i32 s8, s9, s20
	s_load_b32 s9, s[0:1], 0x40
	s_lshr_b32 s8, s8, s25
	s_delay_alu instid0(SALU_CYCLE_1) | instskip(NEXT) | instid1(SALU_CYCLE_1)
	s_mul_i32 s10, s8, s26
	s_sub_co_i32 s10, s20, s10
	s_delay_alu instid0(SALU_CYCLE_1) | instskip(NEXT) | instid1(SALU_CYCLE_1)
	s_mul_hi_u32 s11, s10, s27
	s_add_co_i32 s11, s10, s11
	s_delay_alu instid0(SALU_CYCLE_1) | instskip(NEXT) | instid1(SALU_CYCLE_1)
	s_lshr_b32 s15, s11, s28
	s_mul_i32 s11, s15, s29
	s_delay_alu instid0(SALU_CYCLE_1) | instskip(NEXT) | instid1(SALU_CYCLE_1)
	s_sub_co_i32 s10, s10, s11
	s_mul_hi_u32 s11, s10, s30
	s_delay_alu instid0(SALU_CYCLE_1) | instskip(NEXT) | instid1(SALU_CYCLE_1)
	s_add_co_i32 s11, s10, s11
	s_lshr_b32 s26, s11, s31
	s_mov_b32 s11, s23
	s_wait_kmcnt 0x0
	s_mul_i32 s9, s26, s9
	s_delay_alu instid0(SALU_CYCLE_1) | instskip(NEXT) | instid1(SALU_CYCLE_1)
	s_sub_co_i32 s10, s10, s9
	s_mul_u64 s[24:25], s[10:11], s[22:23]
	s_lshl_b32 s24, s26, 2
	s_add_co_i32 s9, s10, s25
	s_delay_alu instid0(SALU_CYCLE_1) | instskip(NEXT) | instid1(SALU_CYCLE_1)
	s_lshr_b32 s21, s9, s13
	s_lshl_b32 s9, s21, 4
	s_delay_alu instid0(SALU_CYCLE_1) | instskip(NEXT) | instid1(SALU_CYCLE_1)
	s_add_co_i32 s9, s9, s7
	s_cmp_lt_i32 s9, s4
	s_cselect_b32 s9, -1, 0
	s_add_co_i32 s10, s24, s3
	s_delay_alu instid0(SALU_CYCLE_1) | instskip(SKIP_1) | instid1(SALU_CYCLE_1)
	s_cmp_lt_i32 s10, s6
	s_cselect_b32 s10, -1, 0
	s_and_b32 s9, s9, s10
	s_delay_alu instid0(SALU_CYCLE_1)
	s_and_not1_b32 vcc_lo, exec_lo, s9
	s_cbranch_vccnz .LBB20_24
; %bb.8:
	s_mul_i32 s4, s8, s4
	s_load_b128 s[8:11], s[0:1], 0x0
	s_wait_xcnt 0x0
	s_add_co_i32 s0, s4, s7
	s_mul_i32 s15, s15, s6
	s_mul_i32 s0, s0, s5
	s_mul_i32 s1, s5, s21
	s_add_co_i32 s0, s0, s3
	s_lshl_b32 s1, s1, 10
	s_add_co_i32 s0, s0, s15
	s_lshl_b32 s15, s7, 2
	s_add_co_i32 s0, s0, s24
	s_add_co_i32 s15, s15, s3
	s_lshl_b32 s0, s0, 6
	v_lshl_or_b32 v6, s15, 6, v0
	s_add_co_i32 s1, s1, s0
	v_cvt_f32_u32_e32 v4, s16
	v_or_b32_e32 v2, s1, v0
	s_add_nc_u64 s[0:1], s[16:17], 0
	s_lshl_b32 s24, s16, 8
	s_xor_b64 s[6:7], s[0:1], 0
	s_lshl_b32 s0, s2, 6
	s_cvt_f32_u32 s3, s6
	s_add_co_i32 s0, s15, s0
	s_cvt_f32_u32 s4, s7
	s_ashr_i32 s1, s0, 31
	v_rcp_iflag_f32_e32 v4, v4
	s_lshl_b64 s[0:1], s[0:1], 3
	s_fmamk_f32 s3, s4, 0x4f800000, s3
	s_wait_kmcnt 0x0
	s_add_nc_u64 s[0:1], s[10:11], s[0:1]
	s_mov_b32 s25, 0
	s_load_b64 s[28:29], s[0:1], 0x0
	v_s_rcp_f32 s3, s3
	s_wait_xcnt 0x0
	s_lshl_b64 s[0:1], s[24:25], 2
	s_add_co_i32 s36, s2, -1
	s_add_nc_u64 s[26:27], s[10:11], s[0:1]
	s_sub_nc_u64 s[34:35], 0, s[6:7]
	v_mul_f32_e32 v4, 0x4f7ffffe, v4
	s_delay_alu instid0(TRANS32_DEP_1) | instskip(NEXT) | instid1(VALU_DEP_1)
	s_mul_f32 s3, s3, 0x5f7ffffc
	v_cvt_u32_f32_e32 v7, v4
	s_delay_alu instid0(SALU_CYCLE_2) | instskip(NEXT) | instid1(SALU_CYCLE_3)
	s_mul_f32 s4, s3, 0x2f800000
	s_trunc_f32 s4, s4
	s_wait_kmcnt 0x0
	v_mov_b32_e32 v0, s29
	global_load_b32 v1, v2, s[8:9] scale_offset
	v_ashrrev_i32_e32 v3, 31, v2
	s_fmamk_f32 s0, s4, 0xcf800000, s3
	s_cvt_u32_f32 s31, s4
	s_wait_xcnt 0x0
	s_delay_alu instid0(VALU_DEP_1)
	v_lshl_add_u64 v[2:3], v[2:3], 2, s[8:9]
	s_cvt_u32_f32 s30, s0
	s_mov_b64 s[8:9], 0xffffffff
.LBB20_9:                               ; =>This Inner Loop Header: Depth=1
	s_ashr_i32 s37, s36, 31
                                        ; implicit-def: $sgpr40_sgpr41
	s_delay_alu instid0(SALU_CYCLE_1) | instskip(NEXT) | instid1(SALU_CYCLE_1)
	s_mul_u64 s[0:1], s[36:37], s[18:19]
	s_and_b64 s[2:3], s[0:1], 0xffffffff00000000
	s_delay_alu instid0(SALU_CYCLE_1)
	s_cmp_lg_u64 s[2:3], 0
	s_mov_b32 s2, -1
	s_cbranch_scc0 .LBB20_11
; %bb.10:                               ;   in Loop: Header=BB20_9 Depth=1
	s_mul_u64 s[2:3], s[34:35], s[30:31]
	s_delay_alu instid0(SALU_CYCLE_1)
	s_mul_hi_u32 s5, s30, s3
	s_mul_i32 s4, s30, s3
	s_mul_hi_u32 s24, s30, s2
	s_mul_hi_u32 s17, s31, s2
	s_add_nc_u64 s[4:5], s[24:25], s[4:5]
	s_mul_i32 s2, s31, s2
	s_mul_hi_u32 s21, s31, s3
	s_add_co_u32 s2, s4, s2
	s_add_co_ci_u32 s24, s5, s17
	s_add_co_ci_u32 s5, s21, 0
	s_mul_i32 s4, s31, s3
	s_delay_alu instid0(SALU_CYCLE_1) | instskip(NEXT) | instid1(SALU_CYCLE_1)
	s_add_nc_u64 s[2:3], s[24:25], s[4:5]
	s_add_co_u32 s2, s30, s2
	s_cselect_b32 s4, -1, 0
	s_delay_alu instid0(SALU_CYCLE_1) | instskip(SKIP_1) | instid1(SALU_CYCLE_1)
	s_cmp_lg_u32 s4, 0
	s_add_co_ci_u32 s3, s31, s3
	s_mul_u64 s[4:5], s[34:35], s[2:3]
	s_delay_alu instid0(SALU_CYCLE_1)
	s_mul_hi_u32 s39, s2, s5
	s_mul_i32 s38, s2, s5
	s_mul_hi_u32 s24, s2, s4
	s_mul_hi_u32 s17, s3, s4
	s_mul_i32 s4, s3, s4
	s_add_nc_u64 s[38:39], s[24:25], s[38:39]
	s_mul_hi_u32 s21, s3, s5
	s_add_co_u32 s4, s38, s4
	s_add_co_ci_u32 s24, s39, s17
	s_mul_i32 s4, s3, s5
	s_add_co_ci_u32 s5, s21, 0
	s_delay_alu instid0(SALU_CYCLE_1) | instskip(NEXT) | instid1(SALU_CYCLE_1)
	s_add_nc_u64 s[4:5], s[24:25], s[4:5]
	s_add_co_u32 s17, s2, s4
	s_cselect_b32 s2, -1, 0
	s_delay_alu instid0(SALU_CYCLE_1) | instskip(SKIP_2) | instid1(SALU_CYCLE_1)
	s_cmp_lg_u32 s2, 0
	s_add_co_ci_u32 s21, s3, s5
	s_ashr_i32 s2, s1, 31
	s_mov_b32 s3, s2
	s_delay_alu instid0(SALU_CYCLE_1) | instskip(NEXT) | instid1(SALU_CYCLE_1)
	s_add_nc_u64 s[4:5], s[0:1], s[2:3]
	s_xor_b64 s[4:5], s[4:5], s[2:3]
	s_delay_alu instid0(SALU_CYCLE_1)
	s_mul_hi_u32 s39, s4, s21
	s_mul_i32 s38, s4, s21
	s_mul_hi_u32 s24, s4, s17
	s_mul_hi_u32 s29, s5, s17
	s_mul_i32 s17, s5, s17
	s_add_nc_u64 s[38:39], s[24:25], s[38:39]
	s_mul_hi_u32 s1, s5, s21
	s_add_co_u32 s17, s38, s17
	s_add_co_ci_u32 s24, s39, s29
	s_mul_i32 s40, s5, s21
	s_add_co_ci_u32 s41, s1, 0
	s_delay_alu instid0(SALU_CYCLE_1) | instskip(NEXT) | instid1(SALU_CYCLE_1)
	s_add_nc_u64 s[38:39], s[24:25], s[40:41]
	s_and_b64 s[40:41], s[38:39], 0xffffffff00000000
	s_delay_alu instid0(SALU_CYCLE_1) | instskip(NEXT) | instid1(SALU_CYCLE_1)
	s_or_b32 s40, s40, s38
	s_mul_u64 s[38:39], s[6:7], s[40:41]
	s_add_nc_u64 s[42:43], s[40:41], 1
	s_sub_co_u32 s1, s4, s38
	s_cselect_b32 s4, -1, 0
	s_sub_co_i32 s17, s5, s39
	s_cmp_lg_u32 s4, 0
	s_add_nc_u64 s[44:45], s[40:41], 2
	s_sub_co_ci_u32 s17, s17, s7
	s_sub_co_u32 s21, s1, s6
	s_cselect_b32 s24, -1, 0
	s_delay_alu instid0(SALU_CYCLE_1) | instskip(SKIP_1) | instid1(SALU_CYCLE_1)
	s_cmp_lg_u32 s24, 0
	s_sub_co_ci_u32 s17, s17, 0
	s_cmp_ge_u32 s17, s7
	s_cselect_b32 s24, -1, 0
	s_cmp_ge_u32 s21, s6
	s_cselect_b32 s21, -1, 0
	s_cmp_eq_u32 s17, s7
	s_cselect_b32 s17, s21, s24
	s_delay_alu instid0(SALU_CYCLE_1) | instskip(SKIP_4) | instid1(SALU_CYCLE_1)
	s_cmp_lg_u32 s17, 0
	s_cselect_b32 s17, s44, s42
	s_cselect_b32 s21, s45, s43
	s_cmp_lg_u32 s4, 0
	s_sub_co_ci_u32 s4, s5, s39
	s_cmp_ge_u32 s4, s7
	s_cselect_b32 s5, -1, 0
	s_cmp_ge_u32 s1, s6
	s_cselect_b32 s1, -1, 0
	s_cmp_eq_u32 s4, s7
	s_cselect_b32 s1, s1, s5
	s_delay_alu instid0(SALU_CYCLE_1) | instskip(SKIP_3) | instid1(SALU_CYCLE_1)
	s_cmp_lg_u32 s1, 0
	s_cselect_b32 s5, s21, s41
	s_cselect_b32 s4, s17, s40
	s_xor_b64 s[2:3], s[2:3], 0
	s_xor_b64 s[4:5], s[4:5], s[2:3]
	s_delay_alu instid0(SALU_CYCLE_1)
	s_sub_nc_u64 s[40:41], s[4:5], s[2:3]
	s_mov_b32 s2, 0
.LBB20_11:                              ;   in Loop: Header=BB20_9 Depth=1
	s_delay_alu instid0(SALU_CYCLE_1)
	s_and_not1_b32 vcc_lo, exec_lo, s2
	s_cbranch_vccnz .LBB20_13
; %bb.12:                               ;   in Loop: Header=BB20_9 Depth=1
	v_readfirstlane_b32 s1, v7
	s_sub_co_i32 s2, 0, s16
	s_delay_alu instid0(SALU_CYCLE_1) | instskip(NEXT) | instid1(SALU_CYCLE_1)
	s_mul_i32 s2, s2, s1
	s_mul_hi_u32 s2, s1, s2
	s_delay_alu instid0(SALU_CYCLE_1) | instskip(NEXT) | instid1(SALU_CYCLE_1)
	s_add_co_i32 s1, s1, s2
	s_mul_hi_u32 s1, s0, s1
	s_delay_alu instid0(SALU_CYCLE_1) | instskip(NEXT) | instid1(SALU_CYCLE_1)
	s_mul_i32 s2, s1, s16
	s_sub_co_i32 s0, s0, s2
	s_add_co_i32 s2, s1, 1
	s_sub_co_i32 s3, s0, s16
	s_cmp_ge_u32 s0, s16
	s_cselect_b32 s1, s2, s1
	s_cselect_b32 s0, s3, s0
	s_add_co_i32 s2, s1, 1
	s_cmp_ge_u32 s0, s16
	s_cselect_b32 s24, s2, s1
	s_delay_alu instid0(SALU_CYCLE_1)
	s_mov_b64 s[40:41], s[24:25]
.LBB20_13:                              ;   in Loop: Header=BB20_9 Depth=1
	s_delay_alu instid0(SALU_CYCLE_1)
	s_cmp_lg_u32 s20, s40
	s_mov_b32 s0, -1
                                        ; implicit-def: $vgpr4_vgpr5
                                        ; implicit-def: $sgpr24
                                        ; implicit-def: $sgpr17
                                        ; implicit-def: $sgpr21
                                        ; implicit-def: $sgpr29
	s_cbranch_scc0 .LBB20_18
; %bb.14:                               ;   in Loop: Header=BB20_9 Depth=1
	s_add_co_i32 s0, s36, s16
	v_max_num_f32_e64 v4, s28, s28
	s_lshl_b32 s0, s0, 6
	s_mov_b32 s29, s20
	s_add_co_i32 s0, s0, s15
	s_load_b64 s[38:39], s[10:11], s0 offset:0x0 scale_offset
	s_wait_xcnt 0x0
	v_readfirstlane_b32 s0, v4
	s_wait_kmcnt 0x0
	v_max_num_f32_e64 v5, s38, s38
	s_delay_alu instid0(VALU_DEP_1) | instskip(SKIP_1) | instid1(SALU_CYCLE_3)
	v_readfirstlane_b32 s1, v5
	s_max_num_f32 s17, s0, s1
	s_sub_f32 s33, s28, s17
	s_sub_f32 s37, s38, s17
	s_delay_alu instid0(SALU_CYCLE_2)
	s_cmp_nlt_f32 s33, 0xc2ce8ed0
	s_cselect_b32 s1, -1, 0
	s_cmp_ngt_f32 s33, 0x42b17218
	s_cselect_b32 s2, -1, 0
	s_cmp_ge_f32 s33, 0xc1a00000
	s_cselect_b32 s0, -1, 0
	s_cmp_nlt_f32 s37, 0xc2ce8ed0
	s_cselect_b32 s3, -1, 0
	s_cmp_ngt_f32 s37, 0x42b17218
	s_cselect_b32 s4, -1, 0
	s_cmp_ge_f32 s37, 0xc1a00000
	s_cselect_b32 s5, -1, 0
	s_and_b64 s[42:43], s[40:41], s[8:9]
	s_delay_alu instid0(SALU_CYCLE_1) | instskip(NEXT) | instid1(SALU_CYCLE_1)
	s_mul_u64 s[42:43], s[42:43], s[22:23]
	s_add_co_i32 s21, s43, s40
	s_delay_alu instid0(SALU_CYCLE_1) | instskip(NEXT) | instid1(SALU_CYCLE_1)
	s_lshr_b32 s21, s21, s13
	s_mul_i32 s24, s21, s14
	s_delay_alu instid0(SALU_CYCLE_1) | instskip(SKIP_3) | instid1(SALU_CYCLE_1)
	s_cmp_eq_u32 s24, s40
	s_cselect_b32 s24, -1, 0
	s_cmp_lt_u32 s21, s12
	s_cselect_b32 s21, -1, 0
	s_or_b32 s21, s21, s24
	s_mov_b32 s24, -1
	s_and_b32 vcc_lo, exec_lo, s21
	s_mov_b32 s21, s36
	s_cbranch_vccnz .LBB20_16
; %bb.15:                               ;   in Loop: Header=BB20_9 Depth=1
	s_add_co_i32 s21, s36, -1
	s_mov_b32 s24, 0
	s_mov_b32 s29, s40
.LBB20_16:                              ;   in Loop: Header=BB20_9 Depth=1
	v_lshl_add_u32 v4, s36, 12, v6
	s_mul_f32 s40, s33, 0x3fb8aa3b
	s_mul_f32 s38, s37, 0x3fb8aa3b
	s_delay_alu instid0(SALU_CYCLE_2)
	s_xor_b32 s42, s40, 0x80000000
	global_load_b32 v5, v4, s[26:27] scale_offset
	s_fmamk_f32 s42, s33, 0x3fb8aa3b, s42
	s_rndne_f32 s44, s40
	s_xor_b32 s41, s38, 0x80000000
	s_rndne_f32 s43, s38
	s_fmamk_f32 s33, s33, 0x32a5705f, s42
	s_sub_f32 s40, s40, s44
	s_fmamk_f32 s41, s37, 0x3fb8aa3b, s41
	s_sub_f32 s38, s38, s43
	s_delay_alu instid0(SALU_CYCLE_1) | instskip(NEXT) | instid1(SALU_CYCLE_1)
	s_add_f32 s33, s40, s33
	s_fmamk_f32 s37, s37, 0x32a5705f, s41
	s_cvt_i32_f32 s40, s44
	s_delay_alu instid0(SALU_CYCLE_1) | instskip(NEXT) | instid1(SALU_CYCLE_1)
	v_s_exp_f32 s33, s33
	s_add_f32 s37, s38, s37
	s_cvt_i32_f32 s38, s43
	s_delay_alu instid0(SALU_CYCLE_2) | instskip(NEXT) | instid1(TRANS32_DEP_2)
	v_s_exp_f32 s37, s37
	v_ldexp_f32 v8, s33, s40
	s_wait_xcnt 0x0
	s_delay_alu instid0(TRANS32_DEP_1) | instskip(NEXT) | instid1(VALU_DEP_2)
	v_ldexp_f32 v4, s37, s38
	v_cndmask_b32_e64 v8, 0, v8, s1
	s_delay_alu instid0(VALU_DEP_1) | instskip(NEXT) | instid1(VALU_DEP_1)
	v_cndmask_b32_e64 v9, 0x7f800000, v8, s2
	v_dual_cndmask_b32 v4, 0, v4, s3 :: v_dual_cndmask_b32 v10, 0, v9, s0
	s_delay_alu instid0(VALU_DEP_1) | instskip(NEXT) | instid1(VALU_DEP_1)
	v_cndmask_b32_e64 v4, 0x7f800000, v4, s4
	v_dual_cndmask_b32 v8, 0, v4, s5 :: v_dual_mov_b32 v4, s39
	s_wait_loadcnt 0x0
	s_delay_alu instid0(VALU_DEP_1) | instskip(NEXT) | instid1(VALU_DEP_1)
	v_pk_mul_f32 v[4:5], v[4:5], v[8:9] op_sel_hi:[1,0]
	v_pk_fma_f32 v[4:5], v[0:1], v[10:11], v[4:5] op_sel_hi:[1,0,1]
	s_cbranch_execz .LBB20_19
.LBB20_17:                              ;   in Loop: Header=BB20_9 Depth=1
	s_and_not1_b32 vcc_lo, exec_lo, s24
	s_cbranch_vccnz .LBB20_20
	s_branch .LBB20_23
.LBB20_18:                              ;   in Loop: Header=BB20_9 Depth=1
	s_and_not1_b32 vcc_lo, exec_lo, s0
	s_cbranch_vccnz .LBB20_17
.LBB20_19:                              ;   in Loop: Header=BB20_9 Depth=1
	s_wait_loadcnt 0x0
	v_mov_b64_e32 v[4:5], v[0:1]
	s_add_co_i32 s21, s36, -1
	s_mov_b32 s29, s20
	s_mov_b32 s17, s28
	s_cbranch_execz .LBB20_23
.LBB20_20:                              ;   in Loop: Header=BB20_9 Depth=1
	s_wait_loadcnt 0x0
	s_delay_alu instid0(VALU_DEP_1)
	v_mov_b64_e32 v[0:1], v[4:5]
	s_mov_b32 s20, s29
	s_mov_b32 s36, s21
	;; [unrolled: 1-line block ×3, first 2 shown]
	s_branch .LBB20_9
.LBB20_21:
                                        ; implicit-def: $sgpr20_sgpr21
	s_branch .LBB20_2
.LBB20_22:
                                        ; implicit-def: $sgpr24_sgpr25
	s_load_b96 s[12:14], s[0:1], 0x44
	s_branch .LBB20_5
.LBB20_23:
	s_delay_alu instid0(VALU_DEP_1) | instskip(SKIP_1) | instid1(VALU_DEP_1)
	v_div_scale_f32 v0, null, v4, v4, v5
	s_wait_loadcnt 0x0
	v_rcp_f32_e32 v1, v0
	v_nop
	s_delay_alu instid0(TRANS32_DEP_1) | instskip(NEXT) | instid1(VALU_DEP_1)
	v_fma_f32 v6, -v0, v1, 1.0
	v_fmac_f32_e32 v1, v6, v1
	v_div_scale_f32 v6, vcc_lo, v5, v4, v5
	s_delay_alu instid0(VALU_DEP_1) | instskip(NEXT) | instid1(VALU_DEP_1)
	v_mul_f32_e32 v7, v6, v1
	v_fma_f32 v8, -v0, v7, v6
	s_delay_alu instid0(VALU_DEP_1) | instskip(NEXT) | instid1(VALU_DEP_1)
	v_fmac_f32_e32 v7, v8, v1
	v_fma_f32 v0, -v0, v7, v6
	s_delay_alu instid0(VALU_DEP_1) | instskip(NEXT) | instid1(VALU_DEP_1)
	v_div_fmas_f32 v0, v0, v1, v7
	v_div_fixup_f32 v0, v0, v4, v5
	global_store_b32 v[2:3], v0, off
.LBB20_24:
	s_endpgm
	.section	.rodata,"a",@progbits
	.p2align	6, 0x0
	.amdhsa_kernel _ZL33flash_attn_stream_k_fixup_generalILi64ELi16ELi4EEvPfPK15HIP_vector_typeIfLj2EEiiiiS1_IjLj3EES5_S5_S5_
		.amdhsa_group_segment_fixed_size 0
		.amdhsa_private_segment_fixed_size 0
		.amdhsa_kernarg_size 336
		.amdhsa_user_sgpr_count 2
		.amdhsa_user_sgpr_dispatch_ptr 0
		.amdhsa_user_sgpr_queue_ptr 0
		.amdhsa_user_sgpr_kernarg_segment_ptr 1
		.amdhsa_user_sgpr_dispatch_id 0
		.amdhsa_user_sgpr_kernarg_preload_length 0
		.amdhsa_user_sgpr_kernarg_preload_offset 0
		.amdhsa_user_sgpr_private_segment_size 0
		.amdhsa_wavefront_size32 1
		.amdhsa_uses_dynamic_stack 0
		.amdhsa_enable_private_segment 0
		.amdhsa_system_sgpr_workgroup_id_x 1
		.amdhsa_system_sgpr_workgroup_id_y 1
		.amdhsa_system_sgpr_workgroup_id_z 1
		.amdhsa_system_sgpr_workgroup_info 0
		.amdhsa_system_vgpr_workitem_id 0
		.amdhsa_next_free_vgpr 12
		.amdhsa_next_free_sgpr 46
		.amdhsa_named_barrier_count 0
		.amdhsa_reserve_vcc 1
		.amdhsa_float_round_mode_32 0
		.amdhsa_float_round_mode_16_64 0
		.amdhsa_float_denorm_mode_32 3
		.amdhsa_float_denorm_mode_16_64 3
		.amdhsa_fp16_overflow 0
		.amdhsa_memory_ordered 1
		.amdhsa_forward_progress 1
		.amdhsa_inst_pref_size 27
		.amdhsa_round_robin_scheduling 0
		.amdhsa_exception_fp_ieee_invalid_op 0
		.amdhsa_exception_fp_denorm_src 0
		.amdhsa_exception_fp_ieee_div_zero 0
		.amdhsa_exception_fp_ieee_overflow 0
		.amdhsa_exception_fp_ieee_underflow 0
		.amdhsa_exception_fp_ieee_inexact 0
		.amdhsa_exception_int_div_zero 0
	.end_amdhsa_kernel
	.section	.text._ZL33flash_attn_stream_k_fixup_generalILi64ELi16ELi4EEvPfPK15HIP_vector_typeIfLj2EEiiiiS1_IjLj3EES5_S5_S5_,"axG",@progbits,_ZL33flash_attn_stream_k_fixup_generalILi64ELi16ELi4EEvPfPK15HIP_vector_typeIfLj2EEiiiiS1_IjLj3EES5_S5_S5_,comdat
.Lfunc_end20:
	.size	_ZL33flash_attn_stream_k_fixup_generalILi64ELi16ELi4EEvPfPK15HIP_vector_typeIfLj2EEiiiiS1_IjLj3EES5_S5_S5_, .Lfunc_end20-_ZL33flash_attn_stream_k_fixup_generalILi64ELi16ELi4EEvPfPK15HIP_vector_typeIfLj2EEiiiiS1_IjLj3EES5_S5_S5_
                                        ; -- End function
	.set _ZL33flash_attn_stream_k_fixup_generalILi64ELi16ELi4EEvPfPK15HIP_vector_typeIfLj2EEiiiiS1_IjLj3EES5_S5_S5_.num_vgpr, 12
	.set _ZL33flash_attn_stream_k_fixup_generalILi64ELi16ELi4EEvPfPK15HIP_vector_typeIfLj2EEiiiiS1_IjLj3EES5_S5_S5_.num_agpr, 0
	.set _ZL33flash_attn_stream_k_fixup_generalILi64ELi16ELi4EEvPfPK15HIP_vector_typeIfLj2EEiiiiS1_IjLj3EES5_S5_S5_.numbered_sgpr, 46
	.set _ZL33flash_attn_stream_k_fixup_generalILi64ELi16ELi4EEvPfPK15HIP_vector_typeIfLj2EEiiiiS1_IjLj3EES5_S5_S5_.num_named_barrier, 0
	.set _ZL33flash_attn_stream_k_fixup_generalILi64ELi16ELi4EEvPfPK15HIP_vector_typeIfLj2EEiiiiS1_IjLj3EES5_S5_S5_.private_seg_size, 0
	.set _ZL33flash_attn_stream_k_fixup_generalILi64ELi16ELi4EEvPfPK15HIP_vector_typeIfLj2EEiiiiS1_IjLj3EES5_S5_S5_.uses_vcc, 1
	.set _ZL33flash_attn_stream_k_fixup_generalILi64ELi16ELi4EEvPfPK15HIP_vector_typeIfLj2EEiiiiS1_IjLj3EES5_S5_S5_.uses_flat_scratch, 0
	.set _ZL33flash_attn_stream_k_fixup_generalILi64ELi16ELi4EEvPfPK15HIP_vector_typeIfLj2EEiiiiS1_IjLj3EES5_S5_S5_.has_dyn_sized_stack, 0
	.set _ZL33flash_attn_stream_k_fixup_generalILi64ELi16ELi4EEvPfPK15HIP_vector_typeIfLj2EEiiiiS1_IjLj3EES5_S5_S5_.has_recursion, 0
	.set _ZL33flash_attn_stream_k_fixup_generalILi64ELi16ELi4EEvPfPK15HIP_vector_typeIfLj2EEiiiiS1_IjLj3EES5_S5_S5_.has_indirect_call, 0
	.section	.AMDGPU.csdata,"",@progbits
; Kernel info:
; codeLenInByte = 3360
; TotalNumSgprs: 48
; NumVgprs: 12
; ScratchSize: 0
; MemoryBound: 0
; FloatMode: 240
; IeeeMode: 1
; LDSByteSize: 0 bytes/workgroup (compile time only)
; SGPRBlocks: 0
; VGPRBlocks: 0
; NumSGPRsForWavesPerEU: 48
; NumVGPRsForWavesPerEU: 12
; NamedBarCnt: 0
; Occupancy: 16
; WaveLimiterHint : 0
; COMPUTE_PGM_RSRC2:SCRATCH_EN: 0
; COMPUTE_PGM_RSRC2:USER_SGPR: 2
; COMPUTE_PGM_RSRC2:TRAP_HANDLER: 0
; COMPUTE_PGM_RSRC2:TGID_X_EN: 1
; COMPUTE_PGM_RSRC2:TGID_Y_EN: 1
; COMPUTE_PGM_RSRC2:TGID_Z_EN: 1
; COMPUTE_PGM_RSRC2:TIDIG_COMP_CNT: 0
	.section	.text._ZL15flash_attn_tileILi64ELi64ELi8ELi4ELb0EEvPKcS1_S1_S1_S1_PKiPfP15HIP_vector_typeIfLj2EEffffjfiS5_IjLj3EEiiiiiiiiiiiliiliiiiil,"axG",@progbits,_ZL15flash_attn_tileILi64ELi64ELi8ELi4ELb0EEvPKcS1_S1_S1_S1_PKiPfP15HIP_vector_typeIfLj2EEffffjfiS5_IjLj3EEiiiiiiiiiiiliiliiiiil,comdat
	.globl	_ZL15flash_attn_tileILi64ELi64ELi8ELi4ELb0EEvPKcS1_S1_S1_S1_PKiPfP15HIP_vector_typeIfLj2EEffffjfiS5_IjLj3EEiiiiiiiiiiiliiliiiiil ; -- Begin function _ZL15flash_attn_tileILi64ELi64ELi8ELi4ELb0EEvPKcS1_S1_S1_S1_PKiPfP15HIP_vector_typeIfLj2EEffffjfiS5_IjLj3EEiiiiiiiiiiiliiliiiiil
	.p2align	8
	.type	_ZL15flash_attn_tileILi64ELi64ELi8ELi4ELb0EEvPKcS1_S1_S1_S1_PKiPfP15HIP_vector_typeIfLj2EEffffjfiS5_IjLj3EEiiiiiiiiiiiliiliiiiil,@function
_ZL15flash_attn_tileILi64ELi64ELi8ELi4ELb0EEvPKcS1_S1_S1_S1_PKiPfP15HIP_vector_typeIfLj2EEffffjfiS5_IjLj3EEiiiiiiiiiiiliiliiiiil: ; @_ZL15flash_attn_tileILi64ELi64ELi8ELi4ELb0EEvPKcS1_S1_S1_S1_PKiPfP15HIP_vector_typeIfLj2EEffffjfiS5_IjLj3EEiiiiiiiiiiiliiliiiiil
; %bb.0:
	s_clause 0x1
	s_load_b128 s[20:23], s[0:1], 0x5c
	s_load_b64 s[30:31], s[0:1], 0x80
	s_bfe_u32 s5, ttmp6, 0x40014
	s_lshr_b32 s4, ttmp7, 16
	s_add_co_i32 s5, s5, 1
	s_bfe_u32 s6, ttmp6, 0x40008
	s_mul_i32 s5, s4, s5
	s_getreg_b32 s27, hwreg(HW_REG_IB_STS2, 6, 4)
	s_add_co_i32 s6, s6, s5
	s_load_b64 s[38:39], s[0:1], 0xb8
	s_mov_b32 s37, 0
	s_mov_b64 s[34:35], 0
	s_wait_kmcnt 0x0
	s_ashr_i32 s2, s23, 31
	s_delay_alu instid0(SALU_CYCLE_1) | instskip(NEXT) | instid1(SALU_CYCLE_1)
	s_lshr_b32 s2, s2, 30
	s_add_co_i32 s2, s23, s2
	s_delay_alu instid0(SALU_CYCLE_1) | instskip(NEXT) | instid1(SALU_CYCLE_1)
	s_ashr_i32 s2, s2, 2
	s_cvt_f32_u32 s3, s2
	s_sub_co_i32 s7, 0, s2
	s_delay_alu instid0(SALU_CYCLE_2) | instskip(SKIP_1) | instid1(TRANS32_DEP_1)
	v_rcp_iflag_f32_e32 v1, s3
	v_nop
	v_readfirstlane_b32 s3, v1
	s_mul_f32 s3, s3, 0x4f7ffffe
	s_delay_alu instid0(SALU_CYCLE_3) | instskip(NEXT) | instid1(SALU_CYCLE_3)
	s_cvt_u32_f32 s3, s3
	s_mul_i32 s7, s7, s3
	s_delay_alu instid0(SALU_CYCLE_1) | instskip(NEXT) | instid1(SALU_CYCLE_1)
	s_mul_hi_u32 s7, s3, s7
	s_add_co_i32 s3, s3, s7
	s_cmp_eq_u32 s27, 0
	s_cselect_b32 s4, s4, s6
	s_delay_alu instid0(SALU_CYCLE_1) | instskip(NEXT) | instid1(SALU_CYCLE_1)
	s_mul_hi_u32 s3, s4, s3
	s_mul_i32 s5, s3, s2
	s_add_co_i32 s6, s3, 1
	s_sub_co_i32 s5, s4, s5
	s_delay_alu instid0(SALU_CYCLE_1)
	s_sub_co_i32 s7, s5, s2
	s_cmp_ge_u32 s5, s2
	s_cselect_b32 s3, s6, s3
	s_cselect_b32 s5, s7, s5
	s_add_co_i32 s6, s3, 1
	s_cmp_ge_u32 s5, s2
	s_cselect_b32 s28, s6, s3
	s_abs_i32 s3, s31
	s_lshl_b32 s4, s4, 2
	s_cvt_f32_u32 s2, s3
	s_sub_co_i32 s5, 0, s3
	s_mul_i32 s6, s28, s23
	s_abs_i32 s7, s23
	v_rcp_iflag_f32_e32 v1, s2
	v_nop
	s_delay_alu instid0(TRANS32_DEP_1) | instskip(SKIP_1) | instid1(SALU_CYCLE_3)
	v_readfirstlane_b32 s2, v1
	s_mul_f32 s2, s2, 0x4f7ffffe
	s_cvt_u32_f32 s2, s2
	s_delay_alu instid0(SALU_CYCLE_3) | instskip(NEXT) | instid1(SALU_CYCLE_1)
	s_mul_i32 s5, s5, s2
	s_mul_hi_u32 s5, s2, s5
	s_delay_alu instid0(SALU_CYCLE_1)
	s_add_co_i32 s5, s2, s5
	s_sub_co_i32 s2, s4, s6
	s_mul_hi_u32 s4, s7, s5
	s_xor_b32 s5, s23, s31
	s_mul_i32 s6, s4, s3
	s_ashr_i32 s24, s5, 31
	s_sub_co_i32 s5, s7, s6
	s_add_co_i32 s6, s4, 1
	s_sub_co_i32 s7, s5, s3
	s_cmp_ge_u32 s5, s3
	s_cselect_b32 s4, s6, s4
	s_cselect_b32 s5, s7, s5
	s_add_co_i32 s6, s4, 1
	s_cmp_ge_u32 s5, s3
	s_cselect_b32 s3, s6, s4
	s_load_b512 s[4:19], s[0:1], 0x0
	s_xor_b32 s3, s3, s24
	s_delay_alu instid0(SALU_CYCLE_1) | instskip(NEXT) | instid1(SALU_CYCLE_1)
	s_sub_co_i32 s29, s3, s24
	s_abs_i32 s3, s29
	s_delay_alu instid0(SALU_CYCLE_1) | instskip(NEXT) | instid1(SALU_CYCLE_3)
	s_cvt_f32_u32 s24, s3
	v_rcp_iflag_f32_e32 v1, s24
	v_nop
	s_delay_alu instid0(TRANS32_DEP_1)
	v_readfirstlane_b32 s36, v1
	s_wait_kmcnt 0x0
	s_cmp_eq_u64 s[10:11], 0
	s_cbranch_scc1 .LBB21_2
; %bb.1:
	s_abs_i32 s26, s38
	s_abs_i32 s31, s28
	s_cvt_f32_u32 s24, s26
	s_sub_co_i32 s25, 0, s26
	s_delay_alu instid0(SALU_CYCLE_2) | instskip(SKIP_1) | instid1(TRANS32_DEP_1)
	v_rcp_iflag_f32_e32 v1, s24
	v_nop
	v_readfirstlane_b32 s24, v1
	s_mul_f32 s24, s24, 0x4f7ffffe
	s_delay_alu instid0(SALU_CYCLE_3) | instskip(NEXT) | instid1(SALU_CYCLE_3)
	s_cvt_u32_f32 s24, s24
	s_mul_i32 s25, s25, s24
	s_delay_alu instid0(SALU_CYCLE_1) | instskip(NEXT) | instid1(SALU_CYCLE_1)
	s_mul_hi_u32 s25, s24, s25
	s_add_co_i32 s24, s24, s25
	s_delay_alu instid0(SALU_CYCLE_1) | instskip(SKIP_2) | instid1(SALU_CYCLE_1)
	s_mul_hi_u32 s33, s31, s24
	s_load_b64 s[24:25], s[0:1], 0xc8
	s_mul_i32 s33, s33, s26
	s_sub_co_i32 s31, s31, s33
	s_ashr_i32 s33, s28, 31
	s_sub_co_i32 s34, s31, s26
	s_cmp_ge_u32 s31, s26
	s_cselect_b32 s31, s34, s31
	s_delay_alu instid0(SALU_CYCLE_1) | instskip(SKIP_2) | instid1(SALU_CYCLE_1)
	s_sub_co_i32 s34, s31, s26
	s_cmp_ge_u32 s31, s26
	s_cselect_b32 s26, s34, s31
	s_xor_b32 s26, s26, s33
	s_delay_alu instid0(SALU_CYCLE_1) | instskip(NEXT) | instid1(SALU_CYCLE_1)
	s_sub_co_i32 s34, s26, s33
	s_ashr_i32 s35, s34, 31
	s_wait_kmcnt 0x0
	s_mul_u64 s[24:25], s[24:25], s[34:35]
	s_delay_alu instid0(SALU_CYCLE_1)
	s_add_nc_u64 s[34:35], s[10:11], s[24:25]
.LBB21_2:
	v_bfe_u32 v1, v0, 10, 10
	s_bfe_u32 s10, ttmp6, 0x4000c
	s_and_b32 s11, ttmp6, 15
	s_add_co_i32 s10, s10, 1
	s_load_b96 s[24:26], s[0:1], 0x70
	v_dual_lshlrev_b32 v2, 3, v1 :: v_dual_lshlrev_b32 v74, 1, v1
	s_mul_i32 s10, ttmp9, s10
	v_and_b32_e32 v76, 0x3ff, v0
	s_add_co_i32 s11, s11, s10
	s_delay_alu instid0(VALU_DEP_2) | instskip(SKIP_4) | instid1(VALU_DEP_2)
	v_or_b32_e32 v29, 5, v2
	v_or_b32_e32 v28, 4, v2
	s_cmp_eq_u32 s27, 0
	v_mov_b32_e32 v3, 0
	s_cselect_b32 s10, ttmp9, s11
	v_dual_lshrrev_b32 v70, 2, v29 :: v_dual_lshrrev_b32 v72, 2, v28
	s_lshl_b32 s33, s10, 3
	s_delay_alu instid0(VALU_DEP_2) | instskip(NEXT) | instid1(VALU_DEP_2)
	v_dual_mov_b32 v11, v3 :: v_dual_bitop2_b32 v30, 6, v2 bitop3:0x54
	v_dual_mov_b32 v13, v3 :: v_dual_add_nc_u32 v73, s33, v72
	v_dual_mov_b32 v15, v3 :: v_dual_lshlrev_b32 v0, 10, v1
	s_delay_alu instid0(VALU_DEP_3) | instskip(SKIP_1) | instid1(VALU_DEP_4)
	v_lshrrev_b32_e32 v68, 2, v30
	v_or_b32_e32 v31, 7, v2
	v_mul_hi_u32 v4, v73, s20
	v_add_nc_u32_e32 v71, s33, v70
	s_wait_kmcnt 0x0
	s_mul_i32 s40, s2, s25
	v_dual_add_nc_u32 v69, s33, v68 :: v_dual_add_nc_u32 v75, s33, v74
	v_lshrrev_b32_e32 v66, 2, v31
	s_ashr_i32 s43, s25, 31
	s_mov_b32 s42, s25
	s_delay_alu instid0(VALU_DEP_2)
	v_mul_hi_u32 v6, v69, s20
	v_mul_hi_u32 v2, v75, s20
	s_ashr_i32 s25, s24, 31
	v_add_nc_u32_e32 v4, v73, v4
	v_mul_hi_u32 v5, v71, s20
	v_add_nc_u32_e32 v67, s33, v66
	s_lshr_b64 s[24:25], s[24:25], 2
	s_ashr_i32 s41, s40, 31
	v_lshrrev_b32_e32 v4, s21, v4
	s_lshr_b64 s[44:45], s[42:43], 2
	s_and_b64 s[42:43], s[42:43], -4
	v_add_nc_u32_e32 v2, v75, v2
	s_delay_alu instid0(VALU_DEP_2) | instskip(SKIP_2) | instid1(VALU_DEP_4)
	v_mul_lo_u32 v4, v4, s22
	v_add_nc_u32_e32 v5, v71, v5
	v_mul_hi_u32 v7, v67, s20
	v_lshrrev_b32_e32 v2, s21, v2
	s_delay_alu instid0(VALU_DEP_3) | instskip(SKIP_1) | instid1(VALU_DEP_2)
	v_dual_add_nc_u32 v6, v69, v6 :: v_dual_lshrrev_b32 v5, s21, v5
	v_sub_nc_u32_e32 v4, v73, v4
	v_mul_lo_u32 v10, v5, s22
	v_mov_b32_e32 v5, v3
	v_add_nc_u32_e32 v7, v67, v7
	v_mul_lo_u32 v2, v2, s22
	s_delay_alu instid0(VALU_DEP_2) | instskip(NEXT) | instid1(VALU_DEP_1)
	v_dual_lshrrev_b32 v6, s21, v6 :: v_dual_lshrrev_b32 v7, s21, v7
	v_mul_lo_u32 v12, v6, s22
	v_sub_nc_u32_e32 v6, v71, v10
	s_delay_alu instid0(VALU_DEP_3) | instskip(SKIP_3) | instid1(VALU_DEP_2)
	v_mul_lo_u32 v14, v7, s22
	v_mov_b32_e32 v7, v3
	v_sub_nc_u32_e32 v2, v75, v2
	v_mul_u64_e32 v[4:5], s[24:25], v[4:5]
	v_mul_u64_e32 v[8:9], s[24:25], v[2:3]
	v_sub_nc_u32_e32 v10, v69, v12
	v_mul_u64_e32 v[6:7], s[24:25], v[6:7]
	v_lshl_add_u32 v3, v76, 2, 0x3400
	v_dual_sub_nc_u32 v12, v67, v14 :: v_dual_lshlrev_b32 v14, 3, v76
	s_delay_alu instid0(VALU_DEP_4) | instskip(NEXT) | instid1(VALU_DEP_2)
	v_mul_u64_e32 v[10:11], s[24:25], v[10:11]
	v_mul_u64_e32 v[12:13], s[24:25], v[12:13]
	s_mul_i32 s24, s28, s26
	s_delay_alu instid0(SALU_CYCLE_1) | instskip(NEXT) | instid1(SALU_CYCLE_1)
	s_ashr_i32 s25, s24, 31
	s_add_nc_u64 s[4:5], s[4:5], s[24:25]
	s_lshl_b64 s[24:25], s[44:45], 3
	s_add_nc_u64 s[4:5], s[4:5], s[40:41]
	s_mul_u64 s[40:41], s[44:45], 12
	s_add_nc_u64 s[42:43], s[4:5], s[42:43]
	s_add_nc_u64 s[24:25], s[4:5], s[24:25]
	;; [unrolled: 1-line block ×3, first 2 shown]
	s_cmp_eq_u64 s[14:15], 0
	v_lshl_add_u64 v[4:5], v[4:5], 2, s[4:5]
	v_lshlrev_b64_e32 v[8:9], 2, v[8:9]
	s_delay_alu instid0(VALU_DEP_2) | instskip(SKIP_2) | instid1(VALU_DEP_4)
	v_add_nc_u64_e32 v[4:5], v[4:5], v[14:15]
	v_lshl_add_u64 v[6:7], v[6:7], 2, s[42:43]
	v_lshl_add_u64 v[10:11], v[10:11], 2, s[24:25]
	v_add_nc_u64_e32 v[16:17], s[4:5], v[8:9]
	v_add_nc_u64_e32 v[18:19], s[42:43], v[8:9]
	v_lshl_add_u64 v[12:13], v[12:13], 2, s[40:41]
	v_add_nc_u64_e32 v[20:21], s[24:25], v[8:9]
	v_add_nc_u64_e32 v[6:7], v[6:7], v[14:15]
	;; [unrolled: 1-line block ×7, first 2 shown]
	s_clause 0x1
	global_load_b64 v[4:5], v[4:5], off
	global_load_b64 v[6:7], v[6:7], off
	v_add_nc_u64_e32 v[20:21], v[20:21], v[14:15]
	v_add_nc_u64_e32 v[8:9], v[8:9], v[14:15]
	s_clause 0x5
	global_load_b64 v[10:11], v[10:11], off
	global_load_b64 v[12:13], v[12:13], off
	;; [unrolled: 1-line block ×6, first 2 shown]
	s_load_b32 s4, s[0:1], 0x40
	v_lshl_add_u32 v9, v28, 7, v3
	v_lshl_add_u32 v16, v29, 7, v3
	;; [unrolled: 1-line block ×3, first 2 shown]
	s_wait_loadcnt 0x7
	s_wait_kmcnt 0x0
	v_fma_mixlo_f16 v4, s4, v4, 0
	v_fma_mixlo_f16 v5, s4, v5, 0
	s_wait_loadcnt 0x6
	v_fma_mixlo_f16 v6, s4, v6, 0
	v_fma_mixlo_f16 v7, s4, v7, 0
	s_wait_loadcnt 0x5
	;; [unrolled: 3-line block ×5, first 2 shown]
	v_fma_mixlo_f16 v18, s4, v22, 0
	v_fma_mixlo_f16 v19, s4, v23, 0
	v_dual_add_nc_u32 v8, v3, v0 :: v_dual_lshlrev_b32 v5, 16, v5
	s_wait_loadcnt 0x1
	v_fma_mixlo_f16 v20, s4, v24, 0
	v_fma_mixlo_f16 v21, s4, v25, 0
	s_wait_loadcnt 0x0
	v_fma_mixlo_f16 v22, s4, v26, 0
	v_fma_mixlo_f16 v23, s4, v27, 0
	v_and_b32_e32 v4, 0xffff, v4
	v_dual_lshlrev_b32 v7, 16, v7 :: v_dual_lshlrev_b32 v13, 16, v13
	v_and_b32_e32 v6, 0xffff, v6
	v_dual_lshlrev_b32 v11, 16, v11 :: v_dual_lshlrev_b32 v21, 16, v21
	v_and_b32_e32 v10, 0xffff, v10
	v_and_b32_e32 v12, 0xffff, v12
	v_dual_lshlrev_b32 v15, 16, v15 :: v_dual_bitop2_b32 v4, v5, v4 bitop3:0x54
	v_and_b32_e32 v14, 0xffff, v14
	v_dual_lshlrev_b32 v19, 16, v19 :: v_dual_bitop2_b32 v5, v7, v6 bitop3:0x54
	v_and_b32_e32 v18, 0xffff, v18
	v_and_b32_e32 v20, 0xffff, v20
	v_dual_lshlrev_b32 v23, 16, v23 :: v_dual_bitop2_b32 v6, v11, v10 bitop3:0x54
	v_and_b32_e32 v22, 0xffff, v22
	v_lshl_add_u32 v3, v31, 7, v3
	v_or_b32_e32 v7, v13, v12
	v_or_b32_e32 v10, v15, v14
	;; [unrolled: 1-line block ×5, first 2 shown]
	ds_store_b32 v9, v4
	ds_store_b32 v16, v5
	;; [unrolled: 1-line block ×4, first 2 shown]
	ds_store_2addr_b32 v8, v10, v11 offset1:32
	ds_store_2addr_b32 v8, v12, v13 offset0:64 offset1:96
	s_wait_dscnt 0x0
	s_barrier_signal -1
	s_barrier_wait -1
	s_cbranch_scc1 .LBB21_4
; %bb.3:
	s_load_b32 s4, s[0:1], 0xd0
	s_wait_kmcnt 0x0
	s_mul_i32 s4, s4, s28
	s_delay_alu instid0(SALU_CYCLE_1)
	s_add_co_i32 s4, s4, s10
	s_load_b32 s30, s[14:15], s4 offset:0x0 scale_offset
.LBB21_4:
	s_wait_xcnt 0x0
	s_bfe_u32 s4, ttmp6, 0x40010
	s_and_b32 s5, ttmp7, 0xffff
	s_add_co_i32 s4, s4, 1
	s_bfe_u32 s10, ttmp6, 0x40004
	s_mul_i32 s4, s5, s4
	v_mbcnt_lo_u32_b32 v77, -1, 0
	s_add_co_i32 s10, s10, s4
	s_cmp_eq_u32 s27, 0
	s_cselect_b32 s31, s5, s10
	s_mov_b32 s5, 0
	s_lshl_b32 s4, s31, 6
	s_wait_kmcnt 0x0
	s_cmp_lt_i32 s4, s30
	s_cbranch_scc1 .LBB21_7
; %bb.5:
	v_mbcnt_lo_u32_b32 v8, -1, 0
	s_delay_alu instid0(VALU_DEP_1)
	v_dual_mov_b32 v78, 32 :: v_dual_bitop2_b32 v83, 16, v8 bitop3:0x14
	v_xor_b32_e32 v82, 8, v8
	v_xor_b32_e32 v81, 4, v8
	;; [unrolled: 1-line block ×4, first 2 shown]
	s_and_not1_b32 vcc_lo, exec_lo, s5
	s_cbranch_vccz .LBB21_8
; %bb.6:
	v_dual_mov_b32 v113, 0 :: v_dual_mov_b32 v41, 0
	v_dual_mov_b32 v7, 0xfeffffff :: v_dual_mov_b32 v6, 0xfeffffff
	;; [unrolled: 1-line block ×12, first 2 shown]
	s_branch .LBB21_11
.LBB21_7:
                                        ; implicit-def: $vgpr8
                                        ; implicit-def: $vgpr78
                                        ; implicit-def: $vgpr83
                                        ; implicit-def: $vgpr82
                                        ; implicit-def: $vgpr81
                                        ; implicit-def: $vgpr80
                                        ; implicit-def: $vgpr79
.LBB21_8:
	v_dual_mov_b32 v49, 0 :: v_dual_lshrrev_b32 v3, 3, v76
	v_add3_u32 v48, s33, v74, 1
	s_clause 0x1
	s_load_b128 s[24:27], s[0:1], 0x98
	s_load_b64 s[14:15], s[0:1], 0x8c
	s_mul_f32 s5, s36, 0x4f7ffffe
	s_mov_b32 s40, s20
	s_mov_b32 s41, s37
	s_sub_co_i32 s10, 0, s3
	v_mul_u64_e32 v[4:5], s[40:41], v[48:49]
	s_cvt_u32_f32 s5, s5
	s_abs_i32 s36, s2
	s_mov_b32 s11, s37
	s_ashr_i32 s38, s2, 31
	s_mul_i32 s10, s10, s5
	s_ashr_i32 s44, s29, 31
	s_mul_hi_u32 s10, s5, s10
	s_ashr_i32 s29, s28, 31
	s_add_co_i32 s10, s5, s10
	s_ashr_i32 s5, s39, 1
	s_mul_u64 s[10:11], s[36:37], s[10:11]
	v_lshl_add_u32 v1, v1, 2, v3
	s_mul_i32 s20, s11, s3
	s_wait_kmcnt 0x0
	s_ashr_i32 s10, s26, 2
	s_sub_co_i32 s20, s36, s20
	s_ashr_i32 s14, s14, 2
	s_xor_b32 s26, s38, s44
	s_add_co_i32 s36, s11, 1
	s_sub_co_i32 s37, s20, s3
	s_cmp_ge_u32 s20, s3
	v_mul_lo_u32 v50, s14, v1
	s_cselect_b32 s11, s36, s11
	s_cselect_b32 s20, s37, s20
	s_add_co_i32 s36, s11, 1
	s_cmp_ge_u32 s20, s3
	v_lshlrev_b32_e32 v84, 2, v76
	s_cselect_b32 s3, s36, s11
	v_mul_lo_u32 v56, s10, v1
	s_xor_b32 s3, s3, s26
	s_load_b64 s[42:43], s[0:1], 0xa8
	s_sub_co_i32 s3, s3, s26
	v_add_nc_u32_e32 v3, v48, v5
	s_mul_i32 s36, s3, s15
	s_mul_i32 s20, s3, s27
	s_lshl_b32 s3, s14, 4
	s_delay_alu instid0(SALU_CYCLE_1) | instskip(SKIP_2) | instid1(VALU_DEP_3)
	v_dual_add_nc_u32 v52, s3, v50 :: v_dual_bitop2_b32 v4, 28, v84 bitop3:0x40
	v_dual_lshrrev_b32 v3, s21, v3 :: v_dual_ashrrev_i32 v51, 31, v50
	v_mul_lo_u32 v91, v2, s5
	v_lshlrev_b32_e32 v5, 2, v4
	s_delay_alu instid0(VALU_DEP_4) | instskip(NEXT) | instid1(VALU_DEP_4)
	v_add_nc_u32_e32 v54, s3, v52
	v_mul_lo_u32 v3, v3, s22
	v_ashrrev_i32_e32 v53, 31, v52
	v_dual_mov_b32 v43, v49 :: v_dual_add_nc_u32 v94, 0x2400, v0
	s_delay_alu instid0(VALU_DEP_4) | instskip(SKIP_1) | instid1(SALU_CYCLE_1)
	v_add_nc_u32_e32 v58, s3, v54
	s_lshl_b32 s3, s10, 4
	v_dual_ashrrev_i32 v55, 31, v54 :: v_dual_add_nc_u32 v60, s3, v56
	v_mad_u32_u24 v85, 0x90, v1, v5
	s_delay_alu instid0(VALU_DEP_3) | instskip(SKIP_1) | instid1(VALU_DEP_4)
	v_ashrrev_i32_e32 v59, 31, v58
	v_lshl_or_b32 v93, v1, 7, v5
	v_dual_sub_nc_u32 v3, v48, v3 :: v_dual_add_nc_u32 v62, s3, v60
	v_ashrrev_i32_e32 v61, 31, v60
	v_lshlrev_b32_e32 v1, 4, v76
	s_mul_u64 s[24:25], s[24:25], s[28:29]
	s_delay_alu instid0(VALU_DEP_3)
	v_mul_lo_u32 v92, v3, s5
	v_add_nc_u32_e32 v64, s3, v62
	s_add_nc_u64 s[6:7], s[6:7], s[24:25]
	s_wait_kmcnt 0x0
	s_mul_u64 s[24:25], s[42:43], s[28:29]
	v_dual_mov_b32 v47, v49 :: v_dual_add_nc_u32 v86, 0x900, v85
	v_dual_mov_b32 v78, 32 :: v_dual_add_nc_u32 v87, 0x1200, v85
	;; [unrolled: 1-line block ×4, first 2 shown]
	v_mul_u32_u24_e32 v90, 0x90, v76
	v_dual_ashrrev_i32 v57, 31, v56 :: v_dual_ashrrev_i32 v63, 31, v62
	v_dual_mov_b32 v44, v49 :: v_dual_add_nc_u32 v95, 0x800, v93
	v_dual_mov_b32 v41, v49 :: v_dual_add_nc_u32 v96, 0x1000, v93
	;; [unrolled: 1-line block ×3, first 2 shown]
	v_dual_mov_b32 v0, 0xfeffffff :: v_dual_ashrrev_i32 v65, 31, v64
	v_dual_lshlrev_b32 v48, 2, v4 :: v_dual_bitop2_b32 v83, 16, v77 bitop3:0x14
	v_dual_mov_b32 v40, v49 :: v_dual_bitop2_b32 v82, 8, v77 bitop3:0x14
	v_dual_mov_b32 v106, v49 :: v_dual_bitop2_b32 v81, 4, v77 bitop3:0x14
	;; [unrolled: 1-line block ×4, first 2 shown]
	v_dual_mov_b32 v1, 0xfeffffff :: v_dual_add_nc_u32 v98, v94, v1
	v_dual_mov_b32 v110, v49 :: v_dual_add_nc_u32 v99, 0x400, v84
	;; [unrolled: 1-line block ×3, first 2 shown]
	v_dual_mov_b32 v2, 0xfeffffff :: v_dual_mov_b32 v3, 0xfeffffff
	v_dual_mov_b32 v4, 0xfeffffff :: v_dual_mov_b32 v5, 0xfeffffff
	;; [unrolled: 1-line block ×3, first 2 shown]
	v_dual_mov_b32 v112, v49 :: v_dual_add_nc_u32 v101, 0xc00, v84
	v_dual_mov_b32 v111, v49 :: v_dual_add_nc_u32 v102, 0x1000, v84
	v_add_nc_u32_e32 v103, 0x1400, v84
	v_dual_mov_b32 v113, v49 :: v_dual_add_nc_u32 v104, 0x1800, v84
	v_add_nc_u32_e32 v105, 0x1c00, v84
	s_ashr_i32 s37, s36, 31
	s_add_nc_u64 s[8:9], s[8:9], s[24:25]
	s_ashr_i32 s21, s20, 31
	s_add_nc_u64 s[6:7], s[6:7], s[36:37]
	s_add_nc_u64 s[8:9], s[8:9], s[20:21]
	s_ashr_i32 s15, s14, 31
	s_ashr_i32 s11, s10, 31
	s_add_nc_u64 s[20:21], s[0:1], 0xd0
.LBB21_9:                               ; =>This Inner Loop Header: Depth=1
	s_ashr_i32 s5, s4, 31
	v_dual_mov_b32 v120, v1 :: v_dual_mov_b32 v121, v0
	s_mul_u64 s[24:25], s[4:5], s[14:15]
	v_dual_mov_b32 v118, v3 :: v_dual_mov_b32 v119, v2
	s_lshl_b64 s[24:25], s[24:25], 2
	v_dual_mov_b32 v114, v7 :: v_dual_mov_b32 v115, v6
	s_add_nc_u64 s[24:25], s[6:7], s[24:25]
	v_dual_mov_b32 v116, v5 :: v_dual_mov_b32 v117, v4
	v_lshl_add_u64 v[0:1], v[50:51], 2, s[24:25]
	v_dual_mov_b32 v122, 0 :: v_dual_mov_b32 v123, 0
	v_dual_mov_b32 v124, 0 :: v_dual_mov_b32 v125, 0
	s_delay_alu instid0(VALU_DEP_3)
	v_add_nc_u64_e32 v[0:1], v[0:1], v[48:49]
	v_dual_mov_b32 v126, 0 :: v_dual_mov_b32 v127, 0
	v_dual_mov_b32 v129, 0 :: v_dual_mov_b32 v128, 0
	v_cmp_gt_i32_e32 vcc_lo, 32, v83
	global_load_b128 v[0:3], v[0:1], off
	s_wait_loadcnt 0x0
	ds_store_b128 v85, v[0:3]
	v_lshl_add_u64 v[0:1], v[52:53], 2, s[24:25]
	s_delay_alu instid0(VALU_DEP_1) | instskip(SKIP_4) | instid1(VALU_DEP_1)
	v_add_nc_u64_e32 v[0:1], v[0:1], v[48:49]
	global_load_b128 v[0:3], v[0:1], off
	s_wait_loadcnt 0x0
	ds_store_b128 v86, v[0:3]
	v_lshl_add_u64 v[0:1], v[54:55], 2, s[24:25]
	v_add_nc_u64_e32 v[0:1], v[0:1], v[48:49]
	global_load_b128 v[0:3], v[0:1], off
	s_wait_loadcnt 0x0
	ds_store_b128 v87, v[0:3]
	v_lshl_add_u64 v[0:1], v[58:59], 2, s[24:25]
	s_mul_u64 s[24:25], s[4:5], s[10:11]
	s_delay_alu instid0(SALU_CYCLE_1) | instskip(NEXT) | instid1(VALU_DEP_1)
	s_lshl_b64 s[24:25], s[24:25], 2
	v_add_nc_u64_e32 v[0:1], v[0:1], v[48:49]
	s_add_nc_u64 s[24:25], s[8:9], s[24:25]
	global_load_b128 v[0:3], v[0:1], off
	s_wait_loadcnt 0x0
	ds_store_b128 v88, v[0:3]
	s_wait_dscnt 0x0
	s_barrier_signal -1
	s_barrier_wait -1
	ds_load_b128 v[36:39], v90
	ds_load_b128 v[0:3], v90 offset:4608
	ds_load_b128 v[32:35], v89
	ds_load_b128 v[28:31], v89 offset:128
	ds_load_b128 v[24:27], v89 offset:256
	;; [unrolled: 1-line block ×7, first 2 shown]
	s_wait_dscnt 0x7
	;;#ASMSTART
	v_dot2_f32_f16 v122, v36, v32, v122
	;;#ASMEND
	;;#ASMSTART
	v_dot2_f32_f16 v122, v37, v33, v122
	;;#ASMEND
	;;#ASMSTART
	v_dot2_f32_f16 v122, v38, v34, v122
	;;#ASMEND
	;;#ASMSTART
	v_dot2_f32_f16 v122, v39, v35, v122
	;;#ASMEND
	s_wait_dscnt 0x6
	;;#ASMSTART
	v_dot2_f32_f16 v123, v36, v28, v123
	;;#ASMEND
	;;#ASMSTART
	v_dot2_f32_f16 v123, v37, v29, v123
	;;#ASMEND
	;;#ASMSTART
	v_dot2_f32_f16 v123, v38, v30, v123
	;;#ASMEND
	;;#ASMSTART
	v_dot2_f32_f16 v123, v39, v31, v123
	;;#ASMEND
	;; [unrolled: 13-line block ×7, first 2 shown]
	s_wait_dscnt 0x0
	;;#ASMSTART
	v_dot2_f32_f16 v128, v36, v4, v128
	;;#ASMEND
	;;#ASMSTART
	v_dot2_f32_f16 v128, v37, v5, v128
	;;#ASMEND
	;;#ASMSTART
	v_dot2_f32_f16 v128, v38, v6, v128
	;;#ASMEND
	v_mov_b32_e32 v36, 0
	;;#ASMSTART
	v_dot2_f32_f16 v128, v39, v7, v128
	;;#ASMEND
	;;#ASMSTART
	v_dot2_f32_f16 v36, v0, v32, v36
	;;#ASMEND
	;;#ASMSTART
	v_dot2_f32_f16 v36, v1, v33, v36
	;;#ASMEND
	;;#ASMSTART
	v_dot2_f32_f16 v36, v2, v34, v36
	;;#ASMEND
	v_mov_b32_e32 v32, 0
	;;#ASMSTART
	v_dot2_f32_f16 v36, v3, v35, v36
	;;#ASMEND
	;; [unrolled: 13-line block ×8, first 2 shown]
	;;#ASMSTART
	v_dot2_f32_f16 v8, v0, v4, v8
	;;#ASMEND
	;;#ASMSTART
	v_dot2_f32_f16 v8, v1, v5, v8
	;;#ASMEND
	;; [unrolled: 3-line block ×4, first 2 shown]
	ds_load_b128 v[0:3], v90 offset:16
	ds_load_b128 v[4:7], v90 offset:4624
	ds_load_b128 v[130:133], v89 offset:16
	ds_load_b128 v[134:137], v89 offset:144
	ds_load_b128 v[138:141], v89 offset:272
	ds_load_b128 v[142:145], v89 offset:400
	ds_load_b128 v[146:149], v89 offset:528
	ds_load_b128 v[150:153], v89 offset:656
	ds_load_b128 v[154:157], v89 offset:784
	ds_load_b128 v[158:161], v89 offset:912
	s_wait_dscnt 0x7
	;;#ASMSTART
	v_dot2_f32_f16 v122, v0, v130, v122
	;;#ASMEND
	;;#ASMSTART
	v_dot2_f32_f16 v122, v1, v131, v122
	;;#ASMEND
	;;#ASMSTART
	v_dot2_f32_f16 v122, v2, v132, v122
	;;#ASMEND
	;;#ASMSTART
	v_dot2_f32_f16 v122, v3, v133, v122
	;;#ASMEND
	s_wait_dscnt 0x6
	;;#ASMSTART
	v_dot2_f32_f16 v123, v0, v134, v123
	;;#ASMEND
	;;#ASMSTART
	v_dot2_f32_f16 v123, v1, v135, v123
	;;#ASMEND
	;;#ASMSTART
	v_dot2_f32_f16 v123, v2, v136, v123
	;;#ASMEND
	;;#ASMSTART
	v_dot2_f32_f16 v123, v3, v137, v123
	;;#ASMEND
	;; [unrolled: 13-line block ×8, first 2 shown]
	;;#ASMSTART
	v_dot2_f32_f16 v36, v4, v130, v36
	;;#ASMEND
	;;#ASMSTART
	v_dot2_f32_f16 v36, v5, v131, v36
	;;#ASMEND
	;; [unrolled: 3-line block ×32, first 2 shown]
	ds_load_b128 v[0:3], v90 offset:32
	ds_load_b128 v[4:7], v90 offset:4640
	;; [unrolled: 1-line block ×10, first 2 shown]
	s_wait_dscnt 0x7
	;;#ASMSTART
	v_dot2_f32_f16 v122, v0, v130, v122
	;;#ASMEND
	;;#ASMSTART
	v_dot2_f32_f16 v122, v1, v131, v122
	;;#ASMEND
	;;#ASMSTART
	v_dot2_f32_f16 v122, v2, v132, v122
	;;#ASMEND
	;;#ASMSTART
	v_dot2_f32_f16 v122, v3, v133, v122
	;;#ASMEND
	s_wait_dscnt 0x6
	;;#ASMSTART
	v_dot2_f32_f16 v123, v0, v134, v123
	;;#ASMEND
	;;#ASMSTART
	v_dot2_f32_f16 v123, v1, v135, v123
	;;#ASMEND
	;;#ASMSTART
	v_dot2_f32_f16 v123, v2, v136, v123
	;;#ASMEND
	;;#ASMSTART
	v_dot2_f32_f16 v123, v3, v137, v123
	;;#ASMEND
	;; [unrolled: 13-line block ×8, first 2 shown]
	;;#ASMSTART
	v_dot2_f32_f16 v36, v4, v130, v36
	;;#ASMEND
	;;#ASMSTART
	v_dot2_f32_f16 v36, v5, v131, v36
	;;#ASMEND
	;; [unrolled: 3-line block ×32, first 2 shown]
	ds_load_b128 v[0:3], v90 offset:48
	ds_load_b128 v[4:7], v90 offset:4656
	;; [unrolled: 1-line block ×10, first 2 shown]
	s_wait_dscnt 0x7
	;;#ASMSTART
	v_dot2_f32_f16 v122, v0, v130, v122
	;;#ASMEND
	;;#ASMSTART
	v_dot2_f32_f16 v122, v1, v131, v122
	;;#ASMEND
	;;#ASMSTART
	v_dot2_f32_f16 v122, v2, v132, v122
	;;#ASMEND
	;;#ASMSTART
	v_dot2_f32_f16 v122, v3, v133, v122
	;;#ASMEND
	s_wait_dscnt 0x6
	;;#ASMSTART
	v_dot2_f32_f16 v123, v0, v134, v123
	;;#ASMEND
	;;#ASMSTART
	v_dot2_f32_f16 v123, v1, v135, v123
	;;#ASMEND
	;;#ASMSTART
	v_dot2_f32_f16 v123, v2, v136, v123
	;;#ASMEND
	;;#ASMSTART
	v_dot2_f32_f16 v123, v3, v137, v123
	;;#ASMEND
	;; [unrolled: 13-line block ×8, first 2 shown]
	;;#ASMSTART
	v_dot2_f32_f16 v36, v4, v130, v36
	;;#ASMEND
	;;#ASMSTART
	v_dot2_f32_f16 v36, v5, v131, v36
	;;#ASMEND
	;; [unrolled: 3-line block ×32, first 2 shown]
	ds_load_b128 v[0:3], v90 offset:64
	ds_load_b128 v[4:7], v90 offset:4672
	;; [unrolled: 1-line block ×10, first 2 shown]
	s_wait_dscnt 0x7
	;;#ASMSTART
	v_dot2_f32_f16 v122, v0, v130, v122
	;;#ASMEND
	;;#ASMSTART
	v_dot2_f32_f16 v122, v1, v131, v122
	;;#ASMEND
	;;#ASMSTART
	v_dot2_f32_f16 v122, v2, v132, v122
	;;#ASMEND
	;;#ASMSTART
	v_dot2_f32_f16 v122, v3, v133, v122
	;;#ASMEND
	s_wait_dscnt 0x6
	;;#ASMSTART
	v_dot2_f32_f16 v123, v0, v134, v123
	;;#ASMEND
	;;#ASMSTART
	v_dot2_f32_f16 v123, v1, v135, v123
	;;#ASMEND
	;;#ASMSTART
	v_dot2_f32_f16 v123, v2, v136, v123
	;;#ASMEND
	;;#ASMSTART
	v_dot2_f32_f16 v123, v3, v137, v123
	;;#ASMEND
	;; [unrolled: 13-line block ×8, first 2 shown]
	;;#ASMSTART
	v_dot2_f32_f16 v36, v4, v130, v36
	;;#ASMEND
	;;#ASMSTART
	v_dot2_f32_f16 v36, v5, v131, v36
	;;#ASMEND
	;; [unrolled: 3-line block ×32, first 2 shown]
	ds_load_b128 v[0:3], v90 offset:80
	ds_load_b128 v[4:7], v90 offset:4688
	ds_load_b128 v[130:133], v89 offset:80
	ds_load_b128 v[134:137], v89 offset:208
	ds_load_b128 v[138:141], v89 offset:336
	ds_load_b128 v[142:145], v89 offset:464
	ds_load_b128 v[146:149], v89 offset:592
	ds_load_b128 v[150:153], v89 offset:720
	ds_load_b128 v[154:157], v89 offset:848
	ds_load_b128 v[158:161], v89 offset:976
	s_wait_dscnt 0x7
	;;#ASMSTART
	v_dot2_f32_f16 v122, v0, v130, v122
	;;#ASMEND
	;;#ASMSTART
	v_dot2_f32_f16 v122, v1, v131, v122
	;;#ASMEND
	;;#ASMSTART
	v_dot2_f32_f16 v122, v2, v132, v122
	;;#ASMEND
	;;#ASMSTART
	v_dot2_f32_f16 v122, v3, v133, v122
	;;#ASMEND
	s_wait_dscnt 0x6
	;;#ASMSTART
	v_dot2_f32_f16 v123, v0, v134, v123
	;;#ASMEND
	;;#ASMSTART
	v_dot2_f32_f16 v123, v1, v135, v123
	;;#ASMEND
	;;#ASMSTART
	v_dot2_f32_f16 v123, v2, v136, v123
	;;#ASMEND
	;;#ASMSTART
	v_dot2_f32_f16 v123, v3, v137, v123
	;;#ASMEND
	;; [unrolled: 13-line block ×8, first 2 shown]
	;;#ASMSTART
	v_dot2_f32_f16 v36, v4, v130, v36
	;;#ASMEND
	;;#ASMSTART
	v_dot2_f32_f16 v36, v5, v131, v36
	;;#ASMEND
	;; [unrolled: 3-line block ×32, first 2 shown]
	ds_load_b128 v[0:3], v90 offset:96
	ds_load_b128 v[4:7], v90 offset:4704
	;; [unrolled: 1-line block ×10, first 2 shown]
	s_wait_dscnt 0x7
	;;#ASMSTART
	v_dot2_f32_f16 v122, v0, v130, v122
	;;#ASMEND
	;;#ASMSTART
	v_dot2_f32_f16 v122, v1, v131, v122
	;;#ASMEND
	;;#ASMSTART
	v_dot2_f32_f16 v122, v2, v132, v122
	;;#ASMEND
	;;#ASMSTART
	v_dot2_f32_f16 v122, v3, v133, v122
	;;#ASMEND
	s_wait_dscnt 0x6
	;;#ASMSTART
	v_dot2_f32_f16 v123, v0, v134, v123
	;;#ASMEND
	;;#ASMSTART
	v_dot2_f32_f16 v123, v1, v135, v123
	;;#ASMEND
	;;#ASMSTART
	v_dot2_f32_f16 v123, v2, v136, v123
	;;#ASMEND
	;;#ASMSTART
	v_dot2_f32_f16 v123, v3, v137, v123
	;;#ASMEND
	;; [unrolled: 13-line block ×8, first 2 shown]
	;;#ASMSTART
	v_dot2_f32_f16 v36, v4, v130, v36
	;;#ASMEND
	;;#ASMSTART
	v_dot2_f32_f16 v36, v5, v131, v36
	;;#ASMEND
	;;#ASMSTART
	v_dot2_f32_f16 v36, v6, v132, v36
	;;#ASMEND
	;;#ASMSTART
	v_dot2_f32_f16 v36, v7, v133, v36
	;;#ASMEND
	;;#ASMSTART
	v_dot2_f32_f16 v32, v4, v134, v32
	;;#ASMEND
	;;#ASMSTART
	v_dot2_f32_f16 v32, v5, v135, v32
	;;#ASMEND
	;;#ASMSTART
	v_dot2_f32_f16 v32, v6, v136, v32
	;;#ASMEND
	;;#ASMSTART
	v_dot2_f32_f16 v32, v7, v137, v32
	;;#ASMEND
	;;#ASMSTART
	v_dot2_f32_f16 v28, v4, v138, v28
	;;#ASMEND
	;;#ASMSTART
	v_dot2_f32_f16 v28, v5, v139, v28
	;;#ASMEND
	;;#ASMSTART
	v_dot2_f32_f16 v28, v6, v140, v28
	;;#ASMEND
	;;#ASMSTART
	v_dot2_f32_f16 v28, v7, v141, v28
	;;#ASMEND
	;;#ASMSTART
	v_dot2_f32_f16 v24, v4, v142, v24
	;;#ASMEND
	;;#ASMSTART
	v_dot2_f32_f16 v24, v5, v143, v24
	;;#ASMEND
	;;#ASMSTART
	v_dot2_f32_f16 v24, v6, v144, v24
	;;#ASMEND
	;;#ASMSTART
	v_dot2_f32_f16 v24, v7, v145, v24
	;;#ASMEND
	;;#ASMSTART
	v_dot2_f32_f16 v20, v4, v146, v20
	;;#ASMEND
	;;#ASMSTART
	v_dot2_f32_f16 v20, v5, v147, v20
	;;#ASMEND
	;;#ASMSTART
	v_dot2_f32_f16 v20, v6, v148, v20
	;;#ASMEND
	;;#ASMSTART
	v_dot2_f32_f16 v20, v7, v149, v20
	;;#ASMEND
	;;#ASMSTART
	v_dot2_f32_f16 v16, v4, v150, v16
	;;#ASMEND
	;;#ASMSTART
	v_dot2_f32_f16 v16, v5, v151, v16
	;;#ASMEND
	;;#ASMSTART
	v_dot2_f32_f16 v16, v6, v152, v16
	;;#ASMEND
	;;#ASMSTART
	v_dot2_f32_f16 v16, v7, v153, v16
	;;#ASMEND
	;;#ASMSTART
	v_dot2_f32_f16 v12, v4, v154, v12
	;;#ASMEND
	;;#ASMSTART
	v_dot2_f32_f16 v12, v5, v155, v12
	;;#ASMEND
	;;#ASMSTART
	v_dot2_f32_f16 v12, v6, v156, v12
	;;#ASMEND
	;;#ASMSTART
	v_dot2_f32_f16 v12, v7, v157, v12
	;;#ASMEND
	;;#ASMSTART
	v_dot2_f32_f16 v8, v4, v158, v8
	;;#ASMEND
	;;#ASMSTART
	v_dot2_f32_f16 v8, v5, v159, v8
	;;#ASMEND
	;;#ASMSTART
	v_dot2_f32_f16 v8, v6, v160, v8
	;;#ASMEND
	;;#ASMSTART
	v_dot2_f32_f16 v8, v7, v161, v8
	;;#ASMEND
	ds_load_b128 v[0:3], v90 offset:112
	ds_load_b128 v[4:7], v90 offset:4720
	;; [unrolled: 1-line block ×10, first 2 shown]
	s_wait_dscnt 0x7
	;;#ASMSTART
	v_dot2_f32_f16 v122, v0, v130, v122
	;;#ASMEND
	;;#ASMSTART
	v_dot2_f32_f16 v122, v1, v131, v122
	;;#ASMEND
	;;#ASMSTART
	v_dot2_f32_f16 v122, v2, v132, v122
	;;#ASMEND
	;;#ASMSTART
	v_dot2_f32_f16 v122, v3, v133, v122
	;;#ASMEND
	s_wait_dscnt 0x6
	;;#ASMSTART
	v_dot2_f32_f16 v123, v0, v134, v123
	;;#ASMEND
	;;#ASMSTART
	v_dot2_f32_f16 v123, v1, v135, v123
	;;#ASMEND
	;;#ASMSTART
	v_dot2_f32_f16 v123, v2, v136, v123
	;;#ASMEND
	;;#ASMSTART
	v_dot2_f32_f16 v123, v3, v137, v123
	;;#ASMEND
	;; [unrolled: 13-line block ×8, first 2 shown]
	;;#ASMSTART
	v_dot2_f32_f16 v36, v4, v130, v36
	;;#ASMEND
	;;#ASMSTART
	v_dot2_f32_f16 v36, v5, v131, v36
	;;#ASMEND
	;; [unrolled: 3-line block ×29, first 2 shown]
	v_dual_add_nc_u32 v4, s4, v76 :: v_dual_cndmask_b32 v0, v77, v83, vcc_lo
	v_cmp_gt_i32_e32 vcc_lo, 32, v82
	;;#ASMSTART
	v_dot2_f32_f16 v8, v5, v159, v8
	;;#ASMEND
	;;#ASMSTART
	v_dot2_f32_f16 v8, v6, v160, v8
	;;#ASMEND
	;; [unrolled: 3-line block ×3, first 2 shown]
	v_dual_cndmask_b32 v0, v77, v82 :: v_dual_lshlrev_b32 v7, 2, v0
	v_cmp_gt_i32_e32 vcc_lo, 32, v81
	s_delay_alu instid0(VALU_DEP_2) | instskip(SKIP_1) | instid1(VALU_DEP_2)
	v_dual_cndmask_b32 v0, v77, v81 :: v_dual_lshlrev_b32 v9, 2, v0
	v_cmp_gt_i32_e32 vcc_lo, 32, v80
	v_lshlrev_b32_e32 v10, 2, v0
	v_cndmask_b32_e32 v0, v77, v80, vcc_lo
	v_cmp_gt_i32_e32 vcc_lo, 32, v79
	s_delay_alu instid0(VALU_DEP_2) | instskip(NEXT) | instid1(VALU_DEP_1)
	v_dual_cndmask_b32 v0, v77, v79 :: v_dual_lshlrev_b32 v11, 2, v0
	v_dual_lshlrev_b32 v13, 2, v0 :: v_dual_add_nc_u32 v0, v4, v91
	v_add_nc_u32_e32 v4, v4, v92
	s_clause 0x1
	global_load_u16 v1, v0, s[34:35] scale_offset
	global_load_u16 v0, v0, s[34:35] offset:64 scale_offset
	s_wait_loadcnt 0x1
	v_cvt_f32_f16_e32 v3, v1
	s_wait_loadcnt 0x0
	v_cvt_f32_f16_e32 v5, v0
	s_delay_alu instid0(VALU_DEP_1) | instskip(SKIP_2) | instid1(VALU_DEP_3)
	v_dual_add_f32 v14, v122, v3 :: v_dual_add_f32 v15, v36, v5
	v_dual_add_f32 v17, v123, v3 :: v_dual_add_f32 v19, v32, v5
	v_add_f32_e32 v21, v124, v3
	v_dual_add_f32 v1, 0x40051340, v14 :: v_dual_add_f32 v0, 0x40051340, v15
	v_add_f32_e32 v22, v28, v5
	s_delay_alu instid0(VALU_DEP_4) | instskip(SKIP_1) | instid1(VALU_DEP_4)
	v_add_f32_e32 v2, 0x40051340, v19
	v_dual_add_f32 v23, v125, v3 :: v_dual_add_f32 v24, v24, v5
	v_max3_num_f32 v0, v121, v1, v0
	s_delay_alu instid0(VALU_DEP_2) | instskip(NEXT) | instid1(VALU_DEP_3)
	v_dual_add_f32 v6, 0x40051340, v22 :: v_dual_add_f32 v3, 0x40051340, v23
	v_add_f32_e32 v5, 0x40051340, v24
	ds_bpermute_b32 v1, v7, v0
	v_max3_num_f32 v3, v118, v3, v5
	ds_bpermute_b32 v5, v7, v3
	s_wait_dscnt 0x1
	v_max_num_f32_e32 v1, v1, v1
	s_delay_alu instid0(VALU_DEP_1)
	v_max_num_f32_e32 v0, v0, v1
	s_wait_dscnt 0x0
	v_max_num_f32_e32 v5, v5, v5
	ds_bpermute_b32 v1, v9, v0
	v_max_num_f32_e32 v3, v3, v5
	ds_bpermute_b32 v5, v9, v3
	s_wait_dscnt 0x1
	v_max_num_f32_e32 v1, v1, v1
	s_delay_alu instid0(VALU_DEP_1)
	v_max_num_f32_e32 v0, v0, v1
	s_wait_dscnt 0x0
	v_max_num_f32_e32 v5, v5, v5
	ds_bpermute_b32 v1, v10, v0
	v_max_num_f32_e32 v3, v3, v5
	ds_bpermute_b32 v5, v10, v3
	s_wait_dscnt 0x1
	v_max_num_f32_e32 v1, v1, v1
	s_delay_alu instid0(VALU_DEP_1)
	v_max_num_f32_e32 v0, v0, v1
	s_wait_dscnt 0x0
	v_max_num_f32_e32 v5, v5, v5
	ds_bpermute_b32 v1, v11, v0
	v_max_num_f32_e32 v3, v3, v5
	ds_bpermute_b32 v5, v11, v3
	s_wait_dscnt 0x1
	v_max_num_f32_e32 v1, v1, v1
	s_delay_alu instid0(VALU_DEP_1)
	v_max_num_f32_e32 v0, v0, v1
	s_wait_dscnt 0x0
	v_max_num_f32_e32 v5, v5, v5
	ds_bpermute_b32 v1, v13, v0
	v_max_num_f32_e32 v3, v3, v5
	ds_bpermute_b32 v5, v13, v3
	s_wait_dscnt 0x1
	v_max_num_f32_e32 v1, v1, v1
	s_delay_alu instid0(VALU_DEP_1) | instskip(SKIP_3) | instid1(VALU_DEP_2)
	v_max_num_f32_e32 v0, v0, v1
	v_add_f32_e32 v1, 0x40051340, v17
	s_wait_dscnt 0x0
	v_max_num_f32_e32 v5, v5, v5
	v_max3_num_f32 v1, v120, v1, v2
	s_delay_alu instid0(VALU_DEP_2)
	v_max_num_f32_e32 v3, v3, v5
	global_load_u16 v5, v4, s[34:35] scale_offset
	ds_bpermute_b32 v2, v7, v1
	global_load_u16 v4, v4, s[34:35] offset:64 scale_offset
	s_wait_loadcnt_dscnt 0x0
	s_barrier_signal -1
	s_barrier_wait -1
	v_max_num_f32_e32 v2, v2, v2
	s_delay_alu instid0(VALU_DEP_1) | instskip(SKIP_3) | instid1(VALU_DEP_1)
	v_max_num_f32_e32 v1, v1, v2
	ds_bpermute_b32 v2, v9, v1
	s_wait_dscnt 0x0
	v_max_num_f32_e32 v2, v2, v2
	v_max_num_f32_e32 v1, v1, v2
	ds_bpermute_b32 v2, v10, v1
	s_wait_dscnt 0x0
	v_max_num_f32_e32 v2, v2, v2
	s_delay_alu instid0(VALU_DEP_1) | instskip(SKIP_3) | instid1(VALU_DEP_1)
	v_max_num_f32_e32 v1, v1, v2
	ds_bpermute_b32 v2, v11, v1
	s_wait_dscnt 0x0
	v_max_num_f32_e32 v2, v2, v2
	v_max_num_f32_e32 v1, v1, v2
	ds_bpermute_b32 v2, v13, v1
	s_wait_dscnt 0x0
	v_max_num_f32_e32 v2, v2, v2
	s_delay_alu instid0(VALU_DEP_1) | instskip(NEXT) | instid1(VALU_DEP_1)
	v_dual_max_num_f32 v1, v1, v2 :: v_dual_add_f32 v2, 0x40051340, v21
	v_max3_num_f32 v2, v119, v2, v6
	ds_bpermute_b32 v6, v7, v2
	s_wait_dscnt 0x0
	v_max_num_f32_e32 v6, v6, v6
	s_delay_alu instid0(VALU_DEP_1) | instskip(SKIP_3) | instid1(VALU_DEP_1)
	v_max_num_f32_e32 v2, v2, v6
	ds_bpermute_b32 v6, v9, v2
	s_wait_dscnt 0x0
	v_max_num_f32_e32 v6, v6, v6
	v_max_num_f32_e32 v2, v2, v6
	ds_bpermute_b32 v6, v10, v2
	s_wait_dscnt 0x0
	v_max_num_f32_e32 v6, v6, v6
	s_delay_alu instid0(VALU_DEP_1) | instskip(SKIP_3) | instid1(VALU_DEP_1)
	v_max_num_f32_e32 v2, v2, v6
	ds_bpermute_b32 v6, v11, v2
	s_wait_dscnt 0x0
	v_max_num_f32_e32 v6, v6, v6
	v_max_num_f32_e32 v2, v2, v6
	ds_bpermute_b32 v6, v13, v2
	s_wait_dscnt 0x0
	v_max_num_f32_e32 v6, v6, v6
	s_delay_alu instid0(VALU_DEP_1) | instskip(SKIP_2) | instid1(VALU_DEP_2)
	v_max_num_f32_e32 v2, v2, v6
	v_cvt_f32_f16_e32 v18, v5
	v_cvt_f32_f16_e32 v26, v4
	v_dual_add_f32 v25, v126, v18 :: v_dual_add_f32 v34, v129, v18
	s_delay_alu instid0(VALU_DEP_2) | instskip(SKIP_1) | instid1(VALU_DEP_3)
	v_add_f32_e32 v35, v12, v26
	v_add_f32_e32 v33, v16, v26
	v_dual_add_f32 v28, v20, v26 :: v_dual_add_f32 v5, 0x40051340, v25
	s_delay_alu instid0(VALU_DEP_3) | instskip(NEXT) | instid1(VALU_DEP_3)
	v_dual_add_f32 v37, v128, v18 :: v_dual_add_f32 v12, 0x40051340, v35
	v_add_f32_e32 v6, 0x40051340, v33
	s_delay_alu instid0(VALU_DEP_3) | instskip(SKIP_1) | instid1(VALU_DEP_2)
	v_dual_add_f32 v4, 0x40051340, v28 :: v_dual_add_f32 v29, v127, v18
	v_add_f32_e32 v39, v8, v26
	v_max3_num_f32 v4, v117, v5, v4
	s_delay_alu instid0(VALU_DEP_2) | instskip(SKIP_3) | instid1(VALU_DEP_1)
	v_add_f32_e32 v8, 0x40051340, v39
	ds_bpermute_b32 v5, v7, v4
	s_wait_dscnt 0x0
	v_max_num_f32_e32 v5, v5, v5
	v_max_num_f32_e32 v4, v4, v5
	ds_bpermute_b32 v5, v9, v4
	s_wait_dscnt 0x0
	v_max_num_f32_e32 v5, v5, v5
	s_delay_alu instid0(VALU_DEP_1) | instskip(SKIP_3) | instid1(VALU_DEP_1)
	v_max_num_f32_e32 v4, v4, v5
	ds_bpermute_b32 v5, v10, v4
	s_wait_dscnt 0x0
	v_max_num_f32_e32 v5, v5, v5
	v_max_num_f32_e32 v4, v4, v5
	ds_bpermute_b32 v5, v11, v4
	s_wait_dscnt 0x0
	v_max_num_f32_e32 v5, v5, v5
	s_delay_alu instid0(VALU_DEP_1) | instskip(SKIP_3) | instid1(VALU_DEP_1)
	v_max_num_f32_e32 v4, v4, v5
	ds_bpermute_b32 v5, v13, v4
	s_wait_dscnt 0x0
	v_max_num_f32_e32 v5, v5, v5
	v_max_num_f32_e32 v4, v4, v5
	v_add_f32_e32 v5, 0x40051340, v29
	s_delay_alu instid0(VALU_DEP_1) | instskip(SKIP_3) | instid1(VALU_DEP_1)
	v_max3_num_f32 v5, v116, v5, v6
	ds_bpermute_b32 v6, v7, v5
	s_wait_dscnt 0x0
	v_max_num_f32_e32 v6, v6, v6
	v_max_num_f32_e32 v5, v5, v6
	ds_bpermute_b32 v6, v9, v5
	s_wait_dscnt 0x0
	v_max_num_f32_e32 v6, v6, v6
	s_delay_alu instid0(VALU_DEP_1) | instskip(SKIP_3) | instid1(VALU_DEP_1)
	v_max_num_f32_e32 v5, v5, v6
	ds_bpermute_b32 v6, v10, v5
	s_wait_dscnt 0x0
	v_max_num_f32_e32 v6, v6, v6
	v_max_num_f32_e32 v5, v5, v6
	ds_bpermute_b32 v6, v11, v5
	s_wait_dscnt 0x0
	v_max_num_f32_e32 v6, v6, v6
	s_delay_alu instid0(VALU_DEP_1) | instskip(SKIP_3) | instid1(VALU_DEP_1)
	v_max_num_f32_e32 v5, v5, v6
	ds_bpermute_b32 v6, v13, v5
	s_wait_dscnt 0x0
	v_max_num_f32_e32 v6, v6, v6
	v_max_num_f32_e32 v5, v5, v6
	v_add_f32_e32 v6, 0x40051340, v34
	s_delay_alu instid0(VALU_DEP_1) | instskip(SKIP_3) | instid1(VALU_DEP_1)
	v_max3_num_f32 v6, v115, v6, v12
	;; [unrolled: 25-line block ×3, first 2 shown]
	ds_bpermute_b32 v7, v7, v8
	s_wait_dscnt 0x0
	v_max_num_f32_e32 v7, v7, v7
	v_max_num_f32_e32 v7, v8, v7
	ds_bpermute_b32 v8, v9, v7
	v_sub_f32_e32 v9, v121, v0
	s_wait_dscnt 0x0
	v_max_num_f32_e32 v8, v8, v8
	s_delay_alu instid0(VALU_DEP_1) | instskip(SKIP_3) | instid1(VALU_DEP_1)
	v_max_num_f32_e32 v7, v7, v8
	ds_bpermute_b32 v8, v10, v7
	s_wait_dscnt 0x0
	v_max_num_f32_e32 v8, v8, v8
	v_max_num_f32_e32 v7, v7, v8
	ds_bpermute_b32 v8, v11, v7
	s_wait_dscnt 0x0
	v_max_num_f32_e32 v8, v8, v8
	s_delay_alu instid0(VALU_DEP_1) | instskip(SKIP_3) | instid1(VALU_DEP_1)
	v_max_num_f32_e32 v7, v7, v8
	ds_bpermute_b32 v8, v13, v7
	s_wait_dscnt 0x0
	v_max_num_f32_e32 v8, v8, v8
	v_max_num_f32_e32 v7, v7, v8
	v_sub_f32_e32 v8, v14, v0
	s_delay_alu instid0(VALU_DEP_1) | instskip(SKIP_1) | instid1(VALU_DEP_2)
	v_mul_f32_e32 v10, 0x3fb8aa3b, v8
	v_cmp_ngt_f32_e32 vcc_lo, 0xc2ce8ed0, v8
	v_fma_f32 v11, 0x3fb8aa3b, v8, -v10
	v_rndne_f32_e32 v12, v10
	s_delay_alu instid0(VALU_DEP_2) | instskip(NEXT) | instid1(VALU_DEP_2)
	v_fmac_f32_e32 v11, 0x32a5705f, v8
	v_sub_f32_e32 v10, v10, v12
	s_delay_alu instid0(VALU_DEP_1) | instskip(SKIP_1) | instid1(VALU_DEP_2)
	v_add_f32_e32 v10, v10, v11
	v_cvt_i32_f32_e32 v11, v12
	v_exp_f32_e32 v10, v10
	v_nop
	s_delay_alu instid0(TRANS32_DEP_1) | instskip(NEXT) | instid1(VALU_DEP_1)
	v_ldexp_f32 v10, v10, v11
	v_cndmask_b32_e32 v10, 0, v10, vcc_lo
	v_cmp_nlt_f32_e32 vcc_lo, 0x42b17218, v8
	s_delay_alu instid0(VALU_DEP_2) | instskip(SKIP_1) | instid1(VALU_DEP_1)
	v_cndmask_b32_e32 v8, 0x7f800000, v10, vcc_lo
	v_sub_f32_e32 v10, v15, v0
	v_mul_f32_e32 v11, 0x3fb8aa3b, v10
	v_cmp_ngt_f32_e32 vcc_lo, 0xc2ce8ed0, v10
	s_delay_alu instid0(VALU_DEP_2) | instskip(SKIP_1) | instid1(VALU_DEP_1)
	v_fma_f32 v12, 0x3fb8aa3b, v10, -v11
	v_rndne_f32_e32 v13, v11
	v_dual_fmac_f32 v12, 0x32a5705f, v10 :: v_dual_sub_f32 v11, v11, v13
	s_delay_alu instid0(VALU_DEP_1) | instskip(SKIP_1) | instid1(VALU_DEP_2)
	v_add_f32_e32 v11, v11, v12
	v_cvt_i32_f32_e32 v12, v13
	v_exp_f32_e32 v11, v11
	v_nop
	s_delay_alu instid0(TRANS32_DEP_1) | instskip(NEXT) | instid1(VALU_DEP_1)
	v_ldexp_f32 v11, v11, v12
	v_cndmask_b32_e32 v11, 0, v11, vcc_lo
	v_cmp_nlt_f32_e32 vcc_lo, 0x42b17218, v10
	s_delay_alu instid0(VALU_DEP_2) | instskip(SKIP_2) | instid1(VALU_DEP_2)
	v_cndmask_b32_e32 v10, 0x7f800000, v11, vcc_lo
	v_mul_f32_e32 v11, 0x3fb8aa3b, v9
	v_cmp_ngt_f32_e32 vcc_lo, 0xc2ce8ed0, v9
	v_fma_f32 v12, 0x3fb8aa3b, v9, -v11
	v_rndne_f32_e32 v13, v11
	s_delay_alu instid0(VALU_DEP_2) | instskip(NEXT) | instid1(VALU_DEP_2)
	v_fmac_f32_e32 v12, 0x32a5705f, v9
	v_sub_f32_e32 v11, v11, v13
	s_delay_alu instid0(VALU_DEP_1) | instskip(SKIP_2) | instid1(VALU_DEP_3)
	v_add_f32_e32 v11, v11, v12
	v_cvt_i32_f32_e32 v12, v13
	v_sub_f32_e32 v13, v120, v1
	v_exp_f32_e32 v11, v11
	v_nop
	s_delay_alu instid0(TRANS32_DEP_1) | instskip(NEXT) | instid1(VALU_DEP_1)
	v_ldexp_f32 v11, v11, v12
	v_cndmask_b32_e32 v11, 0, v11, vcc_lo
	v_cmp_nlt_f32_e32 vcc_lo, 0x42b17218, v9
	s_delay_alu instid0(VALU_DEP_2) | instskip(NEXT) | instid1(VALU_DEP_1)
	v_cndmask_b32_e32 v12, 0x7f800000, v11, vcc_lo
	v_cvt_f16_f32_e32 v9, v12
	s_delay_alu instid0(VALU_DEP_1) | instskip(NEXT) | instid1(VALU_DEP_1)
	v_and_b32_e32 v9, 0xffff, v9
	v_mul_u32_u24_e32 v9, 0x10001, v9
	s_delay_alu instid0(VALU_DEP_1) | instskip(SKIP_1) | instid1(VALU_DEP_1)
	v_pk_mul_f16 v18, v113, v9
	v_sub_f32_e32 v9, v17, v1
	v_mul_f32_e32 v11, 0x3fb8aa3b, v9
	v_cmp_ngt_f32_e32 vcc_lo, 0xc2ce8ed0, v9
	s_delay_alu instid0(VALU_DEP_2) | instskip(SKIP_1) | instid1(VALU_DEP_1)
	v_fma_f32 v14, 0x3fb8aa3b, v9, -v11
	v_rndne_f32_e32 v15, v11
	v_dual_fmac_f32 v14, 0x32a5705f, v9 :: v_dual_sub_f32 v11, v11, v15
	s_delay_alu instid0(VALU_DEP_1) | instskip(SKIP_1) | instid1(VALU_DEP_2)
	v_add_f32_e32 v11, v11, v14
	v_cvt_i32_f32_e32 v14, v15
	v_exp_f32_e32 v11, v11
	v_nop
	s_delay_alu instid0(TRANS32_DEP_1) | instskip(NEXT) | instid1(VALU_DEP_1)
	v_ldexp_f32 v11, v11, v14
	v_cndmask_b32_e32 v11, 0, v11, vcc_lo
	v_cmp_nlt_f32_e32 vcc_lo, 0x42b17218, v9
	s_delay_alu instid0(VALU_DEP_2) | instskip(SKIP_1) | instid1(VALU_DEP_1)
	v_cndmask_b32_e32 v9, 0x7f800000, v11, vcc_lo
	v_sub_f32_e32 v11, v19, v1
	v_mul_f32_e32 v14, 0x3fb8aa3b, v11
	v_cmp_ngt_f32_e32 vcc_lo, 0xc2ce8ed0, v11
	s_delay_alu instid0(VALU_DEP_2) | instskip(SKIP_1) | instid1(VALU_DEP_1)
	v_fma_f32 v15, 0x3fb8aa3b, v11, -v14
	v_rndne_f32_e32 v16, v14
	v_dual_fmac_f32 v15, 0x32a5705f, v11 :: v_dual_sub_f32 v14, v14, v16
	s_delay_alu instid0(VALU_DEP_1) | instskip(SKIP_1) | instid1(VALU_DEP_2)
	v_add_f32_e32 v14, v14, v15
	v_cvt_i32_f32_e32 v15, v16
	v_exp_f32_e32 v14, v14
	v_nop
	s_delay_alu instid0(TRANS32_DEP_1) | instskip(NEXT) | instid1(VALU_DEP_1)
	v_ldexp_f32 v14, v14, v15
	v_cndmask_b32_e32 v14, 0, v14, vcc_lo
	v_cmp_nlt_f32_e32 vcc_lo, 0x42b17218, v11
	s_delay_alu instid0(VALU_DEP_2) | instskip(SKIP_2) | instid1(VALU_DEP_2)
	v_cndmask_b32_e32 v11, 0x7f800000, v14, vcc_lo
	v_mul_f32_e32 v14, 0x3fb8aa3b, v13
	v_cmp_ngt_f32_e32 vcc_lo, 0xc2ce8ed0, v13
	v_fma_f32 v15, 0x3fb8aa3b, v13, -v14
	v_rndne_f32_e32 v16, v14
	s_delay_alu instid0(VALU_DEP_1) | instskip(NEXT) | instid1(VALU_DEP_1)
	v_dual_fmac_f32 v15, 0x32a5705f, v13 :: v_dual_sub_f32 v14, v14, v16
	v_add_f32_e32 v14, v14, v15
	v_cvt_i32_f32_e32 v15, v16
	s_delay_alu instid0(VALU_DEP_2) | instskip(SKIP_1) | instid1(TRANS32_DEP_1)
	v_exp_f32_e32 v14, v14
	v_nop
	v_ldexp_f32 v14, v14, v15
	v_sub_f32_e32 v15, v119, v2
	s_delay_alu instid0(VALU_DEP_2) | instskip(SKIP_1) | instid1(VALU_DEP_2)
	v_cndmask_b32_e32 v14, 0, v14, vcc_lo
	v_cmp_nlt_f32_e32 vcc_lo, 0x42b17218, v13
	v_cndmask_b32_e32 v13, 0x7f800000, v14, vcc_lo
	s_delay_alu instid0(VALU_DEP_1) | instskip(NEXT) | instid1(VALU_DEP_1)
	v_cvt_f16_f32_e32 v14, v13
	v_and_b32_e32 v14, 0xffff, v14
	s_delay_alu instid0(VALU_DEP_1) | instskip(NEXT) | instid1(VALU_DEP_1)
	v_mul_u32_u24_e32 v14, 0x10001, v14
	v_pk_mul_f16 v19, v112, v14
	v_sub_f32_e32 v14, v21, v2
	s_delay_alu instid0(VALU_DEP_1) | instskip(SKIP_1) | instid1(VALU_DEP_2)
	v_mul_f32_e32 v16, 0x3fb8aa3b, v14
	v_cmp_ngt_f32_e32 vcc_lo, 0xc2ce8ed0, v14
	v_fma_f32 v17, 0x3fb8aa3b, v14, -v16
	v_rndne_f32_e32 v20, v16
	s_delay_alu instid0(VALU_DEP_1) | instskip(NEXT) | instid1(VALU_DEP_1)
	v_dual_fmac_f32 v17, 0x32a5705f, v14 :: v_dual_sub_f32 v16, v16, v20
	v_add_f32_e32 v16, v16, v17
	v_cvt_i32_f32_e32 v17, v20
	s_delay_alu instid0(VALU_DEP_2) | instskip(SKIP_1) | instid1(TRANS32_DEP_1)
	v_exp_f32_e32 v16, v16
	v_nop
	v_ldexp_f32 v16, v16, v17
	s_delay_alu instid0(VALU_DEP_1) | instskip(SKIP_1) | instid1(VALU_DEP_2)
	v_cndmask_b32_e32 v16, 0, v16, vcc_lo
	v_cmp_nlt_f32_e32 vcc_lo, 0x42b17218, v14
	v_cndmask_b32_e32 v14, 0x7f800000, v16, vcc_lo
	v_sub_f32_e32 v16, v22, v2
	s_delay_alu instid0(VALU_DEP_1) | instskip(NEXT) | instid1(VALU_DEP_1)
	v_mul_f32_e32 v17, 0x3fb8aa3b, v16
	v_fma_f32 v20, 0x3fb8aa3b, v16, -v17
	v_rndne_f32_e32 v21, v17
	s_delay_alu instid0(VALU_DEP_1) | instskip(NEXT) | instid1(VALU_DEP_1)
	v_dual_fmac_f32 v20, 0x32a5705f, v16 :: v_dual_sub_f32 v17, v17, v21
	v_add_f32_e32 v17, v17, v20
	v_cvt_i32_f32_e32 v20, v21
	v_cmp_ngt_f32_e32 vcc_lo, 0xc2ce8ed0, v16
	s_delay_alu instid0(VALU_DEP_3) | instskip(SKIP_1) | instid1(TRANS32_DEP_1)
	v_exp_f32_e32 v17, v17
	v_nop
	v_ldexp_f32 v17, v17, v20
	s_delay_alu instid0(VALU_DEP_1) | instskip(SKIP_1) | instid1(VALU_DEP_2)
	v_cndmask_b32_e32 v17, 0, v17, vcc_lo
	v_cmp_nlt_f32_e32 vcc_lo, 0x42b17218, v16
	v_cndmask_b32_e32 v16, 0x7f800000, v17, vcc_lo
	v_mul_f32_e32 v17, 0x3fb8aa3b, v15
	v_cmp_ngt_f32_e32 vcc_lo, 0xc2ce8ed0, v15
	s_delay_alu instid0(VALU_DEP_2) | instskip(SKIP_1) | instid1(VALU_DEP_1)
	v_fma_f32 v20, 0x3fb8aa3b, v15, -v17
	v_rndne_f32_e32 v21, v17
	v_dual_fmac_f32 v20, 0x32a5705f, v15 :: v_dual_sub_f32 v17, v17, v21
	s_delay_alu instid0(VALU_DEP_1) | instskip(SKIP_2) | instid1(VALU_DEP_3)
	v_add_f32_e32 v17, v17, v20
	v_cvt_i32_f32_e32 v20, v21
	v_sub_f32_e32 v21, v118, v3
	v_exp_f32_e32 v17, v17
	v_nop
	s_delay_alu instid0(TRANS32_DEP_1) | instskip(NEXT) | instid1(VALU_DEP_1)
	v_ldexp_f32 v17, v17, v20
	v_cndmask_b32_e32 v17, 0, v17, vcc_lo
	v_cmp_nlt_f32_e32 vcc_lo, 0x42b17218, v15
	s_delay_alu instid0(VALU_DEP_2) | instskip(NEXT) | instid1(VALU_DEP_1)
	v_cndmask_b32_e32 v26, 0x7f800000, v17, vcc_lo
	v_cvt_f16_f32_e32 v15, v26
	s_delay_alu instid0(VALU_DEP_1) | instskip(NEXT) | instid1(VALU_DEP_1)
	v_and_b32_e32 v15, 0xffff, v15
	v_mul_u32_u24_e32 v15, 0x10001, v15
	s_delay_alu instid0(VALU_DEP_1) | instskip(SKIP_1) | instid1(VALU_DEP_1)
	v_pk_mul_f16 v20, v111, v15
	v_sub_f32_e32 v15, v23, v3
	v_mul_f32_e32 v17, 0x3fb8aa3b, v15
	v_cmp_ngt_f32_e32 vcc_lo, 0xc2ce8ed0, v15
	s_delay_alu instid0(VALU_DEP_2) | instskip(SKIP_1) | instid1(VALU_DEP_2)
	v_fma_f32 v22, 0x3fb8aa3b, v15, -v17
	v_rndne_f32_e32 v23, v17
	v_fmac_f32_e32 v22, 0x32a5705f, v15
	s_delay_alu instid0(VALU_DEP_2) | instskip(NEXT) | instid1(VALU_DEP_1)
	v_sub_f32_e32 v17, v17, v23
	v_add_f32_e32 v17, v17, v22
	v_cvt_i32_f32_e32 v22, v23
	s_delay_alu instid0(VALU_DEP_2) | instskip(SKIP_1) | instid1(TRANS32_DEP_1)
	v_exp_f32_e32 v17, v17
	v_nop
	v_ldexp_f32 v17, v17, v22
	s_delay_alu instid0(VALU_DEP_1) | instskip(SKIP_1) | instid1(VALU_DEP_2)
	v_cndmask_b32_e32 v17, 0, v17, vcc_lo
	v_cmp_nlt_f32_e32 vcc_lo, 0x42b17218, v15
	v_cndmask_b32_e32 v15, 0x7f800000, v17, vcc_lo
	v_sub_f32_e32 v17, v24, v3
	s_delay_alu instid0(VALU_DEP_1) | instskip(SKIP_1) | instid1(VALU_DEP_2)
	v_mul_f32_e32 v22, 0x3fb8aa3b, v17
	v_cmp_ngt_f32_e32 vcc_lo, 0xc2ce8ed0, v17
	v_fma_f32 v23, 0x3fb8aa3b, v17, -v22
	v_rndne_f32_e32 v24, v22
	s_delay_alu instid0(VALU_DEP_1) | instskip(NEXT) | instid1(VALU_DEP_1)
	v_dual_fmac_f32 v23, 0x32a5705f, v17 :: v_dual_sub_f32 v22, v22, v24
	v_add_f32_e32 v22, v22, v23
	v_cvt_i32_f32_e32 v23, v24
	s_delay_alu instid0(VALU_DEP_2) | instskip(SKIP_1) | instid1(TRANS32_DEP_1)
	v_exp_f32_e32 v22, v22
	v_nop
	v_ldexp_f32 v22, v22, v23
	s_delay_alu instid0(VALU_DEP_1) | instskip(SKIP_1) | instid1(VALU_DEP_2)
	v_cndmask_b32_e32 v22, 0, v22, vcc_lo
	v_cmp_nlt_f32_e32 vcc_lo, 0x42b17218, v17
	v_cndmask_b32_e32 v17, 0x7f800000, v22, vcc_lo
	v_mul_f32_e32 v22, 0x3fb8aa3b, v21
	v_cmp_ngt_f32_e32 vcc_lo, 0xc2ce8ed0, v21
	s_delay_alu instid0(VALU_DEP_2) | instskip(SKIP_1) | instid1(VALU_DEP_1)
	v_fma_f32 v23, 0x3fb8aa3b, v21, -v22
	v_rndne_f32_e32 v24, v22
	v_dual_fmac_f32 v23, 0x32a5705f, v21 :: v_dual_sub_f32 v22, v22, v24
	s_delay_alu instid0(VALU_DEP_1) | instskip(SKIP_1) | instid1(VALU_DEP_2)
	v_add_f32_e32 v22, v22, v23
	v_cvt_i32_f32_e32 v23, v24
	v_exp_f32_e32 v22, v22
	v_nop
	s_delay_alu instid0(TRANS32_DEP_1) | instskip(NEXT) | instid1(VALU_DEP_1)
	v_ldexp_f32 v22, v22, v23
	v_dual_sub_f32 v23, v25, v4 :: v_dual_cndmask_b32 v22, 0, v22
	s_delay_alu instid0(VALU_DEP_1) | instskip(SKIP_1) | instid1(VALU_DEP_2)
	v_mul_f32_e32 v24, 0x3fb8aa3b, v23
	v_cmp_nlt_f32_e32 vcc_lo, 0x42b17218, v21
	v_fma_f32 v25, 0x3fb8aa3b, v23, -v24
	v_rndne_f32_e32 v30, v24
	v_cndmask_b32_e32 v27, 0x7f800000, v22, vcc_lo
	v_cmp_ngt_f32_e32 vcc_lo, 0xc2ce8ed0, v23
	s_delay_alu instid0(VALU_DEP_4) | instskip(NEXT) | instid1(VALU_DEP_4)
	v_dual_sub_f32 v22, v117, v4 :: v_dual_fmac_f32 v25, 0x32a5705f, v23
	v_sub_f32_e32 v24, v24, v30
	s_delay_alu instid0(VALU_DEP_1) | instskip(SKIP_1) | instid1(VALU_DEP_2)
	v_add_f32_e32 v24, v24, v25
	v_cvt_i32_f32_e32 v25, v30
	v_exp_f32_e32 v24, v24
	v_nop
	s_delay_alu instid0(TRANS32_DEP_1) | instskip(NEXT) | instid1(VALU_DEP_1)
	v_ldexp_f32 v24, v24, v25
	v_cndmask_b32_e32 v24, 0, v24, vcc_lo
	v_cmp_nlt_f32_e32 vcc_lo, 0x42b17218, v23
	v_sub_f32_e32 v23, v28, v4
	s_delay_alu instid0(VALU_DEP_3) | instskip(NEXT) | instid1(VALU_DEP_2)
	v_cndmask_b32_e32 v30, 0x7f800000, v24, vcc_lo
	v_mul_f32_e32 v24, 0x3fb8aa3b, v23
	v_cmp_ngt_f32_e32 vcc_lo, 0xc2ce8ed0, v23
	s_delay_alu instid0(VALU_DEP_2) | instskip(SKIP_1) | instid1(VALU_DEP_1)
	v_fma_f32 v25, 0x3fb8aa3b, v23, -v24
	v_rndne_f32_e32 v28, v24
	v_dual_fmac_f32 v25, 0x32a5705f, v23 :: v_dual_sub_f32 v24, v24, v28
	v_cvt_f16_f32_e32 v21, v27
	s_delay_alu instid0(VALU_DEP_2) | instskip(SKIP_1) | instid1(VALU_DEP_3)
	v_add_f32_e32 v24, v24, v25
	v_cvt_i32_f32_e32 v25, v28
	v_and_b32_e32 v21, 0xffff, v21
	s_delay_alu instid0(VALU_DEP_3) | instskip(NEXT) | instid1(VALU_DEP_1)
	v_exp_f32_e32 v24, v24
	v_mul_u32_u24_e32 v21, 0x10001, v21
	s_delay_alu instid0(VALU_DEP_1) | instskip(SKIP_1) | instid1(TRANS32_DEP_1)
	v_pk_mul_f16 v21, v110, v21
	v_pk_add_f32 v[110:111], v[14:15], v[16:17]
	v_ldexp_f32 v24, v24, v25
	s_delay_alu instid0(VALU_DEP_2) | instskip(SKIP_2) | instid1(VALU_DEP_4)
	v_pk_fma_f32 v[44:45], v[44:45], v[26:27], v[110:111]
	v_cvt_pk_f16_f32 v26, v8, v9
	v_cvt_pk_f16_f32 v27, v14, v15
	v_cndmask_b32_e32 v24, 0, v24, vcc_lo
	v_cmp_nlt_f32_e32 vcc_lo, 0x42b17218, v23
	v_mul_f32_e32 v23, 0x3fb8aa3b, v22
	s_delay_alu instid0(VALU_DEP_3) | instskip(NEXT) | instid1(VALU_DEP_2)
	v_cndmask_b32_e32 v32, 0x7f800000, v24, vcc_lo
	v_fma_f32 v24, 0x3fb8aa3b, v22, -v23
	v_rndne_f32_e32 v25, v23
	v_cmp_ngt_f32_e32 vcc_lo, 0xc2ce8ed0, v22
	s_delay_alu instid0(VALU_DEP_2) | instskip(NEXT) | instid1(VALU_DEP_1)
	v_dual_fmac_f32 v24, 0x32a5705f, v22 :: v_dual_sub_f32 v23, v23, v25
	v_add_f32_e32 v23, v23, v24
	v_cvt_i32_f32_e32 v24, v25
	s_delay_alu instid0(VALU_DEP_2) | instskip(SKIP_1) | instid1(TRANS32_DEP_1)
	v_exp_f32_e32 v23, v23
	v_nop
	v_ldexp_f32 v23, v23, v24
	s_delay_alu instid0(VALU_DEP_1) | instskip(NEXT) | instid1(VALU_DEP_1)
	v_dual_sub_f32 v24, v29, v5 :: v_dual_cndmask_b32 v23, 0, v23
	v_mul_f32_e32 v25, 0x3fb8aa3b, v24
	v_cmp_nlt_f32_e32 vcc_lo, 0x42b17218, v22
	s_delay_alu instid0(VALU_DEP_2) | instskip(SKIP_1) | instid1(VALU_DEP_2)
	v_fma_f32 v29, 0x3fb8aa3b, v24, -v25
	v_rndne_f32_e32 v31, v25
	v_fmac_f32_e32 v29, 0x32a5705f, v24
	s_delay_alu instid0(VALU_DEP_2) | instskip(SKIP_3) | instid1(VALU_DEP_4)
	v_sub_f32_e32 v25, v25, v31
	v_cndmask_b32_e32 v28, 0x7f800000, v23, vcc_lo
	v_cmp_ngt_f32_e32 vcc_lo, 0xc2ce8ed0, v24
	v_sub_f32_e32 v23, v116, v5
	v_add_f32_e32 v25, v25, v29
	v_cvt_i32_f32_e32 v29, v31
	v_cvt_f16_f32_e32 v22, v28
	s_delay_alu instid0(VALU_DEP_3) | instskip(NEXT) | instid1(VALU_DEP_1)
	v_exp_f32_e32 v25, v25
	v_and_b32_e32 v22, 0xffff, v22
	s_delay_alu instid0(VALU_DEP_1) | instskip(NEXT) | instid1(TRANS32_DEP_1)
	v_mul_u32_u24_e32 v22, 0x10001, v22
	v_ldexp_f32 v25, v25, v29
	s_delay_alu instid0(VALU_DEP_2) | instskip(NEXT) | instid1(VALU_DEP_2)
	v_pk_mul_f16 v22, v109, v22
	v_cndmask_b32_e32 v25, 0, v25, vcc_lo
	v_cmp_nlt_f32_e32 vcc_lo, 0x42b17218, v24
	v_sub_f32_e32 v24, v33, v5
	s_delay_alu instid0(VALU_DEP_3) | instskip(NEXT) | instid1(VALU_DEP_2)
	v_cndmask_b32_e32 v31, 0x7f800000, v25, vcc_lo
	v_mul_f32_e32 v25, 0x3fb8aa3b, v24
	v_cmp_ngt_f32_e32 vcc_lo, 0xc2ce8ed0, v24
	s_delay_alu instid0(VALU_DEP_2) | instskip(SKIP_1) | instid1(VALU_DEP_2)
	v_fma_f32 v29, 0x3fb8aa3b, v24, -v25
	v_rndne_f32_e32 v33, v25
	v_fmac_f32_e32 v29, 0x32a5705f, v24
	s_delay_alu instid0(VALU_DEP_2) | instskip(NEXT) | instid1(VALU_DEP_1)
	v_sub_f32_e32 v25, v25, v33
	v_add_f32_e32 v25, v25, v29
	v_cvt_i32_f32_e32 v29, v33
	s_delay_alu instid0(VALU_DEP_2) | instskip(SKIP_1) | instid1(TRANS32_DEP_1)
	v_exp_f32_e32 v25, v25
	v_nop
	v_ldexp_f32 v25, v25, v29
	s_delay_alu instid0(VALU_DEP_1) | instskip(SKIP_2) | instid1(VALU_DEP_3)
	v_cndmask_b32_e32 v25, 0, v25, vcc_lo
	v_cmp_nlt_f32_e32 vcc_lo, 0x42b17218, v24
	v_mul_f32_e32 v24, 0x3fb8aa3b, v23
	v_cndmask_b32_e32 v33, 0x7f800000, v25, vcc_lo
	s_delay_alu instid0(VALU_DEP_2) | instskip(SKIP_2) | instid1(VALU_DEP_4)
	v_fma_f32 v25, 0x3fb8aa3b, v23, -v24
	v_rndne_f32_e32 v29, v24
	v_cmp_ngt_f32_e32 vcc_lo, 0xc2ce8ed0, v23
	v_cvt_pk_f16_f32 v14, v32, v33
	s_delay_alu instid0(VALU_DEP_3) | instskip(NEXT) | instid1(VALU_DEP_1)
	v_dual_fmac_f32 v25, 0x32a5705f, v23 :: v_dual_sub_f32 v24, v24, v29
	v_add_f32_e32 v24, v24, v25
	v_cvt_i32_f32_e32 v25, v29
	s_delay_alu instid0(VALU_DEP_2) | instskip(SKIP_1) | instid1(TRANS32_DEP_1)
	v_exp_f32_e32 v24, v24
	v_nop
	v_ldexp_f32 v24, v24, v25
	s_delay_alu instid0(VALU_DEP_1) | instskip(NEXT) | instid1(VALU_DEP_1)
	v_dual_sub_f32 v25, v34, v6 :: v_dual_cndmask_b32 v24, 0, v24
	v_mul_f32_e32 v34, 0x3fb8aa3b, v25
	v_cmp_nlt_f32_e32 vcc_lo, 0x42b17218, v23
	s_delay_alu instid0(VALU_DEP_2)
	v_fma_f32 v36, 0x3fb8aa3b, v25, -v34
	v_rndne_f32_e32 v38, v34
	v_cndmask_b32_e32 v29, 0x7f800000, v24, vcc_lo
	v_cmp_ngt_f32_e32 vcc_lo, 0xc2ce8ed0, v25
	v_sub_f32_e32 v24, v115, v6
	v_pk_add_f32 v[112:113], v[30:31], v[32:33]
	v_fmac_f32_e32 v36, 0x32a5705f, v25
	v_sub_f32_e32 v34, v34, v38
	v_cvt_f16_f32_e32 v23, v29
	s_delay_alu instid0(VALU_DEP_4) | instskip(SKIP_1) | instid1(VALU_DEP_4)
	v_pk_fma_f32 v[42:43], v[42:43], v[28:29], v[112:113]
	v_cvt_pk_f16_f32 v28, v30, v31
	v_add_f32_e32 v34, v34, v36
	v_cvt_i32_f32_e32 v36, v38
	v_and_b32_e32 v23, 0xffff, v23
	s_delay_alu instid0(VALU_DEP_3) | instskip(NEXT) | instid1(VALU_DEP_1)
	v_exp_f32_e32 v34, v34
	v_mul_u32_u24_e32 v23, 0x10001, v23
	s_delay_alu instid0(VALU_DEP_1) | instskip(NEXT) | instid1(TRANS32_DEP_1)
	v_pk_mul_f16 v23, v108, v23
	v_ldexp_f32 v34, v34, v36
	s_delay_alu instid0(VALU_DEP_1) | instskip(SKIP_2) | instid1(VALU_DEP_3)
	v_cndmask_b32_e32 v34, 0, v34, vcc_lo
	v_cmp_nlt_f32_e32 vcc_lo, 0x42b17218, v25
	v_sub_f32_e32 v25, v35, v6
	v_cndmask_b32_e32 v34, 0x7f800000, v34, vcc_lo
	s_delay_alu instid0(VALU_DEP_2) | instskip(SKIP_1) | instid1(VALU_DEP_2)
	v_mul_f32_e32 v35, 0x3fb8aa3b, v25
	v_cmp_ngt_f32_e32 vcc_lo, 0xc2ce8ed0, v25
	v_fma_f32 v36, 0x3fb8aa3b, v25, -v35
	v_rndne_f32_e32 v38, v35
	s_delay_alu instid0(VALU_DEP_1) | instskip(NEXT) | instid1(VALU_DEP_1)
	v_dual_fmac_f32 v36, 0x32a5705f, v25 :: v_dual_sub_f32 v35, v35, v38
	v_add_f32_e32 v35, v35, v36
	v_cvt_i32_f32_e32 v36, v38
	s_delay_alu instid0(VALU_DEP_2) | instskip(SKIP_1) | instid1(TRANS32_DEP_1)
	v_exp_f32_e32 v35, v35
	v_nop
	v_ldexp_f32 v35, v35, v36
	s_delay_alu instid0(VALU_DEP_1) | instskip(SKIP_2) | instid1(VALU_DEP_3)
	v_cndmask_b32_e32 v35, 0, v35, vcc_lo
	v_cmp_nlt_f32_e32 vcc_lo, 0x42b17218, v25
	v_mul_f32_e32 v25, 0x3fb8aa3b, v24
	v_cndmask_b32_e32 v36, 0x7f800000, v35, vcc_lo
	s_delay_alu instid0(VALU_DEP_2) | instskip(SKIP_2) | instid1(VALU_DEP_3)
	v_fma_f32 v35, 0x3fb8aa3b, v24, -v25
	v_rndne_f32_e32 v38, v25
	v_cmp_ngt_f32_e32 vcc_lo, 0xc2ce8ed0, v24
	v_fmac_f32_e32 v35, 0x32a5705f, v24
	s_delay_alu instid0(VALU_DEP_3) | instskip(NEXT) | instid1(VALU_DEP_1)
	v_sub_f32_e32 v25, v25, v38
	v_add_f32_e32 v25, v25, v35
	v_cvt_i32_f32_e32 v35, v38
	s_delay_alu instid0(VALU_DEP_2) | instskip(SKIP_1) | instid1(TRANS32_DEP_1)
	v_exp_f32_e32 v25, v25
	v_nop
	v_ldexp_f32 v25, v25, v35
	s_delay_alu instid0(VALU_DEP_1) | instskip(SKIP_1) | instid1(VALU_DEP_2)
	v_dual_sub_f32 v35, v37, v7 :: v_dual_cndmask_b32 v25, 0, v25, vcc_lo
	v_cmp_nlt_f32_e32 vcc_lo, 0x42b17218, v24
	v_mul_f32_e32 v37, 0x3fb8aa3b, v35
	s_delay_alu instid0(VALU_DEP_3) | instskip(SKIP_1) | instid1(VALU_DEP_3)
	v_dual_cndmask_b32 v38, 0x7f800000, v25 :: v_dual_sub_f32 v25, v114, v7
	v_cmp_ngt_f32_e32 vcc_lo, 0xc2ce8ed0, v35
	v_rndne_f32_e32 v108, v37
	s_delay_alu instid0(VALU_DEP_3) | instskip(NEXT) | instid1(VALU_DEP_1)
	v_cvt_f16_f32_e32 v24, v38
	v_and_b32_e32 v24, 0xffff, v24
	s_delay_alu instid0(VALU_DEP_1) | instskip(NEXT) | instid1(VALU_DEP_1)
	v_mul_u32_u24_e32 v24, 0x10001, v24
	v_pk_mul_f16 v24, v107, v24
	v_fma_f32 v107, 0x3fb8aa3b, v35, -v37
	v_sub_f32_e32 v37, v37, v108
	s_delay_alu instid0(VALU_DEP_2) | instskip(NEXT) | instid1(VALU_DEP_1)
	v_fmac_f32_e32 v107, 0x32a5705f, v35
	v_add_f32_e32 v37, v37, v107
	v_cvt_i32_f32_e32 v107, v108
	s_delay_alu instid0(VALU_DEP_2) | instskip(SKIP_1) | instid1(TRANS32_DEP_1)
	v_exp_f32_e32 v37, v37
	v_nop
	v_ldexp_f32 v37, v37, v107
	s_delay_alu instid0(VALU_DEP_1) | instskip(SKIP_1) | instid1(VALU_DEP_2)
	v_cndmask_b32_e32 v37, 0, v37, vcc_lo
	v_cmp_nlt_f32_e32 vcc_lo, 0x42b17218, v35
	v_cndmask_b32_e32 v35, 0x7f800000, v37, vcc_lo
	v_sub_f32_e32 v37, v39, v7
	s_delay_alu instid0(VALU_DEP_2) | instskip(NEXT) | instid1(VALU_DEP_2)
	v_cvt_pk_f16_f32 v29, v34, v35
	v_mul_f32_e32 v39, 0x3fb8aa3b, v37
	v_cmp_ngt_f32_e32 vcc_lo, 0xc2ce8ed0, v37
	s_delay_alu instid0(VALU_DEP_2) | instskip(SKIP_1) | instid1(VALU_DEP_2)
	v_fma_f32 v107, 0x3fb8aa3b, v37, -v39
	v_rndne_f32_e32 v108, v39
	v_fmac_f32_e32 v107, 0x32a5705f, v37
	s_delay_alu instid0(VALU_DEP_2) | instskip(NEXT) | instid1(VALU_DEP_1)
	v_sub_f32_e32 v39, v39, v108
	v_add_f32_e32 v39, v39, v107
	v_cvt_i32_f32_e32 v107, v108
	s_delay_alu instid0(VALU_DEP_2) | instskip(SKIP_1) | instid1(TRANS32_DEP_1)
	v_exp_f32_e32 v39, v39
	v_nop
	v_ldexp_f32 v39, v39, v107
	s_delay_alu instid0(VALU_DEP_1) | instskip(SKIP_1) | instid1(VALU_DEP_2)
	v_cndmask_b32_e32 v39, 0, v39, vcc_lo
	v_cmp_nlt_f32_e32 vcc_lo, 0x42b17218, v37
	v_cndmask_b32_e32 v37, 0x7f800000, v39, vcc_lo
	v_mul_f32_e32 v39, 0x3fb8aa3b, v25
	v_cmp_ngt_f32_e32 vcc_lo, 0xc2ce8ed0, v25
	s_delay_alu instid0(VALU_DEP_3) | instskip(NEXT) | instid1(VALU_DEP_3)
	v_cvt_pk_f16_f32 v15, v36, v37
	v_fma_f32 v107, 0x3fb8aa3b, v25, -v39
	v_rndne_f32_e32 v108, v39
	v_pk_add_f32 v[114:115], v[34:35], v[36:37]
	s_delay_alu instid0(VALU_DEP_3) | instskip(NEXT) | instid1(VALU_DEP_3)
	v_fmac_f32_e32 v107, 0x32a5705f, v25
	v_sub_f32_e32 v39, v39, v108
	s_delay_alu instid0(VALU_DEP_1) | instskip(SKIP_3) | instid1(VALU_DEP_4)
	v_add_f32_e32 v39, v39, v107
	v_cvt_i32_f32_e32 v107, v108
	v_pk_add_f32 v[108:109], v[8:9], v[10:11]
	v_lshl_add_u64 v[8:9], v[56:57], 2, s[24:25]
	v_exp_f32_e32 v39, v39
	s_delay_alu instid0(VALU_DEP_2) | instskip(SKIP_1) | instid1(TRANS32_DEP_1)
	v_pk_fma_f32 v[46:47], v[46:47], v[12:13], v[108:109]
	v_cvt_pk_f16_f32 v13, v16, v17
	v_ldexp_f32 v39, v39, v107
	s_delay_alu instid0(VALU_DEP_1) | instskip(SKIP_1) | instid1(VALU_DEP_2)
	v_cndmask_b32_e32 v39, 0, v39, vcc_lo
	v_cmp_nlt_f32_e32 vcc_lo, 0x42b17218, v25
	v_cndmask_b32_e32 v39, 0x7f800000, v39, vcc_lo
	s_delay_alu instid0(VALU_DEP_1) | instskip(NEXT) | instid1(VALU_DEP_1)
	v_cvt_f16_f32_e32 v12, v39
	v_and_b32_e32 v12, 0xffff, v12
	s_delay_alu instid0(VALU_DEP_1) | instskip(NEXT) | instid1(VALU_DEP_1)
	v_mul_u32_u24_e32 v12, 0x10001, v12
	v_pk_mul_f16 v25, v106, v12
	v_cvt_pk_f16_f32 v12, v10, v11
	v_add_nc_u64_e32 v[10:11], v[8:9], v[48:49]
	v_lshl_add_u64 v[8:9], v[60:61], 2, s[24:25]
	ds_store_b128 v98, v[26:29]
	ds_store_b128 v98, v[12:15] offset:512
	v_lshl_add_u64 v[12:13], v[62:63], 2, s[24:25]
	v_add_nc_u64_e32 v[8:9], v[8:9], v[48:49]
	v_lshl_add_u64 v[14:15], v[64:65], 2, s[24:25]
	global_load_b128 v[26:29], v[10:11], off
	v_add_nc_u64_e32 v[12:13], v[12:13], v[48:49]
	v_add_nc_u64_e32 v[14:15], v[14:15], v[48:49]
	global_load_b128 v[8:11], v[8:9], off
	s_wait_loadcnt 0x1
	ds_store_b128 v93, v[26:29]
	s_wait_loadcnt 0x0
	ds_store_b128 v95, v[8:11]
	global_load_b128 v[8:11], v[12:13], off
	s_wait_loadcnt 0x0
	ds_store_b128 v96, v[8:11]
	global_load_b128 v[8:11], v[14:15], off
	s_wait_loadcnt 0x0
	ds_store_b128 v97, v[8:11]
	s_wait_dscnt 0x0
	s_barrier_signal -1
	s_barrier_wait -1
	ds_load_2addr_b32 v[16:17], v84 offset1:32
	ds_load_b128 v[8:11], v94
	ds_load_b128 v[12:15], v94 offset:16
	ds_load_b128 v[26:29], v94 offset:32
	;; [unrolled: 1-line block ×3, first 2 shown]
	s_wait_dscnt 0x3
	v_dual_lshrrev_b32 v34, 16, v8 :: v_dual_lshrrev_b32 v35, 16, v9
	v_lshrrev_b32_e32 v36, 16, v10
	v_and_b32_e32 v8, 0xffff, v8
	v_and_b32_e32 v10, 0xffff, v10
	;; [unrolled: 1-line block ×3, first 2 shown]
	v_lshrrev_b32_e32 v37, 16, v11
	v_and_b32_e32 v11, 0xffff, v11
	v_mul_u32_u24_e32 v8, 0x10001, v8
	v_mul_u32_u24_e32 v34, 0x10001, v34
	;; [unrolled: 1-line block ×7, first 2 shown]
	v_pk_fma_f16 v8, v16, v8, v18
	v_pk_fma_f16 v18, v16, v34, v19
	;; [unrolled: 1-line block ×4, first 2 shown]
	s_wait_dscnt 0x2
	v_dual_lshrrev_b32 v21, 16, v12 :: v_dual_lshrrev_b32 v22, 16, v13
	v_and_b32_e32 v12, 0xffff, v12
	v_and_b32_e32 v13, 0xffff, v13
	v_pk_fma_f16 v9, v16, v9, v20
	v_pk_fma_f16 v20, v16, v36, v23
	;; [unrolled: 1-line block ×3, first 2 shown]
	v_dual_lshrrev_b32 v23, 16, v14 :: v_dual_lshrrev_b32 v24, 16, v15
	v_and_b32_e32 v14, 0xffff, v14
	v_and_b32_e32 v15, 0xffff, v15
	v_mul_u32_u24_e32 v12, 0x10001, v12
	v_mul_u32_u24_e32 v21, 0x10001, v21
	;; [unrolled: 1-line block ×8, first 2 shown]
	v_pk_fma_f16 v12, v17, v12, v8
	v_pk_fma_f16 v18, v17, v21, v18
	;; [unrolled: 1-line block ×3, first 2 shown]
	ds_load_2addr_b32 v[8:9], v84 offset0:64 offset1:96
	s_wait_dscnt 0x2
	v_lshrrev_b32_e32 v21, 16, v29
	v_mul_u32_u24_e32 v37, 0x10001, v37
	v_pk_fma_f16 v19, v17, v22, v19
	v_pk_fma_f16 v10, v17, v14, v10
	;; [unrolled: 1-line block ×4, first 2 shown]
	v_lshrrev_b32_e32 v20, 16, v28
	v_and_b32_e32 v22, 0xffff, v26
	v_and_b32_e32 v23, 0xffff, v27
	v_pk_fma_f16 v16, v16, v37, v25
	v_and_b32_e32 v25, 0xffff, v29
	v_mul_u32_u24_e32 v20, 0x10001, v20
	v_mul_u32_u24_e32 v22, 0x10001, v22
	;; [unrolled: 1-line block ×4, first 2 shown]
	v_pk_fma_f16 v15, v17, v24, v16
	v_dual_lshrrev_b32 v16, 16, v26 :: v_dual_lshrrev_b32 v17, 16, v27
	v_and_b32_e32 v24, 0xffff, v28
	v_mul_u32_u24_e32 v25, 0x10001, v25
	s_wait_dscnt 0x0
	v_pk_fma_f16 v12, v8, v22, v12
	v_mul_u32_u24_e32 v16, 0x10001, v16
	v_mul_u32_u24_e32 v17, 0x10001, v17
	;; [unrolled: 1-line block ×3, first 2 shown]
	v_pk_fma_f16 v13, v8, v23, v13
	v_pk_fma_f16 v14, v8, v20, v14
	;; [unrolled: 1-line block ×7, first 2 shown]
	v_dual_lshrrev_b32 v15, 16, v30 :: v_dual_lshrrev_b32 v18, 16, v31
	v_dual_lshrrev_b32 v19, 16, v32 :: v_dual_lshrrev_b32 v20, 16, v33
	v_and_b32_e32 v21, 0xffff, v30
	v_and_b32_e32 v22, 0xffff, v31
	;; [unrolled: 1-line block ×4, first 2 shown]
	v_mul_u32_u24_e32 v15, 0x10001, v15
	v_mul_u32_u24_e32 v21, 0x10001, v21
	;; [unrolled: 1-line block ×8, first 2 shown]
	v_pk_fma_f16 v21, v9, v21, v12
	v_pk_fma_f16 v15, v9, v15, v16
	;; [unrolled: 1-line block ×8, first 2 shown]
	ds_load_2addr_b32 v[8:9], v84 offset0:128 offset1:160
	ds_load_b128 v[10:13], v94 offset:64
	s_wait_dscnt 0x0
	v_dual_lshrrev_b32 v22, 16, v10 :: v_dual_lshrrev_b32 v23, 16, v11
	v_dual_lshrrev_b32 v24, 16, v12 :: v_dual_lshrrev_b32 v25, 16, v13
	v_and_b32_e32 v10, 0xffff, v10
	v_and_b32_e32 v11, 0xffff, v11
	;; [unrolled: 1-line block ×4, first 2 shown]
	v_mul_u32_u24_e32 v23, 0x10001, v23
	v_mul_u32_u24_e32 v10, 0x10001, v10
	;; [unrolled: 1-line block ×7, first 2 shown]
	v_pk_fma_f16 v21, v8, v10, v21
	v_pk_fma_f16 v16, v8, v11, v16
	;; [unrolled: 1-line block ×4, first 2 shown]
	ds_load_b128 v[10:13], v94 offset:80
	v_pk_fma_f16 v17, v8, v23, v17
	v_pk_fma_f16 v15, v8, v22, v15
	;; [unrolled: 1-line block ×3, first 2 shown]
	s_wait_dscnt 0x0
	v_lshrrev_b32_e32 v23, 16, v12
	v_mul_u32_u24_e32 v25, 0x10001, v25
	v_dual_lshrrev_b32 v22, 16, v11 :: v_dual_lshrrev_b32 v24, 16, v13
	v_and_b32_e32 v11, 0xffff, v11
	v_and_b32_e32 v12, 0xffff, v12
	;; [unrolled: 1-line block ×3, first 2 shown]
	v_pk_fma_f32 v[40:41], v[40:41], v[38:39], v[114:115]
	v_pk_fma_f16 v8, v8, v25, v20
	v_lshrrev_b32_e32 v20, 16, v10
	v_and_b32_e32 v10, 0xffff, v10
	v_mul_u32_u24_e32 v11, 0x10001, v11
	v_mul_u32_u24_e32 v22, 0x10001, v22
	;; [unrolled: 1-line block ×8, first 2 shown]
	v_pk_fma_f16 v16, v9, v11, v16
	v_pk_fma_f16 v17, v9, v22, v17
	;; [unrolled: 1-line block ×8, first 2 shown]
	ds_load_2addr_b32 v[12:13], v84 offset0:192 offset1:224
	ds_load_b128 v[8:11], v94 offset:96
	s_wait_dscnt 0x0
	v_dual_lshrrev_b32 v22, 16, v8 :: v_dual_lshrrev_b32 v23, 16, v9
	v_dual_lshrrev_b32 v24, 16, v10 :: v_dual_lshrrev_b32 v25, 16, v11
	v_and_b32_e32 v8, 0xffff, v8
	v_and_b32_e32 v9, 0xffff, v9
	;; [unrolled: 1-line block ×4, first 2 shown]
	v_mul_u32_u24_e32 v22, 0x10001, v22
	v_mul_u32_u24_e32 v8, 0x10001, v8
	;; [unrolled: 1-line block ×8, first 2 shown]
	v_pk_fma_f16 v21, v12, v8, v21
	v_pk_fma_f16 v16, v12, v9, v16
	;; [unrolled: 1-line block ×4, first 2 shown]
	ds_load_b128 v[8:11], v94 offset:112
	v_pk_fma_f16 v15, v12, v22, v15
	v_pk_fma_f16 v17, v12, v23, v17
	;; [unrolled: 1-line block ×4, first 2 shown]
	s_wait_dscnt 0x0
	v_dual_lshrrev_b32 v20, 16, v8 :: v_dual_lshrrev_b32 v22, 16, v9
	v_dual_lshrrev_b32 v23, 16, v10 :: v_dual_lshrrev_b32 v24, 16, v11
	v_and_b32_e32 v8, 0xffff, v8
	v_and_b32_e32 v9, 0xffff, v9
	v_and_b32_e32 v10, 0xffff, v10
	v_and_b32_e32 v11, 0xffff, v11
	v_mul_u32_u24_e32 v20, 0x10001, v20
	v_mul_u32_u24_e32 v8, 0x10001, v8
	;; [unrolled: 1-line block ×8, first 2 shown]
	v_pk_fma_f16 v21, v13, v8, v21
	v_pk_fma_f16 v15, v13, v20, v15
	;; [unrolled: 1-line block ×8, first 2 shown]
	ds_load_2addr_b32 v[12:13], v99 offset1:32
	ds_load_b128 v[8:11], v94 offset:128
	s_wait_dscnt 0x0
	v_dual_lshrrev_b32 v22, 16, v8 :: v_dual_lshrrev_b32 v23, 16, v9
	v_dual_lshrrev_b32 v24, 16, v10 :: v_dual_lshrrev_b32 v25, 16, v11
	v_and_b32_e32 v8, 0xffff, v8
	v_and_b32_e32 v9, 0xffff, v9
	;; [unrolled: 1-line block ×4, first 2 shown]
	v_mul_u32_u24_e32 v22, 0x10001, v22
	v_mul_u32_u24_e32 v8, 0x10001, v8
	;; [unrolled: 1-line block ×8, first 2 shown]
	v_pk_fma_f16 v21, v12, v8, v21
	v_pk_fma_f16 v16, v12, v9, v16
	;; [unrolled: 1-line block ×4, first 2 shown]
	ds_load_b128 v[8:11], v94 offset:144
	v_pk_fma_f16 v15, v12, v22, v15
	v_pk_fma_f16 v17, v12, v23, v17
	;; [unrolled: 1-line block ×4, first 2 shown]
	s_wait_dscnt 0x0
	v_dual_lshrrev_b32 v20, 16, v8 :: v_dual_lshrrev_b32 v22, 16, v9
	v_dual_lshrrev_b32 v23, 16, v10 :: v_dual_lshrrev_b32 v24, 16, v11
	v_and_b32_e32 v8, 0xffff, v8
	v_and_b32_e32 v9, 0xffff, v9
	;; [unrolled: 1-line block ×4, first 2 shown]
	v_mul_u32_u24_e32 v20, 0x10001, v20
	v_mul_u32_u24_e32 v8, 0x10001, v8
	;; [unrolled: 1-line block ×8, first 2 shown]
	v_pk_fma_f16 v21, v13, v8, v21
	v_pk_fma_f16 v15, v13, v20, v15
	;; [unrolled: 1-line block ×8, first 2 shown]
	ds_load_2addr_b32 v[12:13], v99 offset0:64 offset1:96
	ds_load_b128 v[8:11], v94 offset:160
	s_wait_dscnt 0x0
	v_dual_lshrrev_b32 v22, 16, v8 :: v_dual_lshrrev_b32 v23, 16, v9
	v_dual_lshrrev_b32 v24, 16, v10 :: v_dual_lshrrev_b32 v25, 16, v11
	v_and_b32_e32 v8, 0xffff, v8
	v_and_b32_e32 v9, 0xffff, v9
	;; [unrolled: 1-line block ×4, first 2 shown]
	v_mul_u32_u24_e32 v22, 0x10001, v22
	v_mul_u32_u24_e32 v8, 0x10001, v8
	;; [unrolled: 1-line block ×8, first 2 shown]
	v_pk_fma_f16 v21, v12, v8, v21
	v_pk_fma_f16 v16, v12, v9, v16
	;; [unrolled: 1-line block ×4, first 2 shown]
	ds_load_b128 v[8:11], v94 offset:176
	v_pk_fma_f16 v15, v12, v22, v15
	v_pk_fma_f16 v17, v12, v23, v17
	;; [unrolled: 1-line block ×4, first 2 shown]
	s_wait_dscnt 0x0
	v_dual_lshrrev_b32 v20, 16, v8 :: v_dual_lshrrev_b32 v22, 16, v9
	v_dual_lshrrev_b32 v23, 16, v10 :: v_dual_lshrrev_b32 v24, 16, v11
	v_and_b32_e32 v8, 0xffff, v8
	v_and_b32_e32 v9, 0xffff, v9
	;; [unrolled: 1-line block ×4, first 2 shown]
	v_mul_u32_u24_e32 v20, 0x10001, v20
	v_mul_u32_u24_e32 v8, 0x10001, v8
	;; [unrolled: 1-line block ×8, first 2 shown]
	v_pk_fma_f16 v21, v13, v8, v21
	v_pk_fma_f16 v15, v13, v20, v15
	;; [unrolled: 1-line block ×8, first 2 shown]
	ds_load_2addr_b32 v[12:13], v99 offset0:128 offset1:160
	ds_load_b128 v[8:11], v94 offset:192
	s_wait_dscnt 0x0
	v_dual_lshrrev_b32 v22, 16, v8 :: v_dual_lshrrev_b32 v23, 16, v9
	v_dual_lshrrev_b32 v24, 16, v10 :: v_dual_lshrrev_b32 v25, 16, v11
	v_and_b32_e32 v8, 0xffff, v8
	v_and_b32_e32 v9, 0xffff, v9
	;; [unrolled: 1-line block ×4, first 2 shown]
	v_mul_u32_u24_e32 v22, 0x10001, v22
	v_mul_u32_u24_e32 v8, 0x10001, v8
	;; [unrolled: 1-line block ×6, first 2 shown]
	v_pk_fma_f16 v21, v12, v8, v21
	v_pk_fma_f16 v16, v12, v9, v16
	v_pk_fma_f16 v18, v12, v10, v18
	v_pk_fma_f16 v19, v12, v11, v19
	ds_load_b128 v[8:11], v94 offset:208
	v_mul_u32_u24_e32 v24, 0x10001, v24
	v_mul_u32_u24_e32 v25, 0x10001, v25
	v_pk_fma_f16 v15, v12, v22, v15
	v_pk_fma_f16 v17, v12, v23, v17
	s_delay_alu instid0(VALU_DEP_4) | instskip(NEXT) | instid1(VALU_DEP_4)
	v_pk_fma_f16 v14, v12, v24, v14
	v_pk_fma_f16 v12, v12, v25, v20
	s_wait_dscnt 0x0
	v_dual_lshrrev_b32 v20, 16, v8 :: v_dual_lshrrev_b32 v22, 16, v9
	v_dual_lshrrev_b32 v23, 16, v10 :: v_dual_lshrrev_b32 v24, 16, v11
	v_and_b32_e32 v8, 0xffff, v8
	v_and_b32_e32 v9, 0xffff, v9
	;; [unrolled: 1-line block ×4, first 2 shown]
	v_mul_u32_u24_e32 v20, 0x10001, v20
	v_mul_u32_u24_e32 v8, 0x10001, v8
	;; [unrolled: 1-line block ×8, first 2 shown]
	v_pk_fma_f16 v21, v13, v8, v21
	v_pk_fma_f16 v15, v13, v20, v15
	;; [unrolled: 1-line block ×8, first 2 shown]
	ds_load_2addr_b32 v[12:13], v99 offset0:192 offset1:224
	ds_load_b128 v[8:11], v94 offset:224
	s_wait_dscnt 0x0
	v_dual_lshrrev_b32 v22, 16, v8 :: v_dual_lshrrev_b32 v23, 16, v9
	v_dual_lshrrev_b32 v24, 16, v10 :: v_dual_lshrrev_b32 v25, 16, v11
	v_and_b32_e32 v8, 0xffff, v8
	v_and_b32_e32 v9, 0xffff, v9
	;; [unrolled: 1-line block ×4, first 2 shown]
	v_mul_u32_u24_e32 v22, 0x10001, v22
	v_mul_u32_u24_e32 v8, 0x10001, v8
	;; [unrolled: 1-line block ×6, first 2 shown]
	v_pk_fma_f16 v21, v12, v8, v21
	v_pk_fma_f16 v16, v12, v9, v16
	;; [unrolled: 1-line block ×4, first 2 shown]
	ds_load_b128 v[8:11], v94 offset:240
	v_mul_u32_u24_e32 v24, 0x10001, v24
	v_mul_u32_u24_e32 v25, 0x10001, v25
	v_pk_fma_f16 v15, v12, v22, v15
	v_pk_fma_f16 v17, v12, v23, v17
	s_delay_alu instid0(VALU_DEP_4) | instskip(NEXT) | instid1(VALU_DEP_4)
	v_pk_fma_f16 v14, v12, v24, v14
	v_pk_fma_f16 v12, v12, v25, v20
	s_wait_dscnt 0x0
	v_dual_lshrrev_b32 v20, 16, v8 :: v_dual_lshrrev_b32 v22, 16, v9
	v_dual_lshrrev_b32 v23, 16, v10 :: v_dual_lshrrev_b32 v24, 16, v11
	v_and_b32_e32 v8, 0xffff, v8
	v_and_b32_e32 v9, 0xffff, v9
	;; [unrolled: 1-line block ×4, first 2 shown]
	v_mul_u32_u24_e32 v20, 0x10001, v20
	v_mul_u32_u24_e32 v8, 0x10001, v8
	;; [unrolled: 1-line block ×8, first 2 shown]
	v_pk_fma_f16 v21, v13, v8, v21
	v_pk_fma_f16 v15, v13, v20, v15
	;; [unrolled: 1-line block ×8, first 2 shown]
	ds_load_2addr_b32 v[12:13], v100 offset1:32
	ds_load_b128 v[8:11], v94 offset:256
	s_wait_dscnt 0x0
	v_dual_lshrrev_b32 v22, 16, v8 :: v_dual_lshrrev_b32 v23, 16, v9
	v_dual_lshrrev_b32 v24, 16, v10 :: v_dual_lshrrev_b32 v25, 16, v11
	v_and_b32_e32 v8, 0xffff, v8
	v_and_b32_e32 v9, 0xffff, v9
	v_and_b32_e32 v10, 0xffff, v10
	v_and_b32_e32 v11, 0xffff, v11
	v_mul_u32_u24_e32 v22, 0x10001, v22
	v_mul_u32_u24_e32 v8, 0x10001, v8
	v_mul_u32_u24_e32 v9, 0x10001, v9
	v_mul_u32_u24_e32 v10, 0x10001, v10
	v_mul_u32_u24_e32 v11, 0x10001, v11
	v_mul_u32_u24_e32 v23, 0x10001, v23
	v_pk_fma_f16 v21, v12, v8, v21
	v_pk_fma_f16 v16, v12, v9, v16
	v_pk_fma_f16 v18, v12, v10, v18
	v_pk_fma_f16 v19, v12, v11, v19
	ds_load_b128 v[8:11], v94 offset:272
	v_mul_u32_u24_e32 v24, 0x10001, v24
	v_mul_u32_u24_e32 v25, 0x10001, v25
	v_pk_fma_f16 v15, v12, v22, v15
	v_pk_fma_f16 v17, v12, v23, v17
	s_delay_alu instid0(VALU_DEP_4) | instskip(NEXT) | instid1(VALU_DEP_4)
	v_pk_fma_f16 v14, v12, v24, v14
	v_pk_fma_f16 v12, v12, v25, v20
	s_wait_dscnt 0x0
	v_dual_lshrrev_b32 v20, 16, v8 :: v_dual_lshrrev_b32 v22, 16, v9
	v_dual_lshrrev_b32 v23, 16, v10 :: v_dual_lshrrev_b32 v24, 16, v11
	v_and_b32_e32 v8, 0xffff, v8
	v_and_b32_e32 v9, 0xffff, v9
	v_and_b32_e32 v10, 0xffff, v10
	v_and_b32_e32 v11, 0xffff, v11
	v_mul_u32_u24_e32 v20, 0x10001, v20
	v_mul_u32_u24_e32 v8, 0x10001, v8
	v_mul_u32_u24_e32 v9, 0x10001, v9
	v_mul_u32_u24_e32 v22, 0x10001, v22
	v_mul_u32_u24_e32 v10, 0x10001, v10
	v_mul_u32_u24_e32 v23, 0x10001, v23
	v_mul_u32_u24_e32 v11, 0x10001, v11
	v_mul_u32_u24_e32 v24, 0x10001, v24
	v_pk_fma_f16 v21, v13, v8, v21
	v_pk_fma_f16 v15, v13, v20, v15
	v_pk_fma_f16 v16, v13, v9, v16
	v_pk_fma_f16 v17, v13, v22, v17
	v_pk_fma_f16 v18, v13, v10, v18
	v_pk_fma_f16 v14, v13, v23, v14
	v_pk_fma_f16 v19, v13, v11, v19
	v_pk_fma_f16 v20, v13, v24, v12
	ds_load_2addr_b32 v[12:13], v100 offset0:64 offset1:96
	ds_load_b128 v[8:11], v94 offset:288
	s_wait_dscnt 0x0
	v_dual_lshrrev_b32 v22, 16, v8 :: v_dual_lshrrev_b32 v23, 16, v9
	v_dual_lshrrev_b32 v24, 16, v10 :: v_dual_lshrrev_b32 v25, 16, v11
	v_and_b32_e32 v8, 0xffff, v8
	v_and_b32_e32 v9, 0xffff, v9
	v_and_b32_e32 v10, 0xffff, v10
	v_and_b32_e32 v11, 0xffff, v11
	v_mul_u32_u24_e32 v22, 0x10001, v22
	v_mul_u32_u24_e32 v8, 0x10001, v8
	v_mul_u32_u24_e32 v9, 0x10001, v9
	v_mul_u32_u24_e32 v10, 0x10001, v10
	v_mul_u32_u24_e32 v11, 0x10001, v11
	v_mul_u32_u24_e32 v23, 0x10001, v23
	v_pk_fma_f16 v21, v12, v8, v21
	v_pk_fma_f16 v16, v12, v9, v16
	v_pk_fma_f16 v18, v12, v10, v18
	v_pk_fma_f16 v19, v12, v11, v19
	ds_load_b128 v[8:11], v94 offset:304
	v_mul_u32_u24_e32 v24, 0x10001, v24
	v_mul_u32_u24_e32 v25, 0x10001, v25
	v_pk_fma_f16 v15, v12, v22, v15
	v_pk_fma_f16 v17, v12, v23, v17
	s_delay_alu instid0(VALU_DEP_4) | instskip(NEXT) | instid1(VALU_DEP_4)
	v_pk_fma_f16 v14, v12, v24, v14
	v_pk_fma_f16 v12, v12, v25, v20
	s_wait_dscnt 0x0
	v_dual_lshrrev_b32 v20, 16, v8 :: v_dual_lshrrev_b32 v22, 16, v9
	v_dual_lshrrev_b32 v23, 16, v10 :: v_dual_lshrrev_b32 v24, 16, v11
	v_and_b32_e32 v8, 0xffff, v8
	v_and_b32_e32 v9, 0xffff, v9
	v_and_b32_e32 v10, 0xffff, v10
	v_and_b32_e32 v11, 0xffff, v11
	v_mul_u32_u24_e32 v20, 0x10001, v20
	v_mul_u32_u24_e32 v8, 0x10001, v8
	v_mul_u32_u24_e32 v9, 0x10001, v9
	v_mul_u32_u24_e32 v22, 0x10001, v22
	v_mul_u32_u24_e32 v10, 0x10001, v10
	v_mul_u32_u24_e32 v23, 0x10001, v23
	v_mul_u32_u24_e32 v11, 0x10001, v11
	v_mul_u32_u24_e32 v24, 0x10001, v24
	v_pk_fma_f16 v21, v13, v8, v21
	v_pk_fma_f16 v15, v13, v20, v15
	v_pk_fma_f16 v16, v13, v9, v16
	v_pk_fma_f16 v17, v13, v22, v17
	v_pk_fma_f16 v18, v13, v10, v18
	v_pk_fma_f16 v14, v13, v23, v14
	v_pk_fma_f16 v19, v13, v11, v19
	v_pk_fma_f16 v20, v13, v24, v12
	ds_load_2addr_b32 v[12:13], v100 offset0:128 offset1:160
	;; [unrolled: 50-line block ×3, first 2 shown]
	ds_load_b128 v[8:11], v94 offset:352
	s_wait_dscnt 0x0
	v_dual_lshrrev_b32 v22, 16, v8 :: v_dual_lshrrev_b32 v23, 16, v9
	v_dual_lshrrev_b32 v24, 16, v10 :: v_dual_lshrrev_b32 v25, 16, v11
	v_and_b32_e32 v8, 0xffff, v8
	v_and_b32_e32 v9, 0xffff, v9
	;; [unrolled: 1-line block ×4, first 2 shown]
	v_mul_u32_u24_e32 v22, 0x10001, v22
	v_mul_u32_u24_e32 v8, 0x10001, v8
	;; [unrolled: 1-line block ×6, first 2 shown]
	v_pk_fma_f16 v21, v12, v8, v21
	v_pk_fma_f16 v16, v12, v9, v16
	;; [unrolled: 1-line block ×4, first 2 shown]
	ds_load_b128 v[8:11], v94 offset:368
	v_mul_u32_u24_e32 v24, 0x10001, v24
	v_mul_u32_u24_e32 v25, 0x10001, v25
	v_pk_fma_f16 v15, v12, v22, v15
	v_pk_fma_f16 v17, v12, v23, v17
	s_delay_alu instid0(VALU_DEP_4) | instskip(NEXT) | instid1(VALU_DEP_4)
	v_pk_fma_f16 v14, v12, v24, v14
	v_pk_fma_f16 v12, v12, v25, v20
	s_wait_dscnt 0x0
	v_dual_lshrrev_b32 v20, 16, v8 :: v_dual_lshrrev_b32 v22, 16, v9
	v_dual_lshrrev_b32 v23, 16, v10 :: v_dual_lshrrev_b32 v24, 16, v11
	v_and_b32_e32 v8, 0xffff, v8
	v_and_b32_e32 v9, 0xffff, v9
	;; [unrolled: 1-line block ×4, first 2 shown]
	v_mul_u32_u24_e32 v20, 0x10001, v20
	v_mul_u32_u24_e32 v8, 0x10001, v8
	;; [unrolled: 1-line block ×8, first 2 shown]
	v_pk_fma_f16 v21, v13, v8, v21
	v_pk_fma_f16 v15, v13, v20, v15
	;; [unrolled: 1-line block ×8, first 2 shown]
	ds_load_2addr_b32 v[12:13], v101 offset1:32
	ds_load_b128 v[8:11], v94 offset:384
	s_wait_dscnt 0x0
	v_dual_lshrrev_b32 v22, 16, v8 :: v_dual_lshrrev_b32 v23, 16, v9
	v_dual_lshrrev_b32 v24, 16, v10 :: v_dual_lshrrev_b32 v25, 16, v11
	v_and_b32_e32 v8, 0xffff, v8
	v_and_b32_e32 v9, 0xffff, v9
	v_and_b32_e32 v10, 0xffff, v10
	v_and_b32_e32 v11, 0xffff, v11
	v_mul_u32_u24_e32 v22, 0x10001, v22
	v_mul_u32_u24_e32 v8, 0x10001, v8
	v_mul_u32_u24_e32 v9, 0x10001, v9
	v_mul_u32_u24_e32 v10, 0x10001, v10
	v_mul_u32_u24_e32 v11, 0x10001, v11
	v_mul_u32_u24_e32 v23, 0x10001, v23
	v_pk_fma_f16 v21, v12, v8, v21
	v_pk_fma_f16 v16, v12, v9, v16
	v_pk_fma_f16 v18, v12, v10, v18
	v_pk_fma_f16 v19, v12, v11, v19
	ds_load_b128 v[8:11], v94 offset:400
	v_mul_u32_u24_e32 v24, 0x10001, v24
	v_mul_u32_u24_e32 v25, 0x10001, v25
	v_pk_fma_f16 v15, v12, v22, v15
	v_pk_fma_f16 v17, v12, v23, v17
	s_delay_alu instid0(VALU_DEP_4) | instskip(NEXT) | instid1(VALU_DEP_4)
	v_pk_fma_f16 v14, v12, v24, v14
	v_pk_fma_f16 v12, v12, v25, v20
	s_wait_dscnt 0x0
	v_dual_lshrrev_b32 v20, 16, v8 :: v_dual_lshrrev_b32 v22, 16, v9
	v_dual_lshrrev_b32 v23, 16, v10 :: v_dual_lshrrev_b32 v24, 16, v11
	v_and_b32_e32 v8, 0xffff, v8
	v_and_b32_e32 v9, 0xffff, v9
	v_and_b32_e32 v10, 0xffff, v10
	v_and_b32_e32 v11, 0xffff, v11
	v_mul_u32_u24_e32 v20, 0x10001, v20
	v_mul_u32_u24_e32 v8, 0x10001, v8
	v_mul_u32_u24_e32 v9, 0x10001, v9
	v_mul_u32_u24_e32 v22, 0x10001, v22
	v_mul_u32_u24_e32 v10, 0x10001, v10
	v_mul_u32_u24_e32 v23, 0x10001, v23
	v_mul_u32_u24_e32 v11, 0x10001, v11
	v_mul_u32_u24_e32 v24, 0x10001, v24
	v_pk_fma_f16 v21, v13, v8, v21
	v_pk_fma_f16 v15, v13, v20, v15
	v_pk_fma_f16 v16, v13, v9, v16
	v_pk_fma_f16 v17, v13, v22, v17
	v_pk_fma_f16 v18, v13, v10, v18
	v_pk_fma_f16 v14, v13, v23, v14
	v_pk_fma_f16 v19, v13, v11, v19
	v_pk_fma_f16 v20, v13, v24, v12
	ds_load_2addr_b32 v[12:13], v101 offset0:64 offset1:96
	ds_load_b128 v[8:11], v94 offset:416
	s_wait_dscnt 0x0
	v_dual_lshrrev_b32 v22, 16, v8 :: v_dual_lshrrev_b32 v23, 16, v9
	v_dual_lshrrev_b32 v24, 16, v10 :: v_dual_lshrrev_b32 v25, 16, v11
	v_and_b32_e32 v8, 0xffff, v8
	v_and_b32_e32 v9, 0xffff, v9
	v_and_b32_e32 v10, 0xffff, v10
	v_and_b32_e32 v11, 0xffff, v11
	v_mul_u32_u24_e32 v22, 0x10001, v22
	v_mul_u32_u24_e32 v8, 0x10001, v8
	v_mul_u32_u24_e32 v9, 0x10001, v9
	v_mul_u32_u24_e32 v10, 0x10001, v10
	v_mul_u32_u24_e32 v11, 0x10001, v11
	v_mul_u32_u24_e32 v23, 0x10001, v23
	v_pk_fma_f16 v21, v12, v8, v21
	v_pk_fma_f16 v16, v12, v9, v16
	v_pk_fma_f16 v18, v12, v10, v18
	v_pk_fma_f16 v19, v12, v11, v19
	ds_load_b128 v[8:11], v94 offset:432
	v_mul_u32_u24_e32 v24, 0x10001, v24
	v_mul_u32_u24_e32 v25, 0x10001, v25
	v_pk_fma_f16 v15, v12, v22, v15
	v_pk_fma_f16 v17, v12, v23, v17
	s_delay_alu instid0(VALU_DEP_4) | instskip(NEXT) | instid1(VALU_DEP_4)
	v_pk_fma_f16 v14, v12, v24, v14
	v_pk_fma_f16 v12, v12, v25, v20
	s_wait_dscnt 0x0
	v_dual_lshrrev_b32 v20, 16, v8 :: v_dual_lshrrev_b32 v22, 16, v9
	v_dual_lshrrev_b32 v23, 16, v10 :: v_dual_lshrrev_b32 v24, 16, v11
	v_and_b32_e32 v8, 0xffff, v8
	v_and_b32_e32 v9, 0xffff, v9
	v_and_b32_e32 v10, 0xffff, v10
	v_and_b32_e32 v11, 0xffff, v11
	v_mul_u32_u24_e32 v20, 0x10001, v20
	v_mul_u32_u24_e32 v8, 0x10001, v8
	v_mul_u32_u24_e32 v9, 0x10001, v9
	v_mul_u32_u24_e32 v22, 0x10001, v22
	v_mul_u32_u24_e32 v10, 0x10001, v10
	v_mul_u32_u24_e32 v23, 0x10001, v23
	v_mul_u32_u24_e32 v11, 0x10001, v11
	v_mul_u32_u24_e32 v24, 0x10001, v24
	v_pk_fma_f16 v21, v13, v8, v21
	v_pk_fma_f16 v15, v13, v20, v15
	v_pk_fma_f16 v16, v13, v9, v16
	v_pk_fma_f16 v17, v13, v22, v17
	v_pk_fma_f16 v18, v13, v10, v18
	v_pk_fma_f16 v14, v13, v23, v14
	v_pk_fma_f16 v19, v13, v11, v19
	v_pk_fma_f16 v20, v13, v24, v12
	ds_load_2addr_b32 v[12:13], v101 offset0:128 offset1:160
	;; [unrolled: 50-line block ×3, first 2 shown]
	ds_load_b128 v[8:11], v94 offset:480
	s_wait_dscnt 0x0
	v_dual_lshrrev_b32 v22, 16, v8 :: v_dual_lshrrev_b32 v23, 16, v9
	v_dual_lshrrev_b32 v24, 16, v10 :: v_dual_lshrrev_b32 v25, 16, v11
	v_and_b32_e32 v8, 0xffff, v8
	v_and_b32_e32 v9, 0xffff, v9
	;; [unrolled: 1-line block ×4, first 2 shown]
	v_mul_u32_u24_e32 v22, 0x10001, v22
	v_mul_u32_u24_e32 v8, 0x10001, v8
	;; [unrolled: 1-line block ×6, first 2 shown]
	v_pk_fma_f16 v21, v12, v8, v21
	v_pk_fma_f16 v16, v12, v9, v16
	;; [unrolled: 1-line block ×4, first 2 shown]
	ds_load_b128 v[8:11], v94 offset:496
	v_mul_u32_u24_e32 v24, 0x10001, v24
	v_mul_u32_u24_e32 v25, 0x10001, v25
	v_pk_fma_f16 v15, v12, v22, v15
	v_pk_fma_f16 v17, v12, v23, v17
	s_delay_alu instid0(VALU_DEP_4) | instskip(NEXT) | instid1(VALU_DEP_4)
	v_pk_fma_f16 v14, v12, v24, v14
	v_pk_fma_f16 v12, v12, v25, v20
	s_wait_dscnt 0x0
	v_dual_lshrrev_b32 v20, 16, v8 :: v_dual_lshrrev_b32 v22, 16, v9
	v_dual_lshrrev_b32 v23, 16, v10 :: v_dual_lshrrev_b32 v24, 16, v11
	v_and_b32_e32 v8, 0xffff, v8
	v_and_b32_e32 v9, 0xffff, v9
	;; [unrolled: 1-line block ×4, first 2 shown]
	v_mul_u32_u24_e32 v20, 0x10001, v20
	v_mul_u32_u24_e32 v8, 0x10001, v8
	;; [unrolled: 1-line block ×8, first 2 shown]
	v_pk_fma_f16 v21, v13, v8, v21
	v_pk_fma_f16 v15, v13, v20, v15
	;; [unrolled: 1-line block ×8, first 2 shown]
	ds_load_2addr_b32 v[8:9], v102 offset1:32
	ds_load_b128 v[10:13], v94 offset:512
	s_wait_dscnt 0x0
	v_dual_lshrrev_b32 v22, 16, v10 :: v_dual_lshrrev_b32 v23, 16, v11
	v_dual_lshrrev_b32 v24, 16, v12 :: v_dual_lshrrev_b32 v25, 16, v13
	v_and_b32_e32 v10, 0xffff, v10
	v_and_b32_e32 v11, 0xffff, v11
	v_and_b32_e32 v12, 0xffff, v12
	v_and_b32_e32 v13, 0xffff, v13
	v_mul_u32_u24_e32 v22, 0x10001, v22
	v_mul_u32_u24_e32 v10, 0x10001, v10
	v_mul_u32_u24_e32 v11, 0x10001, v11
	v_mul_u32_u24_e32 v12, 0x10001, v12
	v_mul_u32_u24_e32 v13, 0x10001, v13
	v_mul_u32_u24_e32 v23, 0x10001, v23
	v_pk_fma_f16 v21, v8, v10, v21
	v_pk_fma_f16 v16, v8, v11, v16
	v_pk_fma_f16 v18, v8, v12, v18
	v_pk_fma_f16 v19, v8, v13, v19
	ds_load_b128 v[10:13], v94 offset:528
	v_mul_u32_u24_e32 v24, 0x10001, v24
	v_mul_u32_u24_e32 v25, 0x10001, v25
	v_pk_fma_f16 v15, v8, v22, v15
	v_pk_fma_f16 v17, v8, v23, v17
	s_delay_alu instid0(VALU_DEP_4) | instskip(NEXT) | instid1(VALU_DEP_4)
	v_pk_fma_f16 v14, v8, v24, v14
	v_pk_fma_f16 v8, v8, v25, v20
	s_wait_dscnt 0x0
	v_dual_lshrrev_b32 v20, 16, v10 :: v_dual_lshrrev_b32 v22, 16, v11
	v_dual_lshrrev_b32 v23, 16, v12 :: v_dual_lshrrev_b32 v24, 16, v13
	v_and_b32_e32 v10, 0xffff, v10
	v_and_b32_e32 v11, 0xffff, v11
	v_and_b32_e32 v12, 0xffff, v12
	v_and_b32_e32 v13, 0xffff, v13
	v_mul_u32_u24_e32 v20, 0x10001, v20
	v_mul_u32_u24_e32 v10, 0x10001, v10
	v_mul_u32_u24_e32 v11, 0x10001, v11
	v_mul_u32_u24_e32 v22, 0x10001, v22
	v_mul_u32_u24_e32 v12, 0x10001, v12
	v_mul_u32_u24_e32 v23, 0x10001, v23
	v_mul_u32_u24_e32 v13, 0x10001, v13
	v_mul_u32_u24_e32 v24, 0x10001, v24
	v_pk_fma_f16 v21, v9, v10, v21
	v_pk_fma_f16 v15, v9, v20, v15
	v_pk_fma_f16 v16, v9, v11, v16
	v_pk_fma_f16 v17, v9, v22, v17
	v_pk_fma_f16 v18, v9, v12, v18
	v_pk_fma_f16 v14, v9, v23, v14
	v_pk_fma_f16 v19, v9, v13, v19
	v_pk_fma_f16 v20, v9, v24, v8
	ds_load_2addr_b32 v[12:13], v102 offset0:64 offset1:96
	ds_load_b128 v[8:11], v94 offset:544
	s_wait_dscnt 0x0
	v_dual_lshrrev_b32 v22, 16, v8 :: v_dual_lshrrev_b32 v23, 16, v9
	v_dual_lshrrev_b32 v24, 16, v10 :: v_dual_lshrrev_b32 v25, 16, v11
	v_and_b32_e32 v8, 0xffff, v8
	v_and_b32_e32 v9, 0xffff, v9
	v_and_b32_e32 v10, 0xffff, v10
	v_and_b32_e32 v11, 0xffff, v11
	v_mul_u32_u24_e32 v22, 0x10001, v22
	v_mul_u32_u24_e32 v8, 0x10001, v8
	v_mul_u32_u24_e32 v9, 0x10001, v9
	v_mul_u32_u24_e32 v10, 0x10001, v10
	v_mul_u32_u24_e32 v11, 0x10001, v11
	v_mul_u32_u24_e32 v23, 0x10001, v23
	v_pk_fma_f16 v21, v12, v8, v21
	v_pk_fma_f16 v16, v12, v9, v16
	v_pk_fma_f16 v18, v12, v10, v18
	v_pk_fma_f16 v19, v12, v11, v19
	ds_load_b128 v[8:11], v94 offset:560
	v_mul_u32_u24_e32 v24, 0x10001, v24
	v_mul_u32_u24_e32 v25, 0x10001, v25
	v_pk_fma_f16 v15, v12, v22, v15
	v_pk_fma_f16 v17, v12, v23, v17
	s_delay_alu instid0(VALU_DEP_4) | instskip(NEXT) | instid1(VALU_DEP_4)
	v_pk_fma_f16 v14, v12, v24, v14
	v_pk_fma_f16 v12, v12, v25, v20
	s_wait_dscnt 0x0
	v_dual_lshrrev_b32 v20, 16, v8 :: v_dual_lshrrev_b32 v22, 16, v9
	v_dual_lshrrev_b32 v23, 16, v10 :: v_dual_lshrrev_b32 v24, 16, v11
	v_and_b32_e32 v8, 0xffff, v8
	v_and_b32_e32 v9, 0xffff, v9
	v_and_b32_e32 v10, 0xffff, v10
	v_and_b32_e32 v11, 0xffff, v11
	v_mul_u32_u24_e32 v20, 0x10001, v20
	v_mul_u32_u24_e32 v8, 0x10001, v8
	v_mul_u32_u24_e32 v9, 0x10001, v9
	v_mul_u32_u24_e32 v22, 0x10001, v22
	v_mul_u32_u24_e32 v10, 0x10001, v10
	v_mul_u32_u24_e32 v23, 0x10001, v23
	v_mul_u32_u24_e32 v11, 0x10001, v11
	v_mul_u32_u24_e32 v24, 0x10001, v24
	v_pk_fma_f16 v21, v13, v8, v21
	v_pk_fma_f16 v15, v13, v20, v15
	v_pk_fma_f16 v16, v13, v9, v16
	v_pk_fma_f16 v17, v13, v22, v17
	v_pk_fma_f16 v18, v13, v10, v18
	v_pk_fma_f16 v14, v13, v23, v14
	v_pk_fma_f16 v19, v13, v11, v19
	v_pk_fma_f16 v20, v13, v24, v12
	ds_load_2addr_b32 v[12:13], v102 offset0:128 offset1:160
	;; [unrolled: 50-line block ×3, first 2 shown]
	ds_load_b128 v[8:11], v94 offset:608
	s_wait_dscnt 0x0
	v_dual_lshrrev_b32 v22, 16, v8 :: v_dual_lshrrev_b32 v23, 16, v9
	v_dual_lshrrev_b32 v24, 16, v10 :: v_dual_lshrrev_b32 v25, 16, v11
	v_and_b32_e32 v8, 0xffff, v8
	v_and_b32_e32 v9, 0xffff, v9
	v_and_b32_e32 v10, 0xffff, v10
	v_and_b32_e32 v11, 0xffff, v11
	v_mul_u32_u24_e32 v22, 0x10001, v22
	v_mul_u32_u24_e32 v8, 0x10001, v8
	;; [unrolled: 1-line block ×6, first 2 shown]
	v_pk_fma_f16 v21, v12, v8, v21
	v_pk_fma_f16 v16, v12, v9, v16
	;; [unrolled: 1-line block ×4, first 2 shown]
	ds_load_b128 v[8:11], v94 offset:624
	v_mul_u32_u24_e32 v24, 0x10001, v24
	v_mul_u32_u24_e32 v25, 0x10001, v25
	v_pk_fma_f16 v15, v12, v22, v15
	v_pk_fma_f16 v17, v12, v23, v17
	s_delay_alu instid0(VALU_DEP_4) | instskip(NEXT) | instid1(VALU_DEP_4)
	v_pk_fma_f16 v14, v12, v24, v14
	v_pk_fma_f16 v12, v12, v25, v20
	s_wait_dscnt 0x0
	v_dual_lshrrev_b32 v20, 16, v8 :: v_dual_lshrrev_b32 v22, 16, v9
	v_dual_lshrrev_b32 v23, 16, v10 :: v_dual_lshrrev_b32 v24, 16, v11
	v_and_b32_e32 v8, 0xffff, v8
	v_and_b32_e32 v9, 0xffff, v9
	;; [unrolled: 1-line block ×4, first 2 shown]
	v_mul_u32_u24_e32 v20, 0x10001, v20
	v_mul_u32_u24_e32 v8, 0x10001, v8
	;; [unrolled: 1-line block ×8, first 2 shown]
	v_pk_fma_f16 v21, v13, v8, v21
	v_pk_fma_f16 v15, v13, v20, v15
	;; [unrolled: 1-line block ×8, first 2 shown]
	ds_load_2addr_b32 v[12:13], v103 offset1:32
	ds_load_b128 v[8:11], v94 offset:640
	s_wait_dscnt 0x0
	v_dual_lshrrev_b32 v22, 16, v8 :: v_dual_lshrrev_b32 v23, 16, v9
	v_dual_lshrrev_b32 v24, 16, v10 :: v_dual_lshrrev_b32 v25, 16, v11
	v_and_b32_e32 v8, 0xffff, v8
	v_and_b32_e32 v9, 0xffff, v9
	v_and_b32_e32 v10, 0xffff, v10
	v_and_b32_e32 v11, 0xffff, v11
	v_mul_u32_u24_e32 v22, 0x10001, v22
	v_mul_u32_u24_e32 v8, 0x10001, v8
	v_mul_u32_u24_e32 v9, 0x10001, v9
	v_mul_u32_u24_e32 v10, 0x10001, v10
	v_mul_u32_u24_e32 v11, 0x10001, v11
	v_mul_u32_u24_e32 v23, 0x10001, v23
	v_pk_fma_f16 v21, v12, v8, v21
	v_pk_fma_f16 v16, v12, v9, v16
	v_pk_fma_f16 v18, v12, v10, v18
	v_pk_fma_f16 v19, v12, v11, v19
	ds_load_b128 v[8:11], v94 offset:656
	v_mul_u32_u24_e32 v24, 0x10001, v24
	v_mul_u32_u24_e32 v25, 0x10001, v25
	v_pk_fma_f16 v15, v12, v22, v15
	v_pk_fma_f16 v17, v12, v23, v17
	s_delay_alu instid0(VALU_DEP_4) | instskip(NEXT) | instid1(VALU_DEP_4)
	v_pk_fma_f16 v14, v12, v24, v14
	v_pk_fma_f16 v12, v12, v25, v20
	s_wait_dscnt 0x0
	v_dual_lshrrev_b32 v20, 16, v8 :: v_dual_lshrrev_b32 v22, 16, v9
	v_dual_lshrrev_b32 v23, 16, v10 :: v_dual_lshrrev_b32 v24, 16, v11
	v_and_b32_e32 v8, 0xffff, v8
	v_and_b32_e32 v9, 0xffff, v9
	v_and_b32_e32 v10, 0xffff, v10
	v_and_b32_e32 v11, 0xffff, v11
	v_mul_u32_u24_e32 v20, 0x10001, v20
	v_mul_u32_u24_e32 v8, 0x10001, v8
	v_mul_u32_u24_e32 v9, 0x10001, v9
	v_mul_u32_u24_e32 v22, 0x10001, v22
	v_mul_u32_u24_e32 v10, 0x10001, v10
	v_mul_u32_u24_e32 v23, 0x10001, v23
	v_mul_u32_u24_e32 v11, 0x10001, v11
	v_mul_u32_u24_e32 v24, 0x10001, v24
	v_pk_fma_f16 v21, v13, v8, v21
	v_pk_fma_f16 v15, v13, v20, v15
	v_pk_fma_f16 v16, v13, v9, v16
	v_pk_fma_f16 v17, v13, v22, v17
	v_pk_fma_f16 v18, v13, v10, v18
	v_pk_fma_f16 v14, v13, v23, v14
	v_pk_fma_f16 v19, v13, v11, v19
	v_pk_fma_f16 v20, v13, v24, v12
	ds_load_2addr_b32 v[12:13], v103 offset0:64 offset1:96
	ds_load_b128 v[8:11], v94 offset:672
	s_wait_dscnt 0x0
	v_dual_lshrrev_b32 v22, 16, v8 :: v_dual_lshrrev_b32 v23, 16, v9
	v_dual_lshrrev_b32 v24, 16, v10 :: v_dual_lshrrev_b32 v25, 16, v11
	v_and_b32_e32 v8, 0xffff, v8
	v_and_b32_e32 v9, 0xffff, v9
	v_and_b32_e32 v10, 0xffff, v10
	v_and_b32_e32 v11, 0xffff, v11
	v_mul_u32_u24_e32 v22, 0x10001, v22
	v_mul_u32_u24_e32 v8, 0x10001, v8
	v_mul_u32_u24_e32 v9, 0x10001, v9
	v_mul_u32_u24_e32 v10, 0x10001, v10
	v_mul_u32_u24_e32 v11, 0x10001, v11
	v_mul_u32_u24_e32 v23, 0x10001, v23
	v_pk_fma_f16 v21, v12, v8, v21
	v_pk_fma_f16 v16, v12, v9, v16
	v_pk_fma_f16 v18, v12, v10, v18
	v_pk_fma_f16 v19, v12, v11, v19
	ds_load_b128 v[8:11], v94 offset:688
	v_mul_u32_u24_e32 v24, 0x10001, v24
	v_mul_u32_u24_e32 v25, 0x10001, v25
	v_pk_fma_f16 v15, v12, v22, v15
	v_pk_fma_f16 v17, v12, v23, v17
	s_delay_alu instid0(VALU_DEP_4) | instskip(NEXT) | instid1(VALU_DEP_4)
	v_pk_fma_f16 v14, v12, v24, v14
	v_pk_fma_f16 v12, v12, v25, v20
	s_wait_dscnt 0x0
	v_dual_lshrrev_b32 v20, 16, v8 :: v_dual_lshrrev_b32 v22, 16, v9
	v_dual_lshrrev_b32 v23, 16, v10 :: v_dual_lshrrev_b32 v24, 16, v11
	v_and_b32_e32 v8, 0xffff, v8
	v_and_b32_e32 v9, 0xffff, v9
	v_and_b32_e32 v10, 0xffff, v10
	v_and_b32_e32 v11, 0xffff, v11
	v_mul_u32_u24_e32 v20, 0x10001, v20
	v_mul_u32_u24_e32 v8, 0x10001, v8
	v_mul_u32_u24_e32 v9, 0x10001, v9
	v_mul_u32_u24_e32 v22, 0x10001, v22
	v_mul_u32_u24_e32 v10, 0x10001, v10
	v_mul_u32_u24_e32 v23, 0x10001, v23
	v_mul_u32_u24_e32 v11, 0x10001, v11
	v_mul_u32_u24_e32 v24, 0x10001, v24
	v_pk_fma_f16 v21, v13, v8, v21
	v_pk_fma_f16 v15, v13, v20, v15
	v_pk_fma_f16 v16, v13, v9, v16
	v_pk_fma_f16 v17, v13, v22, v17
	v_pk_fma_f16 v18, v13, v10, v18
	v_pk_fma_f16 v14, v13, v23, v14
	v_pk_fma_f16 v19, v13, v11, v19
	v_pk_fma_f16 v20, v13, v24, v12
	ds_load_2addr_b32 v[12:13], v103 offset0:128 offset1:160
	ds_load_b128 v[8:11], v94 offset:704
	s_wait_dscnt 0x0
	v_dual_lshrrev_b32 v22, 16, v8 :: v_dual_lshrrev_b32 v23, 16, v9
	v_dual_lshrrev_b32 v24, 16, v10 :: v_dual_lshrrev_b32 v25, 16, v11
	v_and_b32_e32 v8, 0xffff, v8
	v_and_b32_e32 v9, 0xffff, v9
	v_and_b32_e32 v10, 0xffff, v10
	v_and_b32_e32 v11, 0xffff, v11
	v_mul_u32_u24_e32 v22, 0x10001, v22
	v_mul_u32_u24_e32 v8, 0x10001, v8
	v_mul_u32_u24_e32 v9, 0x10001, v9
	v_mul_u32_u24_e32 v10, 0x10001, v10
	v_mul_u32_u24_e32 v11, 0x10001, v11
	v_mul_u32_u24_e32 v23, 0x10001, v23
	v_pk_fma_f16 v21, v12, v8, v21
	v_pk_fma_f16 v16, v12, v9, v16
	v_pk_fma_f16 v18, v12, v10, v18
	v_pk_fma_f16 v19, v12, v11, v19
	ds_load_b128 v[8:11], v94 offset:720
	v_mul_u32_u24_e32 v24, 0x10001, v24
	v_mul_u32_u24_e32 v25, 0x10001, v25
	v_pk_fma_f16 v15, v12, v22, v15
	v_pk_fma_f16 v17, v12, v23, v17
	s_delay_alu instid0(VALU_DEP_4) | instskip(NEXT) | instid1(VALU_DEP_4)
	v_pk_fma_f16 v14, v12, v24, v14
	v_pk_fma_f16 v12, v12, v25, v20
	s_wait_dscnt 0x0
	v_dual_lshrrev_b32 v20, 16, v8 :: v_dual_lshrrev_b32 v22, 16, v9
	v_dual_lshrrev_b32 v23, 16, v10 :: v_dual_lshrrev_b32 v24, 16, v11
	v_and_b32_e32 v8, 0xffff, v8
	v_and_b32_e32 v9, 0xffff, v9
	v_and_b32_e32 v10, 0xffff, v10
	v_and_b32_e32 v11, 0xffff, v11
	v_mul_u32_u24_e32 v20, 0x10001, v20
	v_mul_u32_u24_e32 v8, 0x10001, v8
	v_mul_u32_u24_e32 v9, 0x10001, v9
	v_mul_u32_u24_e32 v22, 0x10001, v22
	v_mul_u32_u24_e32 v10, 0x10001, v10
	v_mul_u32_u24_e32 v23, 0x10001, v23
	v_mul_u32_u24_e32 v11, 0x10001, v11
	v_mul_u32_u24_e32 v24, 0x10001, v24
	v_pk_fma_f16 v21, v13, v8, v21
	v_pk_fma_f16 v15, v13, v20, v15
	v_pk_fma_f16 v16, v13, v9, v16
	v_pk_fma_f16 v17, v13, v22, v17
	v_pk_fma_f16 v18, v13, v10, v18
	v_pk_fma_f16 v14, v13, v23, v14
	v_pk_fma_f16 v19, v13, v11, v19
	v_pk_fma_f16 v20, v13, v24, v12
	ds_load_2addr_b32 v[12:13], v103 offset0:192 offset1:224
	ds_load_b128 v[8:11], v94 offset:736
	s_wait_dscnt 0x0
	v_dual_lshrrev_b32 v22, 16, v8 :: v_dual_lshrrev_b32 v23, 16, v9
	v_dual_lshrrev_b32 v24, 16, v10 :: v_dual_lshrrev_b32 v25, 16, v11
	v_and_b32_e32 v8, 0xffff, v8
	v_and_b32_e32 v9, 0xffff, v9
	;; [unrolled: 1-line block ×4, first 2 shown]
	v_mul_u32_u24_e32 v22, 0x10001, v22
	v_mul_u32_u24_e32 v8, 0x10001, v8
	;; [unrolled: 1-line block ×6, first 2 shown]
	v_pk_fma_f16 v21, v12, v8, v21
	v_pk_fma_f16 v16, v12, v9, v16
	;; [unrolled: 1-line block ×4, first 2 shown]
	ds_load_b128 v[8:11], v94 offset:752
	v_mul_u32_u24_e32 v24, 0x10001, v24
	v_mul_u32_u24_e32 v25, 0x10001, v25
	v_pk_fma_f16 v15, v12, v22, v15
	v_pk_fma_f16 v17, v12, v23, v17
	s_delay_alu instid0(VALU_DEP_4) | instskip(NEXT) | instid1(VALU_DEP_4)
	v_pk_fma_f16 v14, v12, v24, v14
	v_pk_fma_f16 v12, v12, v25, v20
	s_wait_dscnt 0x0
	v_dual_lshrrev_b32 v20, 16, v8 :: v_dual_lshrrev_b32 v22, 16, v9
	v_dual_lshrrev_b32 v23, 16, v10 :: v_dual_lshrrev_b32 v24, 16, v11
	v_and_b32_e32 v8, 0xffff, v8
	v_and_b32_e32 v9, 0xffff, v9
	;; [unrolled: 1-line block ×4, first 2 shown]
	v_mul_u32_u24_e32 v20, 0x10001, v20
	v_mul_u32_u24_e32 v8, 0x10001, v8
	;; [unrolled: 1-line block ×8, first 2 shown]
	v_pk_fma_f16 v21, v13, v8, v21
	v_pk_fma_f16 v15, v13, v20, v15
	;; [unrolled: 1-line block ×8, first 2 shown]
	ds_load_2addr_b32 v[12:13], v104 offset1:32
	ds_load_b128 v[8:11], v94 offset:768
	s_wait_dscnt 0x0
	v_dual_lshrrev_b32 v22, 16, v8 :: v_dual_lshrrev_b32 v23, 16, v9
	v_dual_lshrrev_b32 v24, 16, v10 :: v_dual_lshrrev_b32 v25, 16, v11
	v_and_b32_e32 v8, 0xffff, v8
	v_and_b32_e32 v9, 0xffff, v9
	v_and_b32_e32 v10, 0xffff, v10
	v_and_b32_e32 v11, 0xffff, v11
	v_mul_u32_u24_e32 v22, 0x10001, v22
	v_mul_u32_u24_e32 v8, 0x10001, v8
	v_mul_u32_u24_e32 v9, 0x10001, v9
	v_mul_u32_u24_e32 v10, 0x10001, v10
	v_mul_u32_u24_e32 v11, 0x10001, v11
	v_mul_u32_u24_e32 v23, 0x10001, v23
	v_pk_fma_f16 v21, v12, v8, v21
	v_pk_fma_f16 v16, v12, v9, v16
	v_pk_fma_f16 v18, v12, v10, v18
	v_pk_fma_f16 v19, v12, v11, v19
	ds_load_b128 v[8:11], v94 offset:784
	v_mul_u32_u24_e32 v24, 0x10001, v24
	v_mul_u32_u24_e32 v25, 0x10001, v25
	v_pk_fma_f16 v15, v12, v22, v15
	v_pk_fma_f16 v17, v12, v23, v17
	s_delay_alu instid0(VALU_DEP_4) | instskip(NEXT) | instid1(VALU_DEP_4)
	v_pk_fma_f16 v14, v12, v24, v14
	v_pk_fma_f16 v12, v12, v25, v20
	s_wait_dscnt 0x0
	v_dual_lshrrev_b32 v20, 16, v8 :: v_dual_lshrrev_b32 v22, 16, v9
	v_dual_lshrrev_b32 v23, 16, v10 :: v_dual_lshrrev_b32 v24, 16, v11
	v_and_b32_e32 v8, 0xffff, v8
	v_and_b32_e32 v9, 0xffff, v9
	v_and_b32_e32 v10, 0xffff, v10
	v_and_b32_e32 v11, 0xffff, v11
	v_mul_u32_u24_e32 v20, 0x10001, v20
	v_mul_u32_u24_e32 v8, 0x10001, v8
	v_mul_u32_u24_e32 v9, 0x10001, v9
	v_mul_u32_u24_e32 v22, 0x10001, v22
	v_mul_u32_u24_e32 v10, 0x10001, v10
	v_mul_u32_u24_e32 v23, 0x10001, v23
	v_mul_u32_u24_e32 v11, 0x10001, v11
	v_mul_u32_u24_e32 v24, 0x10001, v24
	v_pk_fma_f16 v21, v13, v8, v21
	v_pk_fma_f16 v15, v13, v20, v15
	v_pk_fma_f16 v16, v13, v9, v16
	v_pk_fma_f16 v17, v13, v22, v17
	v_pk_fma_f16 v18, v13, v10, v18
	v_pk_fma_f16 v14, v13, v23, v14
	v_pk_fma_f16 v19, v13, v11, v19
	v_pk_fma_f16 v20, v13, v24, v12
	ds_load_2addr_b32 v[12:13], v104 offset0:64 offset1:96
	ds_load_b128 v[8:11], v94 offset:800
	s_wait_dscnt 0x0
	v_dual_lshrrev_b32 v22, 16, v8 :: v_dual_lshrrev_b32 v23, 16, v9
	v_dual_lshrrev_b32 v24, 16, v10 :: v_dual_lshrrev_b32 v25, 16, v11
	v_and_b32_e32 v8, 0xffff, v8
	v_and_b32_e32 v9, 0xffff, v9
	v_and_b32_e32 v10, 0xffff, v10
	v_and_b32_e32 v11, 0xffff, v11
	v_mul_u32_u24_e32 v22, 0x10001, v22
	v_mul_u32_u24_e32 v8, 0x10001, v8
	v_mul_u32_u24_e32 v9, 0x10001, v9
	v_mul_u32_u24_e32 v10, 0x10001, v10
	v_mul_u32_u24_e32 v11, 0x10001, v11
	v_mul_u32_u24_e32 v23, 0x10001, v23
	v_pk_fma_f16 v21, v12, v8, v21
	v_pk_fma_f16 v16, v12, v9, v16
	v_pk_fma_f16 v18, v12, v10, v18
	v_pk_fma_f16 v19, v12, v11, v19
	ds_load_b128 v[8:11], v94 offset:816
	v_mul_u32_u24_e32 v24, 0x10001, v24
	v_mul_u32_u24_e32 v25, 0x10001, v25
	v_pk_fma_f16 v15, v12, v22, v15
	v_pk_fma_f16 v17, v12, v23, v17
	s_delay_alu instid0(VALU_DEP_4) | instskip(NEXT) | instid1(VALU_DEP_4)
	v_pk_fma_f16 v14, v12, v24, v14
	v_pk_fma_f16 v12, v12, v25, v20
	s_wait_dscnt 0x0
	v_dual_lshrrev_b32 v20, 16, v8 :: v_dual_lshrrev_b32 v22, 16, v9
	v_dual_lshrrev_b32 v23, 16, v10 :: v_dual_lshrrev_b32 v24, 16, v11
	v_and_b32_e32 v8, 0xffff, v8
	v_and_b32_e32 v9, 0xffff, v9
	v_and_b32_e32 v10, 0xffff, v10
	v_and_b32_e32 v11, 0xffff, v11
	v_mul_u32_u24_e32 v20, 0x10001, v20
	v_mul_u32_u24_e32 v8, 0x10001, v8
	v_mul_u32_u24_e32 v9, 0x10001, v9
	v_mul_u32_u24_e32 v22, 0x10001, v22
	v_mul_u32_u24_e32 v10, 0x10001, v10
	v_mul_u32_u24_e32 v23, 0x10001, v23
	v_mul_u32_u24_e32 v11, 0x10001, v11
	v_mul_u32_u24_e32 v24, 0x10001, v24
	v_pk_fma_f16 v21, v13, v8, v21
	v_pk_fma_f16 v15, v13, v20, v15
	v_pk_fma_f16 v16, v13, v9, v16
	v_pk_fma_f16 v17, v13, v22, v17
	v_pk_fma_f16 v18, v13, v10, v18
	v_pk_fma_f16 v14, v13, v23, v14
	v_pk_fma_f16 v19, v13, v11, v19
	v_pk_fma_f16 v20, v13, v24, v12
	ds_load_2addr_b32 v[12:13], v104 offset0:128 offset1:160
	;; [unrolled: 50-line block ×3, first 2 shown]
	ds_load_b128 v[8:11], v94 offset:864
	s_wait_dscnt 0x0
	v_dual_lshrrev_b32 v22, 16, v8 :: v_dual_lshrrev_b32 v23, 16, v9
	v_dual_lshrrev_b32 v24, 16, v10 :: v_dual_lshrrev_b32 v25, 16, v11
	v_and_b32_e32 v8, 0xffff, v8
	v_and_b32_e32 v9, 0xffff, v9
	;; [unrolled: 1-line block ×4, first 2 shown]
	v_mul_u32_u24_e32 v22, 0x10001, v22
	v_mul_u32_u24_e32 v8, 0x10001, v8
	;; [unrolled: 1-line block ×6, first 2 shown]
	v_pk_fma_f16 v21, v12, v8, v21
	v_pk_fma_f16 v16, v12, v9, v16
	;; [unrolled: 1-line block ×4, first 2 shown]
	ds_load_b128 v[8:11], v94 offset:880
	v_mul_u32_u24_e32 v24, 0x10001, v24
	v_mul_u32_u24_e32 v25, 0x10001, v25
	v_pk_fma_f16 v15, v12, v22, v15
	v_pk_fma_f16 v17, v12, v23, v17
	s_delay_alu instid0(VALU_DEP_4) | instskip(NEXT) | instid1(VALU_DEP_4)
	v_pk_fma_f16 v14, v12, v24, v14
	v_pk_fma_f16 v12, v12, v25, v20
	s_wait_dscnt 0x0
	v_dual_lshrrev_b32 v20, 16, v8 :: v_dual_lshrrev_b32 v22, 16, v9
	v_dual_lshrrev_b32 v23, 16, v10 :: v_dual_lshrrev_b32 v24, 16, v11
	v_and_b32_e32 v8, 0xffff, v8
	v_and_b32_e32 v9, 0xffff, v9
	;; [unrolled: 1-line block ×4, first 2 shown]
	v_mul_u32_u24_e32 v20, 0x10001, v20
	v_mul_u32_u24_e32 v8, 0x10001, v8
	;; [unrolled: 1-line block ×8, first 2 shown]
	v_pk_fma_f16 v21, v13, v8, v21
	v_pk_fma_f16 v15, v13, v20, v15
	;; [unrolled: 1-line block ×8, first 2 shown]
	ds_load_2addr_b32 v[12:13], v105 offset1:32
	ds_load_b128 v[8:11], v94 offset:896
	s_wait_dscnt 0x0
	v_dual_lshrrev_b32 v22, 16, v8 :: v_dual_lshrrev_b32 v23, 16, v9
	v_dual_lshrrev_b32 v24, 16, v10 :: v_dual_lshrrev_b32 v25, 16, v11
	v_and_b32_e32 v8, 0xffff, v8
	v_and_b32_e32 v9, 0xffff, v9
	v_and_b32_e32 v10, 0xffff, v10
	v_and_b32_e32 v11, 0xffff, v11
	v_mul_u32_u24_e32 v22, 0x10001, v22
	v_mul_u32_u24_e32 v8, 0x10001, v8
	v_mul_u32_u24_e32 v9, 0x10001, v9
	v_mul_u32_u24_e32 v10, 0x10001, v10
	v_mul_u32_u24_e32 v11, 0x10001, v11
	v_mul_u32_u24_e32 v23, 0x10001, v23
	v_pk_fma_f16 v21, v12, v8, v21
	v_pk_fma_f16 v16, v12, v9, v16
	v_pk_fma_f16 v18, v12, v10, v18
	v_pk_fma_f16 v19, v12, v11, v19
	ds_load_b128 v[8:11], v94 offset:912
	v_mul_u32_u24_e32 v24, 0x10001, v24
	v_mul_u32_u24_e32 v25, 0x10001, v25
	v_pk_fma_f16 v15, v12, v22, v15
	v_pk_fma_f16 v17, v12, v23, v17
	s_delay_alu instid0(VALU_DEP_4) | instskip(NEXT) | instid1(VALU_DEP_4)
	v_pk_fma_f16 v14, v12, v24, v14
	v_pk_fma_f16 v12, v12, v25, v20
	s_wait_dscnt 0x0
	v_dual_lshrrev_b32 v20, 16, v8 :: v_dual_lshrrev_b32 v22, 16, v9
	v_dual_lshrrev_b32 v23, 16, v10 :: v_dual_lshrrev_b32 v24, 16, v11
	v_and_b32_e32 v8, 0xffff, v8
	v_and_b32_e32 v9, 0xffff, v9
	v_and_b32_e32 v10, 0xffff, v10
	v_and_b32_e32 v11, 0xffff, v11
	v_mul_u32_u24_e32 v20, 0x10001, v20
	v_mul_u32_u24_e32 v8, 0x10001, v8
	v_mul_u32_u24_e32 v9, 0x10001, v9
	v_mul_u32_u24_e32 v22, 0x10001, v22
	v_mul_u32_u24_e32 v10, 0x10001, v10
	v_mul_u32_u24_e32 v23, 0x10001, v23
	v_mul_u32_u24_e32 v11, 0x10001, v11
	v_mul_u32_u24_e32 v24, 0x10001, v24
	v_pk_fma_f16 v21, v13, v8, v21
	v_pk_fma_f16 v15, v13, v20, v15
	v_pk_fma_f16 v16, v13, v9, v16
	v_pk_fma_f16 v17, v13, v22, v17
	v_pk_fma_f16 v18, v13, v10, v18
	v_pk_fma_f16 v14, v13, v23, v14
	v_pk_fma_f16 v19, v13, v11, v19
	v_pk_fma_f16 v20, v13, v24, v12
	ds_load_2addr_b32 v[12:13], v105 offset0:64 offset1:96
	ds_load_b128 v[8:11], v94 offset:928
	s_wait_dscnt 0x0
	v_dual_lshrrev_b32 v22, 16, v8 :: v_dual_lshrrev_b32 v23, 16, v9
	v_dual_lshrrev_b32 v24, 16, v10 :: v_dual_lshrrev_b32 v25, 16, v11
	v_and_b32_e32 v8, 0xffff, v8
	v_and_b32_e32 v9, 0xffff, v9
	v_and_b32_e32 v10, 0xffff, v10
	v_and_b32_e32 v11, 0xffff, v11
	v_mul_u32_u24_e32 v22, 0x10001, v22
	v_mul_u32_u24_e32 v8, 0x10001, v8
	v_mul_u32_u24_e32 v9, 0x10001, v9
	v_mul_u32_u24_e32 v10, 0x10001, v10
	v_mul_u32_u24_e32 v11, 0x10001, v11
	v_mul_u32_u24_e32 v23, 0x10001, v23
	v_pk_fma_f16 v21, v12, v8, v21
	v_pk_fma_f16 v16, v12, v9, v16
	v_pk_fma_f16 v18, v12, v10, v18
	v_pk_fma_f16 v19, v12, v11, v19
	ds_load_b128 v[8:11], v94 offset:944
	v_mul_u32_u24_e32 v24, 0x10001, v24
	v_mul_u32_u24_e32 v25, 0x10001, v25
	v_pk_fma_f16 v15, v12, v22, v15
	v_pk_fma_f16 v17, v12, v23, v17
	s_delay_alu instid0(VALU_DEP_4) | instskip(NEXT) | instid1(VALU_DEP_4)
	v_pk_fma_f16 v14, v12, v24, v14
	v_pk_fma_f16 v12, v12, v25, v20
	s_wait_dscnt 0x0
	v_dual_lshrrev_b32 v20, 16, v8 :: v_dual_lshrrev_b32 v22, 16, v9
	v_dual_lshrrev_b32 v23, 16, v10 :: v_dual_lshrrev_b32 v24, 16, v11
	v_and_b32_e32 v8, 0xffff, v8
	v_and_b32_e32 v9, 0xffff, v9
	v_and_b32_e32 v10, 0xffff, v10
	v_and_b32_e32 v11, 0xffff, v11
	v_mul_u32_u24_e32 v20, 0x10001, v20
	v_mul_u32_u24_e32 v8, 0x10001, v8
	v_mul_u32_u24_e32 v9, 0x10001, v9
	v_mul_u32_u24_e32 v22, 0x10001, v22
	v_mul_u32_u24_e32 v10, 0x10001, v10
	v_mul_u32_u24_e32 v23, 0x10001, v23
	v_mul_u32_u24_e32 v11, 0x10001, v11
	v_mul_u32_u24_e32 v24, 0x10001, v24
	v_pk_fma_f16 v21, v13, v8, v21
	v_pk_fma_f16 v15, v13, v20, v15
	v_pk_fma_f16 v16, v13, v9, v16
	v_pk_fma_f16 v17, v13, v22, v17
	v_pk_fma_f16 v18, v13, v10, v18
	v_pk_fma_f16 v14, v13, v23, v14
	v_pk_fma_f16 v19, v13, v11, v19
	v_pk_fma_f16 v20, v13, v24, v12
	ds_load_2addr_b32 v[12:13], v105 offset0:128 offset1:160
	;; [unrolled: 50-line block ×3, first 2 shown]
	ds_load_b128 v[8:11], v94 offset:992
	s_wait_dscnt 0x0
	v_dual_lshrrev_b32 v14, 16, v8 :: v_dual_lshrrev_b32 v19, 16, v9
	v_dual_lshrrev_b32 v24, 16, v10 :: v_dual_lshrrev_b32 v25, 16, v11
	v_and_b32_e32 v8, 0xffff, v8
	v_and_b32_e32 v9, 0xffff, v9
	;; [unrolled: 1-line block ×4, first 2 shown]
	v_mul_u32_u24_e32 v19, 0x10001, v19
	v_mul_u32_u24_e32 v8, 0x10001, v8
	;; [unrolled: 1-line block ×7, first 2 shown]
	v_pk_fma_f16 v14, v12, v8, v21
	v_pk_fma_f16 v16, v12, v9, v16
	;; [unrolled: 1-line block ×6, first 2 shown]
	ds_load_b128 v[8:11], v94 offset:1008
	s_wait_dscnt 0x0
	s_barrier_signal -1
	s_barrier_wait -1
	s_load_b32 s3, s[20:21], 0x4
	v_pk_fma_f16 v15, v12, v26, v15
	v_lshrrev_b32_e32 v21, 16, v8
	v_mul_u32_u24_e32 v25, 0x10001, v25
	v_dual_lshrrev_b32 v22, 16, v9 :: v_dual_lshrrev_b32 v24, 16, v11
	v_and_b32_e32 v8, 0xffff, v8
	v_and_b32_e32 v9, 0xffff, v9
	s_delay_alu instid0(VALU_DEP_4)
	v_pk_fma_f16 v12, v12, v25, v23
	v_lshrrev_b32_e32 v23, 16, v10
	v_and_b32_e32 v10, 0xffff, v10
	v_and_b32_e32 v11, 0xffff, v11
	v_mul_u32_u24_e32 v8, 0x10001, v8
	v_mul_u32_u24_e32 v21, 0x10001, v21
	;; [unrolled: 1-line block ×8, first 2 shown]
	s_wait_kmcnt 0x0
	s_lshl_b32 s3, s3, 6
	v_pk_fma_f16 v113, v13, v8, v14
	v_pk_fma_f16 v112, v13, v21, v15
	;; [unrolled: 1-line block ×8, first 2 shown]
	s_add_co_i32 s4, s3, s4
	s_delay_alu instid0(SALU_CYCLE_1)
	s_cmp_ge_i32 s4, s30
	s_cbranch_scc0 .LBB21_9
; %bb.10:
	v_mov_b32_e32 v8, v77
.LBB21_11:
	v_lshlrev_b32_e32 v28, 1, v76
	v_cmp_lt_i32_e32 vcc_lo, v83, v78
	s_cmp_lg_u64 s[12:13], 0
	s_cselect_b32 s3, -1, 0
	s_cmp_eq_u32 s31, 0
	v_cndmask_b32_e32 v9, v8, v83, vcc_lo
	v_cmp_lt_i32_e32 vcc_lo, v82, v78
	s_cselect_b32 s4, -1, 0
	s_delay_alu instid0(SALU_CYCLE_1) | instskip(NEXT) | instid1(VALU_DEP_2)
	s_and_b32 s3, s4, s3
	v_lshlrev_b32_e32 v9, 2, v9
	ds_bpermute_b32 v10, v9, v46
	ds_bpermute_b32 v11, v9, v47
	;; [unrolled: 1-line block ×8, first 2 shown]
	v_cndmask_b32_e32 v9, v8, v82, vcc_lo
	v_cmp_lt_i32_e32 vcc_lo, v81, v78
	s_delay_alu instid0(VALU_DEP_2)
	v_lshlrev_b32_e32 v9, 2, v9
	s_wait_dscnt 0x6
	v_pk_add_f32 v[10:11], v[46:47], v[10:11]
	s_wait_dscnt 0x4
	v_pk_add_f32 v[12:13], v[44:45], v[12:13]
	;; [unrolled: 2-line block ×3, first 2 shown]
	ds_bpermute_b32 v18, v9, v10
	s_wait_dscnt 0x1
	v_pk_add_f32 v[16:17], v[40:41], v[16:17]
	ds_bpermute_b32 v19, v9, v11
	ds_bpermute_b32 v20, v9, v12
	;; [unrolled: 1-line block ×7, first 2 shown]
	v_cndmask_b32_e32 v9, v8, v81, vcc_lo
	v_cmp_lt_i32_e32 vcc_lo, v80, v78
	s_delay_alu instid0(VALU_DEP_2)
	v_lshlrev_b32_e32 v9, 2, v9
	s_wait_dscnt 0x6
	v_pk_add_f32 v[10:11], v[10:11], v[18:19]
	s_wait_dscnt 0x4
	v_pk_add_f32 v[12:13], v[12:13], v[20:21]
	;; [unrolled: 2-line block ×3, first 2 shown]
	ds_bpermute_b32 v18, v9, v10
	s_wait_dscnt 0x1
	v_pk_add_f32 v[16:17], v[16:17], v[24:25]
	ds_bpermute_b32 v19, v9, v11
	ds_bpermute_b32 v20, v9, v12
	;; [unrolled: 1-line block ×7, first 2 shown]
	v_cndmask_b32_e32 v9, v8, v80, vcc_lo
	v_cmp_lt_i32_e32 vcc_lo, v79, v78
	s_delay_alu instid0(VALU_DEP_2) | instskip(SKIP_1) | instid1(VALU_DEP_1)
	v_dual_cndmask_b32 v8, v8, v79 :: v_dual_lshlrev_b32 v9, 2, v9
	s_and_b32 vcc_lo, exec_lo, s3
	v_lshlrev_b32_e32 v26, 2, v8
	s_wait_dscnt 0x6
	v_pk_add_f32 v[10:11], v[10:11], v[18:19]
	s_wait_dscnt 0x4
	v_pk_add_f32 v[12:13], v[12:13], v[20:21]
	;; [unrolled: 2-line block ×3, first 2 shown]
	ds_bpermute_b32 v18, v9, v10
	s_wait_dscnt 0x1
	v_pk_add_f32 v[16:17], v[16:17], v[24:25]
	ds_bpermute_b32 v19, v9, v11
	ds_bpermute_b32 v20, v9, v12
	;; [unrolled: 1-line block ×7, first 2 shown]
	s_wait_dscnt 0x6
	v_pk_add_f32 v[8:9], v[10:11], v[18:19]
	s_wait_dscnt 0x4
	v_pk_add_f32 v[10:11], v[12:13], v[20:21]
	s_wait_dscnt 0x2
	v_pk_add_f32 v[12:13], v[14:15], v[22:23]
	s_wait_dscnt 0x0
	v_pk_add_f32 v[14:15], v[16:17], v[24:25]
	ds_bpermute_b32 v16, v26, v8
	ds_bpermute_b32 v17, v26, v9
	;; [unrolled: 1-line block ×8, first 2 shown]
	s_wait_dscnt 0x6
	v_pk_add_f32 v[26:27], v[8:9], v[16:17]
	s_wait_dscnt 0x4
	v_pk_add_f32 v[24:25], v[10:11], v[18:19]
	;; [unrolled: 2-line block ×4, first 2 shown]
	s_cbranch_vccz .LBB21_13
; %bb.12:
	s_ashr_i32 s3, s2, 31
	v_dual_mov_b32 v8, 0 :: v_dual_max_num_f32 v9, v1, v1
	s_lshl_b64 s[4:5], s[2:3], 2
	v_dual_max_num_f32 v11, v3, v3 :: v_dual_max_num_f32 v12, v4, v4
	s_add_nc_u64 s[4:5], s[12:13], s[4:5]
	v_max_num_f32_e32 v10, v2, v2
	global_load_b128 v[16:19], v8, s[4:5]
	s_wait_xcnt 0x0
	v_dual_max_num_f32 v8, v0, v0 :: v_dual_max_num_f32 v13, v5, v5
	s_wait_loadcnt 0x0
	v_dual_max_num_f32 v14, v6, v6 :: v_dual_max_num_f32 v15, v16, v16
	v_dual_max_num_f32 v29, v17, v17 :: v_dual_max_num_f32 v30, v18, v18
	v_max_num_f32_e32 v31, v19, v19
	v_max_num_f32_e32 v32, v7, v7
	s_delay_alu instid0(VALU_DEP_3) | instskip(NEXT) | instid1(VALU_DEP_3)
	v_dual_max_num_f32 v8, v8, v15 :: v_dual_max_num_f32 v9, v9, v29
	v_dual_max_num_f32 v10, v10, v30 :: v_dual_max_num_f32 v11, v11, v31
	;; [unrolled: 1-line block ×3, first 2 shown]
	s_delay_alu instid0(VALU_DEP_3) | instskip(NEXT) | instid1(VALU_DEP_4)
	v_dual_max_num_f32 v14, v14, v30 :: v_dual_sub_f32 v0, v0, v8
	v_dual_sub_f32 v30, v17, v9 :: v_dual_max_num_f32 v15, v32, v31
	v_dual_sub_f32 v1, v1, v9 :: v_dual_sub_f32 v29, v16, v8
	v_sub_f32_e32 v31, v2, v10
	v_dual_sub_f32 v32, v18, v10 :: v_dual_sub_f32 v33, v3, v11
	v_dual_sub_f32 v34, v19, v11 :: v_dual_sub_f32 v35, v4, v12
	v_mul_f32_e32 v2, 0x3fb8aa3b, v0
	v_dual_sub_f32 v36, v16, v12 :: v_dual_sub_f32 v37, v5, v13
	v_dual_sub_f32 v38, v17, v13 :: v_dual_sub_f32 v39, v6, v14
	;; [unrolled: 1-line block ×3, first 2 shown]
	v_dual_sub_f32 v42, v19, v15 :: v_dual_mul_f32 v3, 0x3fb8aa3b, v29
	v_dual_mul_f32 v4, 0x3fb8aa3b, v1 :: v_dual_mul_f32 v7, 0x3fb8aa3b, v32
	v_dual_mul_f32 v5, 0x3fb8aa3b, v30 :: v_dual_mul_f32 v16, 0x3fb8aa3b, v33
	v_dual_mul_f32 v19, 0x3fb8aa3b, v36 :: v_dual_mul_f32 v18, 0x3fb8aa3b, v35
	v_mul_f32_e32 v43, 0x3fb8aa3b, v37
	v_fma_f32 v49, 0x3fb8aa3b, v0, -v2
	v_rndne_f32_e32 v50, v2
	v_dual_mul_f32 v6, 0x3fb8aa3b, v31 :: v_dual_mul_f32 v17, 0x3fb8aa3b, v34
	v_dual_mul_f32 v44, 0x3fb8aa3b, v38 :: v_dual_mul_f32 v45, 0x3fb8aa3b, v39
	;; [unrolled: 1-line block ×3, first 2 shown]
	v_fma_f32 v51, 0x3fb8aa3b, v29, -v3
	v_rndne_f32_e32 v52, v3
	v_fma_f32 v53, 0x3fb8aa3b, v1, -v4
	v_rndne_f32_e32 v54, v4
	;; [unrolled: 2-line block ×3, first 2 shown]
	v_rndne_f32_e32 v62, v16
	v_rndne_f32_e32 v77, v18
	v_dual_fmac_f32 v49, 0x32a5705f, v0 :: v_dual_sub_f32 v2, v2, v50
	v_dual_mul_f32 v48, 0x3fb8aa3b, v42 :: v_dual_sub_f32 v3, v3, v52
	v_rndne_f32_e32 v58, v6
	v_fma_f32 v59, 0x3fb8aa3b, v32, -v7
	v_rndne_f32_e32 v60, v7
	v_fma_f32 v61, 0x3fb8aa3b, v33, -v16
	v_fma_f32 v65, 0x3fb8aa3b, v35, -v18
	;; [unrolled: 1-line block ×5, first 2 shown]
	v_dual_fmac_f32 v51, 0x32a5705f, v29 :: v_dual_sub_f32 v4, v4, v54
	v_fmac_f32_e32 v53, 0x32a5705f, v1
	v_dual_fmac_f32 v55, 0x32a5705f, v30 :: v_dual_sub_f32 v18, v18, v77
	v_dual_sub_f32 v5, v5, v56 :: v_dual_sub_f32 v16, v16, v62
	v_add_f32_e32 v2, v2, v49
	v_fma_f32 v57, 0x3fb8aa3b, v31, -v6
	v_dual_sub_f32 v6, v6, v58 :: v_dual_fmac_f32 v59, 0x32a5705f, v32
	v_dual_fmac_f32 v80, 0x32a5705f, v37 :: v_dual_sub_f32 v7, v7, v60
	v_fmac_f32_e32 v82, 0x32a5705f, v38
	v_dual_fmac_f32 v88, 0x32a5705f, v41 :: v_dual_add_f32 v3, v3, v51
	s_delay_alu instid0(VALU_DEP_3)
	v_dual_add_f32 v4, v4, v53 :: v_dual_add_f32 v7, v7, v59
	v_add_f32_e32 v5, v5, v55
	v_exp_f32_e32 v2, v2
	v_cvt_i32_f32_e32 v50, v50
	v_exp_f32_e32 v3, v3
	v_exp_f32_e32 v4, v4
	v_rndne_f32_e32 v85, v45
	v_rndne_f32_e32 v89, v47
	v_fma_f32 v90, 0x3fb8aa3b, v42, -v48
	v_rndne_f32_e32 v91, v48
	v_cvt_i32_f32_e32 v52, v52
	v_cvt_i32_f32_e32 v54, v54
	v_ldexp_f32 v2, v2, v50
	v_cmp_ngt_f32_e32 vcc_lo, 0xc2ce8ed0, v0
	v_fma_f32 v63, 0x3fb8aa3b, v34, -v17
	v_rndne_f32_e32 v64, v17
	v_fma_f32 v78, 0x3fb8aa3b, v36, -v19
	v_rndne_f32_e32 v79, v19
	v_fma_f32 v84, 0x3fb8aa3b, v39, -v45
	v_fmac_f32_e32 v57, 0x32a5705f, v31
	v_dual_sub_f32 v45, v45, v85 :: v_dual_fmac_f32 v90, 0x32a5705f, v42
	v_dual_sub_f32 v47, v47, v89 :: v_dual_sub_f32 v48, v48, v91
	v_ldexp_f32 v3, v3, v52
	v_ldexp_f32 v4, v4, v54
	v_cndmask_b32_e32 v2, 0, v2, vcc_lo
	v_cmp_ngt_f32_e32 vcc_lo, 0xc2ce8ed0, v29
	v_dual_fmac_f32 v63, 0x32a5705f, v34 :: v_dual_fmac_f32 v84, 0x32a5705f, v39
	v_dual_sub_f32 v17, v17, v64 :: v_dual_sub_f32 v19, v19, v79
	v_fmac_f32_e32 v78, 0x32a5705f, v36
	v_add_f32_e32 v6, v6, v57
	v_exp_f32_e32 v5, v5
	v_cvt_i32_f32_e32 v56, v56
	v_dual_add_f32 v48, v48, v90 :: v_dual_cndmask_b32 v3, 0, v3
	v_cmp_ngt_f32_e32 vcc_lo, 0xc2ce8ed0, v1
	v_rndne_f32_e32 v83, v44
	v_fmac_f32_e32 v61, 0x32a5705f, v33
	v_add_f32_e32 v17, v17, v63
	v_exp_f32_e32 v6, v6
	v_cvt_i32_f32_e32 v58, v58
	v_ldexp_f32 v5, v5, v56
	v_cndmask_b32_e32 v4, 0, v4, vcc_lo
	v_cmp_ngt_f32_e32 vcc_lo, 0xc2ce8ed0, v30
	v_sub_f32_e32 v44, v44, v83
	v_dual_add_f32 v16, v16, v61 :: v_dual_add_f32 v19, v19, v78
	v_exp_f32_e32 v7, v7
	v_cvt_i32_f32_e32 v60, v60
	v_ldexp_f32 v6, v6, v58
	v_cndmask_b32_e32 v5, 0, v5, vcc_lo
	v_cmp_ngt_f32_e32 vcc_lo, 0xc2ce8ed0, v31
	v_rndne_f32_e32 v81, v43
	v_fma_f32 v86, 0x3fb8aa3b, v40, -v46
	v_rndne_f32_e32 v87, v46
	v_fmac_f32_e32 v65, 0x32a5705f, v35
	v_exp_f32_e32 v16, v16
	v_cvt_i32_f32_e32 v62, v62
	v_ldexp_f32 v7, v7, v60
	v_cndmask_b32_e32 v6, 0, v6, vcc_lo
	v_cmp_ngt_f32_e32 vcc_lo, 0xc2ce8ed0, v32
	v_dual_sub_f32 v43, v43, v81 :: v_dual_sub_f32 v46, v46, v87
	v_fmac_f32_e32 v86, 0x32a5705f, v40
	v_add_f32_e32 v18, v18, v65
	v_exp_f32_e32 v17, v17
	v_cvt_i32_f32_e32 v64, v64
	v_ldexp_f32 v16, v16, v62
	v_cndmask_b32_e32 v7, 0, v7, vcc_lo
	v_cmp_ngt_f32_e32 vcc_lo, 0xc2ce8ed0, v33
	v_add_f32_e32 v43, v43, v80
	v_exp_f32_e32 v18, v18
	v_cvt_i32_f32_e32 v77, v77
	v_ldexp_f32 v17, v17, v64
	v_cndmask_b32_e32 v16, 0, v16, vcc_lo
	v_cmp_ngt_f32_e32 vcc_lo, 0xc2ce8ed0, v34
	v_dual_add_f32 v44, v44, v82 :: v_dual_add_f32 v45, v45, v84
	v_exp_f32_e32 v19, v19
	v_cvt_i32_f32_e32 v79, v79
	v_ldexp_f32 v18, v18, v77
	v_cndmask_b32_e32 v17, 0, v17, vcc_lo
	v_cmp_ngt_f32_e32 vcc_lo, 0xc2ce8ed0, v35
	v_exp_f32_e32 v43, v43
	v_exp_f32_e32 v44, v44
	v_cvt_i32_f32_e32 v81, v81
	v_cvt_i32_f32_e32 v83, v83
	v_ldexp_f32 v19, v19, v79
	v_cndmask_b32_e32 v18, 0, v18, vcc_lo
	v_cmp_ngt_f32_e32 vcc_lo, 0xc2ce8ed0, v36
	v_exp_f32_e32 v45, v45
	v_cvt_i32_f32_e32 v85, v85
	v_ldexp_f32 v43, v43, v81
	v_ldexp_f32 v44, v44, v83
	v_cndmask_b32_e32 v19, 0, v19, vcc_lo
	v_cmp_ngt_f32_e32 vcc_lo, 0xc2ce8ed0, v37
	v_dual_add_f32 v46, v46, v86 :: v_dual_add_f32 v47, v47, v88
	v_ldexp_f32 v45, v45, v85
	v_cvt_i32_f32_e32 v87, v87
	v_cndmask_b32_e32 v43, 0, v43, vcc_lo
	v_cmp_ngt_f32_e32 vcc_lo, 0xc2ce8ed0, v38
	v_exp_f32_e32 v46, v46
	v_exp_f32_e32 v47, v47
	v_cvt_i32_f32_e32 v89, v89
	v_exp_f32_e32 v48, v48
	v_cndmask_b32_e32 v44, 0, v44, vcc_lo
	v_cmp_ngt_f32_e32 vcc_lo, 0xc2ce8ed0, v39
	v_cvt_i32_f32_e32 v91, v91
	v_ldexp_f32 v46, v46, v87
	v_ldexp_f32 v47, v47, v89
	v_cndmask_b32_e32 v45, 0, v45, vcc_lo
	v_cmp_ngt_f32_e32 vcc_lo, 0xc2ce8ed0, v40
	v_ldexp_f32 v48, v48, v91
	v_cndmask_b32_e32 v46, 0, v46, vcc_lo
	v_cmp_ngt_f32_e32 vcc_lo, 0xc2ce8ed0, v41
	v_cndmask_b32_e32 v47, 0, v47, vcc_lo
	v_cmp_ngt_f32_e32 vcc_lo, 0xc2ce8ed0, v42
	v_cndmask_b32_e32 v48, 0, v48, vcc_lo
	v_cmp_nlt_f32_e32 vcc_lo, 0x42b17218, v0
	v_cndmask_b32_e32 v0, 0x7f800000, v2, vcc_lo
	v_cmp_nlt_f32_e32 vcc_lo, 0x42b17218, v29
	s_delay_alu instid0(VALU_DEP_2)
	v_cvt_f16_f32_e32 v29, v0
	v_cndmask_b32_e32 v2, 0x7f800000, v3, vcc_lo
	v_cmp_nlt_f32_e32 vcc_lo, 0x42b17218, v1
	v_cndmask_b32_e32 v1, 0x7f800000, v4, vcc_lo
	v_cmp_nlt_f32_e32 vcc_lo, 0x42b17218, v30
	;; [unrolled: 2-line block ×3, first 2 shown]
	s_delay_alu instid0(VALU_DEP_2)
	v_pk_fma_f32 v[26:27], v[26:27], v[0:1], v[2:3]
	v_cndmask_b32_e32 v4, 0x7f800000, v6, vcc_lo
	v_cmp_nlt_f32_e32 vcc_lo, 0x42b17218, v32
	v_cndmask_b32_e32 v6, 0x7f800000, v7, vcc_lo
	v_cmp_nlt_f32_e32 vcc_lo, 0x42b17218, v33
	;; [unrolled: 2-line block ×3, first 2 shown]
	v_cvt_f16_f32_e32 v34, v1
	v_and_b32_e32 v1, 0xffff, v29
	v_cndmask_b32_e32 v7, 0x7f800000, v17, vcc_lo
	v_cmp_nlt_f32_e32 vcc_lo, 0x42b17218, v35
	v_cvt_f16_f32_e32 v35, v4
	v_and_b32_e32 v2, 0xffff, v34
	v_mul_u32_u24_e32 v1, 0x10001, v1
	v_pk_fma_f32 v[24:25], v[24:25], v[4:5], v[6:7]
	v_cndmask_b32_e32 v16, 0x7f800000, v18, vcc_lo
	v_cmp_nlt_f32_e32 vcc_lo, 0x42b17218, v36
	v_cvt_f16_f32_e32 v36, v5
	v_and_b32_e32 v3, 0xffff, v35
	v_mul_u32_u24_e32 v2, 0x10001, v2
	v_pk_mul_f16 v113, v113, v1
	v_cndmask_b32_e32 v18, 0x7f800000, v19, vcc_lo
	v_cmp_nlt_f32_e32 vcc_lo, 0x42b17218, v37
	v_cvt_f16_f32_e32 v37, v16
	v_and_b32_e32 v4, 0xffff, v36
	v_mul_u32_u24_e32 v3, 0x10001, v3
	v_pk_mul_f16 v112, v112, v2
	v_cndmask_b32_e32 v17, 0x7f800000, v43, vcc_lo
	v_cmp_nlt_f32_e32 vcc_lo, 0x42b17218, v38
	v_and_b32_e32 v5, 0xffff, v37
	v_mul_u32_u24_e32 v4, 0x10001, v4
	v_pk_mul_f16 v111, v111, v3
	v_cvt_f16_f32_e32 v38, v17
	v_cndmask_b32_e32 v19, 0x7f800000, v44, vcc_lo
	v_cmp_nlt_f32_e32 vcc_lo, 0x42b17218, v39
	v_mul_u32_u24_e32 v5, 0x10001, v5
	v_pk_mul_f16 v110, v110, v4
	v_and_b32_e32 v6, 0xffff, v38
	v_pk_fma_f32 v[22:23], v[22:23], v[16:17], v[18:19]
	v_cndmask_b32_e32 v30, 0x7f800000, v45, vcc_lo
	v_cmp_nlt_f32_e32 vcc_lo, 0x42b17218, v40
	v_pk_mul_f16 v109, v109, v5
	v_mul_u32_u24_e32 v6, 0x10001, v6
	s_delay_alu instid0(VALU_DEP_4) | instskip(SKIP_2) | instid1(VALU_DEP_4)
	v_cvt_f16_f32_e32 v39, v30
	v_cndmask_b32_e32 v32, 0x7f800000, v46, vcc_lo
	v_cmp_nlt_f32_e32 vcc_lo, 0x42b17218, v41
	v_pk_mul_f16 v108, v108, v6
	s_delay_alu instid0(VALU_DEP_4) | instskip(SKIP_2) | instid1(VALU_DEP_3)
	v_and_b32_e32 v7, 0xffff, v39
	v_cndmask_b32_e32 v31, 0x7f800000, v47, vcc_lo
	v_cmp_nlt_f32_e32 vcc_lo, 0x42b17218, v42
	v_mul_u32_u24_e32 v7, 0x10001, v7
	s_delay_alu instid0(VALU_DEP_3) | instskip(SKIP_1) | instid1(VALU_DEP_3)
	v_cvt_f16_f32_e32 v0, v31
	v_cndmask_b32_e32 v33, 0x7f800000, v48, vcc_lo
	v_pk_mul_f16 v107, v107, v7
	s_delay_alu instid0(VALU_DEP_3) | instskip(NEXT) | instid1(VALU_DEP_3)
	v_and_b32_e32 v0, 0xffff, v0
	v_pk_fma_f32 v[20:21], v[20:21], v[30:31], v[32:33]
	s_delay_alu instid0(VALU_DEP_2) | instskip(NEXT) | instid1(VALU_DEP_1)
	v_mul_u32_u24_e32 v0, 0x10001, v0
	v_pk_mul_f16 v106, v106, v0
	v_mov_b64_e32 v[0:1], v[8:9]
	v_mov_b64_e32 v[2:3], v[10:11]
	;; [unrolled: 1-line block ×4, first 2 shown]
.LBB21_13:
	s_mov_b32 s3, exec_lo
	v_cmpx_gt_i32_e64 s22, v75
	s_cbranch_execz .LBB21_50
; %bb.14:
	s_load_b32 s0, s[0:1], 0xd4
	v_mov_b32_e32 v8, 1.0
	s_wait_kmcnt 0x0
	s_cmp_lg_u32 s0, 1
	s_cselect_b32 s3, -1, 0
	s_cmp_eq_u32 s0, 1
	s_cselect_b32 s4, -1, 0
	s_and_b32 vcc_lo, exec_lo, s3
	s_cbranch_vccnz .LBB21_16
; %bb.15:
	v_div_scale_f32 v8, null, v26, v26, 1.0
	s_delay_alu instid0(VALU_DEP_1) | instskip(SKIP_1) | instid1(TRANS32_DEP_1)
	v_rcp_f32_e32 v9, v8
	v_nop
	v_fma_f32 v10, -v8, v9, 1.0
	s_delay_alu instid0(VALU_DEP_1) | instskip(SKIP_1) | instid1(VALU_DEP_1)
	v_fmac_f32_e32 v9, v10, v9
	v_div_scale_f32 v10, vcc_lo, 1.0, v26, 1.0
	v_mul_f32_e32 v11, v10, v9
	s_delay_alu instid0(VALU_DEP_1) | instskip(NEXT) | instid1(VALU_DEP_1)
	v_fma_f32 v12, -v8, v11, v10
	v_fmac_f32_e32 v11, v12, v9
	s_delay_alu instid0(VALU_DEP_1) | instskip(NEXT) | instid1(VALU_DEP_1)
	v_fma_f32 v8, -v8, v11, v10
	v_div_fmas_f32 v8, v8, v9, v11
	s_delay_alu instid0(VALU_DEP_1)
	v_div_fixup_f32 v8, v8, v26, 1.0
.LBB21_16:
	s_mul_i32 s1, s28, s22
	v_cvt_f32_f16_e32 v14, v113
	s_add_co_i32 s1, s1, s33
	v_cmp_eq_u32_e32 vcc_lo, 0, v76
	v_dual_add_nc_u32 v9, s1, v74 :: v_dual_lshrrev_b32 v11, 16, v113
	v_mov_b32_e32 v13, 0
	s_and_b32 s3, vcc_lo, s3
	s_delay_alu instid0(VALU_DEP_2) | instskip(NEXT) | instid1(VALU_DEP_3)
	v_mul_lo_u32 v9, v9, s23
	v_cvt_f32_f16_e32 v15, v11
	s_delay_alu instid0(VALU_DEP_2) | instskip(NEXT) | instid1(VALU_DEP_2)
	v_add_nc_u32_e32 v10, s2, v9
	v_pk_mul_f32 v[14:15], v[8:9], v[14:15] op_sel_hi:[0,1]
	s_delay_alu instid0(VALU_DEP_2) | instskip(NEXT) | instid1(VALU_DEP_1)
	v_mad_u32 v10, s0, v10, s31
	v_lshl_add_u32 v12, v10, 6, v28
	s_delay_alu instid0(VALU_DEP_1)
	v_lshl_add_u64 v[12:13], v[12:13], 2, s[16:17]
	global_store_b64 v[12:13], v[14:15], off
	s_wait_xcnt 0x0
	s_and_saveexec_b32 s5, s3
	s_cbranch_execz .LBB21_18
; %bb.17:
	v_dual_mov_b32 v12, v0 :: v_dual_mov_b32 v13, v26
	global_store_b64 v10, v[12:13], s[18:19] scale_offset
.LBB21_18:
	s_wait_xcnt 0x0
	s_or_b32 exec_lo, exec_lo, s5
	v_cndmask_b32_e64 v8, 0, 1, s4
	v_mov_b32_e32 v0, 1.0
	s_and_not1_b32 vcc_lo, exec_lo, s4
	s_cbranch_vccnz .LBB21_20
; %bb.19:
	v_div_scale_f32 v0, null, v27, v27, 1.0
	s_delay_alu instid0(VALU_DEP_1) | instskip(SKIP_1) | instid1(TRANS32_DEP_1)
	v_rcp_f32_e32 v10, v0
	v_nop
	v_fma_f32 v11, -v0, v10, 1.0
	s_delay_alu instid0(VALU_DEP_1) | instskip(SKIP_1) | instid1(VALU_DEP_1)
	v_fmac_f32_e32 v10, v11, v10
	v_div_scale_f32 v11, vcc_lo, 1.0, v27, 1.0
	v_mul_f32_e32 v12, v11, v10
	s_delay_alu instid0(VALU_DEP_1) | instskip(NEXT) | instid1(VALU_DEP_1)
	v_fma_f32 v13, -v0, v12, v11
	v_fmac_f32_e32 v12, v13, v10
	s_delay_alu instid0(VALU_DEP_1) | instskip(NEXT) | instid1(VALU_DEP_1)
	v_fma_f32 v0, -v0, v12, v11
	v_div_fmas_f32 v0, v0, v10, v12
	s_delay_alu instid0(VALU_DEP_1)
	v_div_fixup_f32 v0, v0, v27, 1.0
.LBB21_20:
	s_add_co_i32 s6, s2, 1
	s_delay_alu instid0(SALU_CYCLE_1) | instskip(SKIP_2) | instid1(VALU_DEP_3)
	v_dual_mov_b32 v13, 0 :: v_dual_add_nc_u32 v10, s6, v9
	v_lshrrev_b32_e32 v11, 16, v112
	v_cvt_f32_f16_e32 v14, v112
	v_mad_u32 v10, s0, v10, s31
	s_delay_alu instid0(VALU_DEP_3) | instskip(NEXT) | instid1(VALU_DEP_1)
	v_cvt_f32_f16_e32 v15, v11
	v_pk_mul_f32 v[14:15], v[0:1], v[14:15] op_sel_hi:[0,1]
	s_delay_alu instid0(VALU_DEP_3) | instskip(NEXT) | instid1(VALU_DEP_1)
	v_lshl_add_u32 v12, v10, 6, v28
	v_lshl_add_u64 v[12:13], v[12:13], 2, s[16:17]
	global_store_b64 v[12:13], v[14:15], off
	s_wait_xcnt 0x0
	s_and_saveexec_b32 s4, s3
	s_cbranch_execz .LBB21_22
; %bb.21:
	v_mov_b32_e32 v26, v1
	global_store_b64 v10, v[26:27], s[18:19] scale_offset
.LBB21_22:
	s_wait_xcnt 0x0
	s_or_b32 exec_lo, exec_lo, s4
	v_cmp_ne_u32_e32 vcc_lo, 1, v8
	v_mov_b32_e32 v0, 1.0
	s_cbranch_vccnz .LBB21_24
; %bb.23:
	v_div_scale_f32 v0, null, v24, v24, 1.0
	s_delay_alu instid0(VALU_DEP_1) | instskip(SKIP_1) | instid1(TRANS32_DEP_1)
	v_rcp_f32_e32 v1, v0
	v_nop
	v_fma_f32 v10, -v0, v1, 1.0
	s_delay_alu instid0(VALU_DEP_1) | instskip(SKIP_1) | instid1(VALU_DEP_1)
	v_fmac_f32_e32 v1, v10, v1
	v_div_scale_f32 v10, vcc_lo, 1.0, v24, 1.0
	v_mul_f32_e32 v11, v10, v1
	s_delay_alu instid0(VALU_DEP_1) | instskip(NEXT) | instid1(VALU_DEP_1)
	v_fma_f32 v12, -v0, v11, v10
	v_fmac_f32_e32 v11, v12, v1
	s_delay_alu instid0(VALU_DEP_1) | instskip(NEXT) | instid1(VALU_DEP_1)
	v_fma_f32 v0, -v0, v11, v10
	v_div_fmas_f32 v0, v0, v1, v11
	s_delay_alu instid0(VALU_DEP_1)
	v_div_fixup_f32 v0, v0, v24, 1.0
.LBB21_24:
	s_add_co_i32 s5, s2, 2
	s_delay_alu instid0(SALU_CYCLE_1) | instskip(SKIP_2) | instid1(VALU_DEP_3)
	v_dual_mov_b32 v11, 0 :: v_dual_add_nc_u32 v1, s5, v9
	v_lshrrev_b32_e32 v13, 16, v111
	v_cvt_f32_f16_e32 v12, v111
	v_mad_u32 v1, s0, v1, s31
	s_delay_alu instid0(VALU_DEP_3) | instskip(NEXT) | instid1(VALU_DEP_2)
	v_cvt_f32_f16_e32 v13, v13
	v_lshl_add_u32 v10, v1, 6, v28
	s_delay_alu instid0(VALU_DEP_2) | instskip(NEXT) | instid1(VALU_DEP_2)
	v_pk_mul_f32 v[12:13], v[0:1], v[12:13] op_sel_hi:[0,1]
	v_lshl_add_u64 v[10:11], v[10:11], 2, s[16:17]
	global_store_b64 v[10:11], v[12:13], off
	s_wait_xcnt 0x0
	s_and_saveexec_b32 s4, s3
	s_cbranch_execz .LBB21_26
; %bb.25:
	v_dual_mov_b32 v10, v2 :: v_dual_mov_b32 v11, v24
	global_store_b64 v1, v[10:11], s[18:19] scale_offset
.LBB21_26:
	s_wait_xcnt 0x0
	s_or_b32 exec_lo, exec_lo, s4
	v_cmp_ne_u32_e32 vcc_lo, 1, v8
	v_mov_b32_e32 v0, 1.0
	s_cbranch_vccnz .LBB21_28
; %bb.27:
	v_div_scale_f32 v0, null, v25, v25, 1.0
	s_delay_alu instid0(VALU_DEP_1) | instskip(SKIP_1) | instid1(TRANS32_DEP_1)
	v_rcp_f32_e32 v1, v0
	v_nop
	v_fma_f32 v2, -v0, v1, 1.0
	s_delay_alu instid0(VALU_DEP_1) | instskip(SKIP_1) | instid1(VALU_DEP_1)
	v_fmac_f32_e32 v1, v2, v1
	v_div_scale_f32 v2, vcc_lo, 1.0, v25, 1.0
	v_mul_f32_e32 v10, v2, v1
	s_delay_alu instid0(VALU_DEP_1) | instskip(NEXT) | instid1(VALU_DEP_1)
	v_fma_f32 v11, -v0, v10, v2
	v_fmac_f32_e32 v10, v11, v1
	s_delay_alu instid0(VALU_DEP_1) | instskip(NEXT) | instid1(VALU_DEP_1)
	v_fma_f32 v0, -v0, v10, v2
	v_div_fmas_f32 v0, v0, v1, v10
	s_delay_alu instid0(VALU_DEP_1)
	v_div_fixup_f32 v0, v0, v25, 1.0
.LBB21_28:
	s_add_co_i32 s4, s2, 3
	s_delay_alu instid0(SALU_CYCLE_1) | instskip(SKIP_2) | instid1(VALU_DEP_3)
	v_dual_mov_b32 v11, 0 :: v_dual_add_nc_u32 v1, s4, v9
	v_lshrrev_b32_e32 v2, 16, v110
	v_cvt_f32_f16_e32 v12, v110
	v_mad_u32 v1, s0, v1, s31
	s_delay_alu instid0(VALU_DEP_3) | instskip(NEXT) | instid1(VALU_DEP_2)
	v_cvt_f32_f16_e32 v13, v2
	v_lshl_add_u32 v10, v1, 6, v28
	s_delay_alu instid0(VALU_DEP_2) | instskip(NEXT) | instid1(VALU_DEP_2)
	v_pk_mul_f32 v[12:13], v[0:1], v[12:13] op_sel_hi:[0,1]
	v_lshl_add_u64 v[10:11], v[10:11], 2, s[16:17]
	global_store_b64 v[10:11], v[12:13], off
	s_wait_xcnt 0x0
	s_and_saveexec_b32 s7, s3
	s_cbranch_execz .LBB21_30
; %bb.29:
	v_mov_b32_e32 v24, v3
	global_store_b64 v1, v[24:25], s[18:19] scale_offset
.LBB21_30:
	s_wait_xcnt 0x0
	s_or_b32 exec_lo, exec_lo, s7
	v_cmp_gt_i32_e32 vcc_lo, s22, v73
	s_and_b32 exec_lo, exec_lo, vcc_lo
	s_cbranch_execz .LBB21_50
; %bb.31:
	v_cmp_ne_u32_e32 vcc_lo, 1, v8
	v_mov_b32_e32 v0, 1.0
	s_cbranch_vccnz .LBB21_33
; %bb.32:
	v_div_scale_f32 v0, null, v22, v22, 1.0
	s_delay_alu instid0(VALU_DEP_1) | instskip(SKIP_1) | instid1(TRANS32_DEP_1)
	v_rcp_f32_e32 v1, v0
	v_nop
	v_fma_f32 v2, -v0, v1, 1.0
	s_delay_alu instid0(VALU_DEP_1) | instskip(SKIP_1) | instid1(VALU_DEP_1)
	v_fmac_f32_e32 v1, v2, v1
	v_div_scale_f32 v2, vcc_lo, 1.0, v22, 1.0
	v_mul_f32_e32 v3, v2, v1
	s_delay_alu instid0(VALU_DEP_1) | instskip(NEXT) | instid1(VALU_DEP_1)
	v_fma_f32 v9, -v0, v3, v2
	v_fmac_f32_e32 v3, v9, v1
	s_delay_alu instid0(VALU_DEP_1) | instskip(NEXT) | instid1(VALU_DEP_1)
	v_fma_f32 v0, -v0, v3, v2
	v_div_fmas_f32 v0, v0, v1, v3
	s_delay_alu instid0(VALU_DEP_1)
	v_div_fixup_f32 v0, v0, v22, 1.0
.LBB21_33:
	v_dual_add_nc_u32 v1, s1, v72 :: v_dual_lshrrev_b32 v9, 16, v109
	v_mov_b32_e32 v3, 0
	v_cvt_f32_f16_e32 v10, v109
	s_delay_alu instid0(VALU_DEP_3) | instskip(NEXT) | instid1(VALU_DEP_4)
	v_mad_u32 v1, v1, s23, s2
	v_cvt_f32_f16_e32 v11, v9
	s_delay_alu instid0(VALU_DEP_2) | instskip(NEXT) | instid1(VALU_DEP_1)
	v_mad_u32 v1, s0, v1, s31
	v_lshl_add_u32 v2, v1, 6, v28
	s_delay_alu instid0(VALU_DEP_3) | instskip(NEXT) | instid1(VALU_DEP_2)
	v_pk_mul_f32 v[10:11], v[0:1], v[10:11] op_sel_hi:[0,1]
	v_lshl_add_u64 v[2:3], v[2:3], 2, s[16:17]
	global_store_b64 v[2:3], v[10:11], off
	s_wait_xcnt 0x0
	s_and_saveexec_b32 s2, s3
	s_cbranch_execz .LBB21_35
; %bb.34:
	v_dual_mov_b32 v2, v4 :: v_dual_mov_b32 v3, v22
	global_store_b64 v1, v[2:3], s[18:19] scale_offset
.LBB21_35:
	s_wait_xcnt 0x0
	s_or_b32 exec_lo, exec_lo, s2
	v_cmp_gt_i32_e32 vcc_lo, s22, v71
	s_and_b32 exec_lo, exec_lo, vcc_lo
	s_cbranch_execz .LBB21_50
; %bb.36:
	v_cmp_ne_u32_e32 vcc_lo, 1, v8
	v_mov_b32_e32 v0, 1.0
	s_cbranch_vccnz .LBB21_38
; %bb.37:
	v_div_scale_f32 v0, null, v23, v23, 1.0
	s_delay_alu instid0(VALU_DEP_1) | instskip(SKIP_1) | instid1(TRANS32_DEP_1)
	v_rcp_f32_e32 v1, v0
	v_nop
	v_fma_f32 v2, -v0, v1, 1.0
	s_delay_alu instid0(VALU_DEP_1) | instskip(SKIP_1) | instid1(VALU_DEP_1)
	v_fmac_f32_e32 v1, v2, v1
	v_div_scale_f32 v2, vcc_lo, 1.0, v23, 1.0
	v_mul_f32_e32 v3, v2, v1
	s_delay_alu instid0(VALU_DEP_1) | instskip(NEXT) | instid1(VALU_DEP_1)
	v_fma_f32 v4, -v0, v3, v2
	v_fmac_f32_e32 v3, v4, v1
	s_delay_alu instid0(VALU_DEP_1) | instskip(NEXT) | instid1(VALU_DEP_1)
	v_fma_f32 v0, -v0, v3, v2
	v_div_fmas_f32 v0, v0, v1, v3
	s_delay_alu instid0(VALU_DEP_1)
	v_div_fixup_f32 v0, v0, v23, 1.0
.LBB21_38:
	v_dual_add_nc_u32 v1, s1, v70 :: v_dual_lshrrev_b32 v4, 16, v108
	v_mov_b32_e32 v3, 0
	v_cvt_f32_f16_e32 v10, v108
	s_delay_alu instid0(VALU_DEP_3) | instskip(NEXT) | instid1(VALU_DEP_4)
	v_mad_u32 v1, v1, s23, s6
	v_cvt_f32_f16_e32 v11, v4
	s_delay_alu instid0(VALU_DEP_2) | instskip(NEXT) | instid1(VALU_DEP_1)
	v_mad_u32 v1, s0, v1, s31
	v_lshl_add_u32 v2, v1, 6, v28
	s_delay_alu instid0(VALU_DEP_3) | instskip(NEXT) | instid1(VALU_DEP_2)
	v_pk_mul_f32 v[10:11], v[0:1], v[10:11] op_sel_hi:[0,1]
	v_lshl_add_u64 v[2:3], v[2:3], 2, s[16:17]
	global_store_b64 v[2:3], v[10:11], off
	s_wait_xcnt 0x0
	s_and_saveexec_b32 s2, s3
	s_cbranch_execz .LBB21_40
; %bb.39:
	v_mov_b32_e32 v22, v5
	global_store_b64 v1, v[22:23], s[18:19] scale_offset
.LBB21_40:
	s_wait_xcnt 0x0
	s_or_b32 exec_lo, exec_lo, s2
	v_cmp_gt_i32_e32 vcc_lo, s22, v69
	s_and_b32 exec_lo, exec_lo, vcc_lo
	s_cbranch_execz .LBB21_50
; %bb.41:
	v_cmp_ne_u32_e32 vcc_lo, 1, v8
	v_mov_b32_e32 v0, 1.0
	s_cbranch_vccnz .LBB21_43
; %bb.42:
	v_div_scale_f32 v0, null, v20, v20, 1.0
	s_delay_alu instid0(VALU_DEP_1) | instskip(SKIP_1) | instid1(TRANS32_DEP_1)
	v_rcp_f32_e32 v1, v0
	v_nop
	v_fma_f32 v2, -v0, v1, 1.0
	s_delay_alu instid0(VALU_DEP_1) | instskip(SKIP_1) | instid1(VALU_DEP_1)
	v_fmac_f32_e32 v1, v2, v1
	v_div_scale_f32 v2, vcc_lo, 1.0, v20, 1.0
	v_mul_f32_e32 v3, v2, v1
	s_delay_alu instid0(VALU_DEP_1) | instskip(NEXT) | instid1(VALU_DEP_1)
	v_fma_f32 v4, -v0, v3, v2
	v_fmac_f32_e32 v3, v4, v1
	s_delay_alu instid0(VALU_DEP_1) | instskip(NEXT) | instid1(VALU_DEP_1)
	v_fma_f32 v0, -v0, v3, v2
	v_div_fmas_f32 v0, v0, v1, v3
	s_delay_alu instid0(VALU_DEP_1)
	v_div_fixup_f32 v0, v0, v20, 1.0
.LBB21_43:
	v_dual_add_nc_u32 v1, s1, v68 :: v_dual_lshrrev_b32 v5, 16, v107
	v_mov_b32_e32 v3, 0
	v_cvt_f32_f16_e32 v4, v107
	s_delay_alu instid0(VALU_DEP_3) | instskip(NEXT) | instid1(VALU_DEP_4)
	v_mad_u32 v1, v1, s23, s5
	v_cvt_f32_f16_e32 v5, v5
	s_delay_alu instid0(VALU_DEP_2) | instskip(NEXT) | instid1(VALU_DEP_1)
	v_mad_u32 v1, s0, v1, s31
	v_lshl_add_u32 v2, v1, 6, v28
	s_delay_alu instid0(VALU_DEP_3) | instskip(NEXT) | instid1(VALU_DEP_2)
	v_pk_mul_f32 v[4:5], v[0:1], v[4:5] op_sel_hi:[0,1]
	v_lshl_add_u64 v[2:3], v[2:3], 2, s[16:17]
	global_store_b64 v[2:3], v[4:5], off
	s_wait_xcnt 0x0
	s_and_saveexec_b32 s2, s3
	s_cbranch_execz .LBB21_45
; %bb.44:
	v_dual_mov_b32 v2, v6 :: v_dual_mov_b32 v3, v20
	global_store_b64 v1, v[2:3], s[18:19] scale_offset
.LBB21_45:
	s_wait_xcnt 0x0
	s_or_b32 exec_lo, exec_lo, s2
	v_cmp_gt_i32_e32 vcc_lo, s22, v67
	s_and_b32 exec_lo, exec_lo, vcc_lo
	s_cbranch_execz .LBB21_50
; %bb.46:
	v_cmp_ne_u32_e32 vcc_lo, 1, v8
	v_mov_b32_e32 v0, 1.0
	s_cbranch_vccnz .LBB21_48
; %bb.47:
	v_div_scale_f32 v0, null, v21, v21, 1.0
	s_delay_alu instid0(VALU_DEP_1) | instskip(SKIP_1) | instid1(TRANS32_DEP_1)
	v_rcp_f32_e32 v1, v0
	v_nop
	v_fma_f32 v2, -v0, v1, 1.0
	s_delay_alu instid0(VALU_DEP_1) | instskip(SKIP_1) | instid1(VALU_DEP_1)
	v_fmac_f32_e32 v1, v2, v1
	v_div_scale_f32 v2, vcc_lo, 1.0, v21, 1.0
	v_mul_f32_e32 v3, v2, v1
	s_delay_alu instid0(VALU_DEP_1) | instskip(NEXT) | instid1(VALU_DEP_1)
	v_fma_f32 v4, -v0, v3, v2
	v_fmac_f32_e32 v3, v4, v1
	s_delay_alu instid0(VALU_DEP_1) | instskip(NEXT) | instid1(VALU_DEP_1)
	v_fma_f32 v0, -v0, v3, v2
	v_div_fmas_f32 v0, v0, v1, v3
	s_delay_alu instid0(VALU_DEP_1)
	v_div_fixup_f32 v0, v0, v21, 1.0
.LBB21_48:
	v_dual_add_nc_u32 v1, s1, v66 :: v_dual_mov_b32 v3, 0
	v_lshrrev_b32_e32 v5, 16, v106
	v_cvt_f32_f16_e32 v4, v106
	s_delay_alu instid0(VALU_DEP_3) | instskip(NEXT) | instid1(VALU_DEP_3)
	v_mad_u32 v1, v1, s23, s4
	v_cvt_f32_f16_e32 v5, v5
	s_delay_alu instid0(VALU_DEP_2) | instskip(NEXT) | instid1(VALU_DEP_1)
	v_mad_u32 v1, s0, v1, s31
	v_lshl_add_u32 v2, v1, 6, v28
	s_delay_alu instid0(VALU_DEP_3) | instskip(NEXT) | instid1(VALU_DEP_2)
	v_pk_mul_f32 v[4:5], v[0:1], v[4:5] op_sel_hi:[0,1]
	v_lshl_add_u64 v[2:3], v[2:3], 2, s[16:17]
	global_store_b64 v[2:3], v[4:5], off
	s_wait_xcnt 0x0
	s_and_b32 exec_lo, exec_lo, s3
	s_cbranch_execz .LBB21_50
; %bb.49:
	v_mov_b32_e32 v20, v7
	global_store_b64 v1, v[20:21], s[18:19] scale_offset
.LBB21_50:
	s_sendmsg sendmsg(MSG_DEALLOC_VGPRS)
	s_endpgm
	.section	.rodata,"a",@progbits
	.p2align	6, 0x0
	.amdhsa_kernel _ZL15flash_attn_tileILi64ELi64ELi8ELi4ELb0EEvPKcS1_S1_S1_S1_PKiPfP15HIP_vector_typeIfLj2EEffffjfiS5_IjLj3EEiiiiiiiiiiiliiliiiiil
		.amdhsa_group_segment_fixed_size 17408
		.amdhsa_private_segment_fixed_size 0
		.amdhsa_kernarg_size 464
		.amdhsa_user_sgpr_count 2
		.amdhsa_user_sgpr_dispatch_ptr 0
		.amdhsa_user_sgpr_queue_ptr 0
		.amdhsa_user_sgpr_kernarg_segment_ptr 1
		.amdhsa_user_sgpr_dispatch_id 0
		.amdhsa_user_sgpr_kernarg_preload_length 0
		.amdhsa_user_sgpr_kernarg_preload_offset 0
		.amdhsa_user_sgpr_private_segment_size 0
		.amdhsa_wavefront_size32 1
		.amdhsa_uses_dynamic_stack 0
		.amdhsa_enable_private_segment 0
		.amdhsa_system_sgpr_workgroup_id_x 1
		.amdhsa_system_sgpr_workgroup_id_y 1
		.amdhsa_system_sgpr_workgroup_id_z 1
		.amdhsa_system_sgpr_workgroup_info 0
		.amdhsa_system_vgpr_workitem_id 1
		.amdhsa_next_free_vgpr 162
		.amdhsa_next_free_sgpr 46
		.amdhsa_named_barrier_count 0
		.amdhsa_reserve_vcc 1
		.amdhsa_float_round_mode_32 0
		.amdhsa_float_round_mode_16_64 0
		.amdhsa_float_denorm_mode_32 3
		.amdhsa_float_denorm_mode_16_64 3
		.amdhsa_fp16_overflow 0
		.amdhsa_memory_ordered 1
		.amdhsa_forward_progress 1
		.amdhsa_inst_pref_size 202
		.amdhsa_round_robin_scheduling 0
		.amdhsa_exception_fp_ieee_invalid_op 0
		.amdhsa_exception_fp_denorm_src 0
		.amdhsa_exception_fp_ieee_div_zero 0
		.amdhsa_exception_fp_ieee_overflow 0
		.amdhsa_exception_fp_ieee_underflow 0
		.amdhsa_exception_fp_ieee_inexact 0
		.amdhsa_exception_int_div_zero 0
	.end_amdhsa_kernel
	.section	.text._ZL15flash_attn_tileILi64ELi64ELi8ELi4ELb0EEvPKcS1_S1_S1_S1_PKiPfP15HIP_vector_typeIfLj2EEffffjfiS5_IjLj3EEiiiiiiiiiiiliiliiiiil,"axG",@progbits,_ZL15flash_attn_tileILi64ELi64ELi8ELi4ELb0EEvPKcS1_S1_S1_S1_PKiPfP15HIP_vector_typeIfLj2EEffffjfiS5_IjLj3EEiiiiiiiiiiiliiliiiiil,comdat
.Lfunc_end21:
	.size	_ZL15flash_attn_tileILi64ELi64ELi8ELi4ELb0EEvPKcS1_S1_S1_S1_PKiPfP15HIP_vector_typeIfLj2EEffffjfiS5_IjLj3EEiiiiiiiiiiiliiliiiiil, .Lfunc_end21-_ZL15flash_attn_tileILi64ELi64ELi8ELi4ELb0EEvPKcS1_S1_S1_S1_PKiPfP15HIP_vector_typeIfLj2EEffffjfiS5_IjLj3EEiiiiiiiiiiiliiliiiiil
                                        ; -- End function
	.set _ZL15flash_attn_tileILi64ELi64ELi8ELi4ELb0EEvPKcS1_S1_S1_S1_PKiPfP15HIP_vector_typeIfLj2EEffffjfiS5_IjLj3EEiiiiiiiiiiiliiliiiiil.num_vgpr, 162
	.set _ZL15flash_attn_tileILi64ELi64ELi8ELi4ELb0EEvPKcS1_S1_S1_S1_PKiPfP15HIP_vector_typeIfLj2EEffffjfiS5_IjLj3EEiiiiiiiiiiiliiliiiiil.num_agpr, 0
	.set _ZL15flash_attn_tileILi64ELi64ELi8ELi4ELb0EEvPKcS1_S1_S1_S1_PKiPfP15HIP_vector_typeIfLj2EEffffjfiS5_IjLj3EEiiiiiiiiiiiliiliiiiil.numbered_sgpr, 46
	.set _ZL15flash_attn_tileILi64ELi64ELi8ELi4ELb0EEvPKcS1_S1_S1_S1_PKiPfP15HIP_vector_typeIfLj2EEffffjfiS5_IjLj3EEiiiiiiiiiiiliiliiiiil.num_named_barrier, 0
	.set _ZL15flash_attn_tileILi64ELi64ELi8ELi4ELb0EEvPKcS1_S1_S1_S1_PKiPfP15HIP_vector_typeIfLj2EEffffjfiS5_IjLj3EEiiiiiiiiiiiliiliiiiil.private_seg_size, 0
	.set _ZL15flash_attn_tileILi64ELi64ELi8ELi4ELb0EEvPKcS1_S1_S1_S1_PKiPfP15HIP_vector_typeIfLj2EEffffjfiS5_IjLj3EEiiiiiiiiiiiliiliiiiil.uses_vcc, 1
	.set _ZL15flash_attn_tileILi64ELi64ELi8ELi4ELb0EEvPKcS1_S1_S1_S1_PKiPfP15HIP_vector_typeIfLj2EEffffjfiS5_IjLj3EEiiiiiiiiiiiliiliiiiil.uses_flat_scratch, 0
	.set _ZL15flash_attn_tileILi64ELi64ELi8ELi4ELb0EEvPKcS1_S1_S1_S1_PKiPfP15HIP_vector_typeIfLj2EEffffjfiS5_IjLj3EEiiiiiiiiiiiliiliiiiil.has_dyn_sized_stack, 0
	.set _ZL15flash_attn_tileILi64ELi64ELi8ELi4ELb0EEvPKcS1_S1_S1_S1_PKiPfP15HIP_vector_typeIfLj2EEffffjfiS5_IjLj3EEiiiiiiiiiiiliiliiiiil.has_recursion, 0
	.set _ZL15flash_attn_tileILi64ELi64ELi8ELi4ELb0EEvPKcS1_S1_S1_S1_PKiPfP15HIP_vector_typeIfLj2EEffffjfiS5_IjLj3EEiiiiiiiiiiiliiliiiiil.has_indirect_call, 0
	.section	.AMDGPU.csdata,"",@progbits
; Kernel info:
; codeLenInByte = 25760
; TotalNumSgprs: 48
; NumVgprs: 162
; ScratchSize: 0
; MemoryBound: 0
; FloatMode: 240
; IeeeMode: 1
; LDSByteSize: 17408 bytes/workgroup (compile time only)
; SGPRBlocks: 0
; VGPRBlocks: 10
; NumSGPRsForWavesPerEU: 48
; NumVGPRsForWavesPerEU: 162
; NamedBarCnt: 0
; Occupancy: 5
; WaveLimiterHint : 1
; COMPUTE_PGM_RSRC2:SCRATCH_EN: 0
; COMPUTE_PGM_RSRC2:USER_SGPR: 2
; COMPUTE_PGM_RSRC2:TRAP_HANDLER: 0
; COMPUTE_PGM_RSRC2:TGID_X_EN: 1
; COMPUTE_PGM_RSRC2:TGID_Y_EN: 1
; COMPUTE_PGM_RSRC2:TGID_Z_EN: 1
; COMPUTE_PGM_RSRC2:TIDIG_COMP_CNT: 1
	.section	.text._ZL33flash_attn_stream_k_fixup_uniformILi64ELi8ELi4EEvPfPK15HIP_vector_typeIfLj2EEiiiiiiS1_IjLj3EES5_S5_,"axG",@progbits,_ZL33flash_attn_stream_k_fixup_uniformILi64ELi8ELi4EEvPfPK15HIP_vector_typeIfLj2EEiiiiiiS1_IjLj3EES5_S5_,comdat
	.globl	_ZL33flash_attn_stream_k_fixup_uniformILi64ELi8ELi4EEvPfPK15HIP_vector_typeIfLj2EEiiiiiiS1_IjLj3EES5_S5_ ; -- Begin function _ZL33flash_attn_stream_k_fixup_uniformILi64ELi8ELi4EEvPfPK15HIP_vector_typeIfLj2EEiiiiiiS1_IjLj3EES5_S5_
	.p2align	8
	.type	_ZL33flash_attn_stream_k_fixup_uniformILi64ELi8ELi4EEvPfPK15HIP_vector_typeIfLj2EEiiiiiiS1_IjLj3EES5_S5_,@function
_ZL33flash_attn_stream_k_fixup_uniformILi64ELi8ELi4EEvPfPK15HIP_vector_typeIfLj2EEiiiiiiS1_IjLj3EES5_S5_: ; @_ZL33flash_attn_stream_k_fixup_uniformILi64ELi8ELi4EEvPfPK15HIP_vector_typeIfLj2EEiiiiiiS1_IjLj3EES5_S5_
; %bb.0:
	s_load_b256 s[4:11], s[0:1], 0x1c
	s_bfe_u32 s2, ttmp6, 0x40014
	s_lshr_b32 s3, ttmp7, 16
	s_add_co_i32 s2, s2, 1
	s_bfe_u32 s13, ttmp6, 0x40010
	s_mul_i32 s2, s3, s2
	s_bfe_u32 s12, ttmp6, 0x40008
	s_and_b32 s15, ttmp7, 0xffff
	s_add_co_i32 s13, s13, 1
	s_bfe_u32 s14, ttmp6, 0x4000c
	s_add_co_i32 s12, s12, s2
	s_mul_i32 s2, s15, s13
	s_bfe_u32 s13, ttmp6, 0x40004
	s_add_co_i32 s14, s14, 1
	s_add_co_i32 s13, s13, s2
	s_and_b32 s2, ttmp6, 15
	s_mul_i32 s14, ttmp9, s14
	s_getreg_b32 s20, hwreg(HW_REG_IB_STS2, 6, 4)
	s_add_co_i32 s2, s2, s14
	s_load_b128 s[16:19], s[0:1], 0x3c
	s_cmp_eq_u32 s20, 0
	s_cselect_b32 s14, ttmp9, s2
	s_cselect_b32 s13, s15, s13
	s_wait_kmcnt 0x0
	s_mul_hi_u32 s2, s7, s14
	s_cselect_b32 s12, s3, s12
	s_add_co_i32 s2, s14, s2
	s_delay_alu instid0(SALU_CYCLE_1) | instskip(NEXT) | instid1(SALU_CYCLE_1)
	s_lshr_b32 s7, s2, s8
	s_mul_i32 s2, s7, s9
	s_delay_alu instid0(SALU_CYCLE_1) | instskip(NEXT) | instid1(SALU_CYCLE_1)
	s_sub_co_i32 s8, s14, s2
	s_mul_hi_u32 s2, s8, s10
	s_delay_alu instid0(SALU_CYCLE_1) | instskip(SKIP_2) | instid1(SALU_CYCLE_1)
	s_add_co_i32 s9, s8, s2
	s_load_b64 s[2:3], s[0:1], 0x10
	s_lshr_b32 s15, s9, s11
	s_mul_i32 s9, s15, s16
	s_delay_alu instid0(SALU_CYCLE_1) | instskip(NEXT) | instid1(SALU_CYCLE_1)
	s_sub_co_i32 s8, s8, s9
	s_mul_hi_u32 s9, s8, s17
	s_delay_alu instid0(SALU_CYCLE_1) | instskip(NEXT) | instid1(SALU_CYCLE_1)
	s_add_co_i32 s9, s8, s9
	s_lshr_b32 s9, s9, s18
	s_delay_alu instid0(SALU_CYCLE_1) | instskip(SKIP_2) | instid1(SALU_CYCLE_1)
	s_mul_i32 s10, s9, s19
	s_lshl_b32 s17, s9, 2
	s_sub_co_i32 s16, s8, s10
	s_lshl_b32 s8, s16, 3
	s_delay_alu instid0(SALU_CYCLE_1) | instskip(SKIP_4) | instid1(SALU_CYCLE_1)
	s_add_co_i32 s8, s8, s13
	s_wait_kmcnt 0x0
	s_cmp_lt_i32 s8, s2
	s_cselect_b32 s8, -1, 0
	s_add_co_i32 s9, s17, s12
	s_cmp_lt_i32 s9, s5
	s_cselect_b32 s9, -1, 0
	s_delay_alu instid0(SALU_CYCLE_1) | instskip(NEXT) | instid1(SALU_CYCLE_1)
	s_and_b32 s8, s8, s9
	s_and_not1_b32 vcc_lo, exec_lo, s8
	s_cbranch_vccnz .LBB22_6
; %bb.1:
	s_mul_i32 s2, s7, s2
	s_load_b128 s[8:11], s[0:1], 0x0
	s_wait_xcnt 0x0
	s_add_co_i32 s0, s2, s13
	s_mul_i32 s15, s15, s5
	s_mul_i32 s0, s0, s3
	;; [unrolled: 1-line block ×3, first 2 shown]
	s_add_co_i32 s0, s0, s12
	s_lshl_b32 s1, s1, 9
	s_add_co_i32 s0, s0, s15
	s_mul_i32 s7, s6, s14
	s_add_co_i32 s0, s0, s17
	s_lshl_b32 s5, s13, 2
	s_lshl_b32 s0, s0, 6
	s_add_co_i32 s15, s7, s6
	s_add_co_i32 s1, s1, s0
	;; [unrolled: 1-line block ×3, first 2 shown]
	v_or_b32_e32 v4, s1, v0
	s_lshl_b32 s1, s15, 5
	s_add_co_i32 s2, s15, -2
	s_add_co_i32 s0, s0, s1
	s_delay_alu instid0(SALU_CYCLE_1)
	s_sub_co_i32 s0, s0, 32
	s_wait_kmcnt 0x0
	global_load_b32 v3, v4, s[8:9] scale_offset
	s_ashr_i32 s1, s0, 31
	v_ashrrev_i32_e32 v5, 31, v4
	s_lshl_b64 s[0:1], s[0:1], 3
	s_cmp_lt_i32 s2, s7
	s_add_nc_u64 s[0:1], s[10:11], s[0:1]
	s_load_b32 s16, s[0:1], 0x4
	s_cbranch_scc1 .LBB22_4
; %bb.2:
	s_wait_xcnt 0x0
	s_load_b32 s0, s[0:1], 0x0
	s_add_co_i32 s14, s14, 1
	s_lshl_b32 s3, s13, 8
	s_wait_xcnt 0x0
	s_mul_i32 s1, s6, s14
	s_lshl_b32 s6, s12, 6
	s_lshl_b32 s13, s1, 11
	s_add_co_i32 s6, s6, s3
	s_lshl_b32 s1, s1, 5
	s_add_co_i32 s6, s6, s13
	s_lshl_b32 s2, s4, 7
	s_wait_kmcnt 0x0
	v_dual_mov_b32 v2, s16 :: v_dual_bitop2_b32 v0, s6, v0 bitop3:0x54
	s_add_co_i32 s1, s12, s1
	s_lshl_b32 s4, s4, 5
	s_ashr_i32 s3, s2, 31
	s_add_co_i32 s1, s1, s4
	v_add_nc_u32_e32 v0, 0xfffff000, v0
	s_lshl_b64 s[2:3], s[2:3], 2
	s_add_co_i32 s4, s1, s5
	s_add_nc_u64 s[2:3], s[10:11], s[2:3]
	s_add_co_i32 s1, s15, -1
	s_sub_co_i32 s4, s4, 64
.LBB22_3:                               ; =>This Inner Loop Header: Depth=1
	global_load_b32 v7, v0, s[2:3] scale_offset
	s_ashr_i32 s5, s4, 31
	v_max_num_f32_e64 v1, s0, s0
	s_lshl_b64 s[12:13], s[4:5], 3
	s_delay_alu instid0(SALU_CYCLE_1) | instskip(SKIP_1) | instid1(VALU_DEP_1)
	s_add_nc_u64 s[12:13], s[10:11], s[12:13]
	s_load_b64 s[12:13], s[12:13], 0x0
	v_readfirstlane_b32 s5, v1
	v_add_nc_u32_e32 v0, 0xfffff800, v0
	s_wait_kmcnt 0x0
	v_max_num_f32_e64 v1, s12, s12
	s_delay_alu instid0(VALU_DEP_1) | instskip(SKIP_1) | instid1(SALU_CYCLE_3)
	v_readfirstlane_b32 s6, v1
	s_max_num_f32 s5, s5, s6
	s_sub_f32 s0, s0, s5
	s_sub_f32 s6, s12, s5
	s_delay_alu instid0(SALU_CYCLE_2) | instskip(NEXT) | instid1(SALU_CYCLE_2)
	s_mul_f32 s12, s0, 0x3fb8aa3b
	s_mul_f32 s14, s6, 0x3fb8aa3b
	s_delay_alu instid0(SALU_CYCLE_2)
	s_xor_b32 s15, s12, 0x80000000
	s_rndne_f32 s16, s12
	s_fmamk_f32 s15, s0, 0x3fb8aa3b, s15
	s_cmp_nlt_f32 s0, 0xc2ce8ed0
	s_rndne_f32 s17, s14
	s_sub_f32 s12, s12, s16
	s_fmamk_f32 s15, s0, 0x32a5705f, s15
	s_cselect_b32 vcc_lo, -1, 0
	s_cmp_ngt_f32 s0, 0x42b17218
	s_delay_alu instid0(SALU_CYCLE_1) | instskip(SKIP_2) | instid1(SALU_CYCLE_1)
	s_add_f32 s12, s12, s15
	s_cvt_i32_f32 s15, s16
	s_sub_f32 s16, s14, s17
	v_s_exp_f32 s12, s12
	v_nop
	s_delay_alu instid0(TRANS32_DEP_1) | instskip(SKIP_1) | instid1(VALU_DEP_1)
	v_ldexp_f32 v1, s12, s15
	s_cvt_i32_f32 s12, s17
	v_cndmask_b32_e32 v1, 0, v1, vcc_lo
	s_cselect_b32 vcc_lo, -1, 0
	s_cmp_ge_f32 s0, 0xc1a00000
	s_delay_alu instid0(VALU_DEP_1)
	v_cndmask_b32_e32 v1, 0x7f800000, v1, vcc_lo
	s_cselect_b32 vcc_lo, -1, 0
	s_xor_b32 s0, s14, 0x80000000
	s_cmp_nlt_f32 s6, 0xc2ce8ed0
	s_fmamk_f32 s0, s6, 0x3fb8aa3b, s0
	v_cndmask_b32_e32 v10, 0, v1, vcc_lo
	s_delay_alu instid0(SALU_CYCLE_2) | instskip(NEXT) | instid1(SALU_CYCLE_3)
	s_fmamk_f32 s0, s6, 0x32a5705f, s0
	s_add_f32 s0, s16, s0
	s_delay_alu instid0(SALU_CYCLE_3) | instskip(SKIP_1) | instid1(TRANS32_DEP_1)
	v_s_exp_f32 s0, s0
	v_nop
	v_ldexp_f32 v6, s0, s12
	s_cselect_b32 s0, -1, 0
	s_cmp_ngt_f32 s6, 0x42b17218
	s_delay_alu instid0(VALU_DEP_1) | instskip(SKIP_2) | instid1(VALU_DEP_1)
	v_cndmask_b32_e64 v6, 0, v6, s0
	s_cselect_b32 s0, -1, 0
	s_cmp_ge_f32 s6, 0xc1a00000
	v_cndmask_b32_e64 v8, 0x7f800000, v6, s0
	s_cselect_b32 s0, -1, 0
	v_mov_b32_e32 v6, s13
	s_add_co_i32 s1, s1, -1
	s_sub_co_i32 s4, s4, 32
	v_cndmask_b32_e64 v8, 0, v8, s0
	s_cmp_le_i32 s1, s7
	s_mov_b32 s0, s5
	s_wait_loadcnt 0x0
	s_delay_alu instid0(VALU_DEP_1) | instskip(NEXT) | instid1(VALU_DEP_1)
	v_pk_mul_f32 v[6:7], v[6:7], v[8:9] op_sel_hi:[1,0]
	v_pk_fma_f32 v[2:3], v[2:3], v[10:11], v[6:7] op_sel_hi:[1,0,1]
	s_cbranch_scc0 .LBB22_3
	s_branch .LBB22_5
.LBB22_4:
	s_wait_kmcnt 0x0
	v_mov_b32_e32 v2, s16
.LBB22_5:
	v_lshl_add_u64 v[0:1], v[4:5], 2, s[8:9]
	s_wait_loadcnt 0x0
	s_delay_alu instid0(VALU_DEP_2) | instskip(NEXT) | instid1(VALU_DEP_1)
	v_div_scale_f32 v4, null, v2, v2, v3
	v_rcp_f32_e32 v5, v4
	v_nop
	s_delay_alu instid0(TRANS32_DEP_1) | instskip(NEXT) | instid1(VALU_DEP_1)
	v_fma_f32 v6, -v4, v5, 1.0
	v_fmac_f32_e32 v5, v6, v5
	v_div_scale_f32 v6, vcc_lo, v3, v2, v3
	s_delay_alu instid0(VALU_DEP_1) | instskip(NEXT) | instid1(VALU_DEP_1)
	v_mul_f32_e32 v7, v6, v5
	v_fma_f32 v8, -v4, v7, v6
	s_delay_alu instid0(VALU_DEP_1) | instskip(NEXT) | instid1(VALU_DEP_1)
	v_fmac_f32_e32 v7, v8, v5
	v_fma_f32 v4, -v4, v7, v6
	s_delay_alu instid0(VALU_DEP_1) | instskip(NEXT) | instid1(VALU_DEP_1)
	v_div_fmas_f32 v4, v4, v5, v7
	v_div_fixup_f32 v2, v4, v2, v3
	global_store_b32 v[0:1], v2, off
.LBB22_6:
	s_endpgm
	.section	.rodata,"a",@progbits
	.p2align	6, 0x0
	.amdhsa_kernel _ZL33flash_attn_stream_k_fixup_uniformILi64ELi8ELi4EEvPfPK15HIP_vector_typeIfLj2EEiiiiiiS1_IjLj3EES5_S5_
		.amdhsa_group_segment_fixed_size 0
		.amdhsa_private_segment_fixed_size 0
		.amdhsa_kernarg_size 76
		.amdhsa_user_sgpr_count 2
		.amdhsa_user_sgpr_dispatch_ptr 0
		.amdhsa_user_sgpr_queue_ptr 0
		.amdhsa_user_sgpr_kernarg_segment_ptr 1
		.amdhsa_user_sgpr_dispatch_id 0
		.amdhsa_user_sgpr_kernarg_preload_length 0
		.amdhsa_user_sgpr_kernarg_preload_offset 0
		.amdhsa_user_sgpr_private_segment_size 0
		.amdhsa_wavefront_size32 1
		.amdhsa_uses_dynamic_stack 0
		.amdhsa_enable_private_segment 0
		.amdhsa_system_sgpr_workgroup_id_x 1
		.amdhsa_system_sgpr_workgroup_id_y 1
		.amdhsa_system_sgpr_workgroup_id_z 1
		.amdhsa_system_sgpr_workgroup_info 0
		.amdhsa_system_vgpr_workitem_id 0
		.amdhsa_next_free_vgpr 12
		.amdhsa_next_free_sgpr 21
		.amdhsa_named_barrier_count 0
		.amdhsa_reserve_vcc 1
		.amdhsa_float_round_mode_32 0
		.amdhsa_float_round_mode_16_64 0
		.amdhsa_float_denorm_mode_32 3
		.amdhsa_float_denorm_mode_16_64 3
		.amdhsa_fp16_overflow 0
		.amdhsa_memory_ordered 1
		.amdhsa_forward_progress 1
		.amdhsa_inst_pref_size 9
		.amdhsa_round_robin_scheduling 0
		.amdhsa_exception_fp_ieee_invalid_op 0
		.amdhsa_exception_fp_denorm_src 0
		.amdhsa_exception_fp_ieee_div_zero 0
		.amdhsa_exception_fp_ieee_overflow 0
		.amdhsa_exception_fp_ieee_underflow 0
		.amdhsa_exception_fp_ieee_inexact 0
		.amdhsa_exception_int_div_zero 0
	.end_amdhsa_kernel
	.section	.text._ZL33flash_attn_stream_k_fixup_uniformILi64ELi8ELi4EEvPfPK15HIP_vector_typeIfLj2EEiiiiiiS1_IjLj3EES5_S5_,"axG",@progbits,_ZL33flash_attn_stream_k_fixup_uniformILi64ELi8ELi4EEvPfPK15HIP_vector_typeIfLj2EEiiiiiiS1_IjLj3EES5_S5_,comdat
.Lfunc_end22:
	.size	_ZL33flash_attn_stream_k_fixup_uniformILi64ELi8ELi4EEvPfPK15HIP_vector_typeIfLj2EEiiiiiiS1_IjLj3EES5_S5_, .Lfunc_end22-_ZL33flash_attn_stream_k_fixup_uniformILi64ELi8ELi4EEvPfPK15HIP_vector_typeIfLj2EEiiiiiiS1_IjLj3EES5_S5_
                                        ; -- End function
	.set _ZL33flash_attn_stream_k_fixup_uniformILi64ELi8ELi4EEvPfPK15HIP_vector_typeIfLj2EEiiiiiiS1_IjLj3EES5_S5_.num_vgpr, 12
	.set _ZL33flash_attn_stream_k_fixup_uniformILi64ELi8ELi4EEvPfPK15HIP_vector_typeIfLj2EEiiiiiiS1_IjLj3EES5_S5_.num_agpr, 0
	.set _ZL33flash_attn_stream_k_fixup_uniformILi64ELi8ELi4EEvPfPK15HIP_vector_typeIfLj2EEiiiiiiS1_IjLj3EES5_S5_.numbered_sgpr, 21
	.set _ZL33flash_attn_stream_k_fixup_uniformILi64ELi8ELi4EEvPfPK15HIP_vector_typeIfLj2EEiiiiiiS1_IjLj3EES5_S5_.num_named_barrier, 0
	.set _ZL33flash_attn_stream_k_fixup_uniformILi64ELi8ELi4EEvPfPK15HIP_vector_typeIfLj2EEiiiiiiS1_IjLj3EES5_S5_.private_seg_size, 0
	.set _ZL33flash_attn_stream_k_fixup_uniformILi64ELi8ELi4EEvPfPK15HIP_vector_typeIfLj2EEiiiiiiS1_IjLj3EES5_S5_.uses_vcc, 1
	.set _ZL33flash_attn_stream_k_fixup_uniformILi64ELi8ELi4EEvPfPK15HIP_vector_typeIfLj2EEiiiiiiS1_IjLj3EES5_S5_.uses_flat_scratch, 0
	.set _ZL33flash_attn_stream_k_fixup_uniformILi64ELi8ELi4EEvPfPK15HIP_vector_typeIfLj2EEiiiiiiS1_IjLj3EES5_S5_.has_dyn_sized_stack, 0
	.set _ZL33flash_attn_stream_k_fixup_uniformILi64ELi8ELi4EEvPfPK15HIP_vector_typeIfLj2EEiiiiiiS1_IjLj3EES5_S5_.has_recursion, 0
	.set _ZL33flash_attn_stream_k_fixup_uniformILi64ELi8ELi4EEvPfPK15HIP_vector_typeIfLj2EEiiiiiiS1_IjLj3EES5_S5_.has_indirect_call, 0
	.section	.AMDGPU.csdata,"",@progbits
; Kernel info:
; codeLenInByte = 1092
; TotalNumSgprs: 23
; NumVgprs: 12
; ScratchSize: 0
; MemoryBound: 0
; FloatMode: 240
; IeeeMode: 1
; LDSByteSize: 0 bytes/workgroup (compile time only)
; SGPRBlocks: 0
; VGPRBlocks: 0
; NumSGPRsForWavesPerEU: 23
; NumVGPRsForWavesPerEU: 12
; NamedBarCnt: 0
; Occupancy: 16
; WaveLimiterHint : 0
; COMPUTE_PGM_RSRC2:SCRATCH_EN: 0
; COMPUTE_PGM_RSRC2:USER_SGPR: 2
; COMPUTE_PGM_RSRC2:TRAP_HANDLER: 0
; COMPUTE_PGM_RSRC2:TGID_X_EN: 1
; COMPUTE_PGM_RSRC2:TGID_Y_EN: 1
; COMPUTE_PGM_RSRC2:TGID_Z_EN: 1
; COMPUTE_PGM_RSRC2:TIDIG_COMP_CNT: 0
	.section	.text._ZL33flash_attn_stream_k_fixup_generalILi64ELi8ELi4EEvPfPK15HIP_vector_typeIfLj2EEiiiiS1_IjLj3EES5_S5_S5_,"axG",@progbits,_ZL33flash_attn_stream_k_fixup_generalILi64ELi8ELi4EEvPfPK15HIP_vector_typeIfLj2EEiiiiS1_IjLj3EES5_S5_S5_,comdat
	.globl	_ZL33flash_attn_stream_k_fixup_generalILi64ELi8ELi4EEvPfPK15HIP_vector_typeIfLj2EEiiiiS1_IjLj3EES5_S5_S5_ ; -- Begin function _ZL33flash_attn_stream_k_fixup_generalILi64ELi8ELi4EEvPfPK15HIP_vector_typeIfLj2EEiiiiS1_IjLj3EES5_S5_S5_
	.p2align	8
	.type	_ZL33flash_attn_stream_k_fixup_generalILi64ELi8ELi4EEvPfPK15HIP_vector_typeIfLj2EEiiiiS1_IjLj3EES5_S5_S5_,@function
_ZL33flash_attn_stream_k_fixup_generalILi64ELi8ELi4EEvPfPK15HIP_vector_typeIfLj2EEiiiiS1_IjLj3EES5_S5_S5_: ; @_ZL33flash_attn_stream_k_fixup_generalILi64ELi8ELi4EEvPfPK15HIP_vector_typeIfLj2EEiiiiS1_IjLj3EES5_S5_S5_
; %bb.0:
	s_clause 0x1
	s_load_b128 s[4:7], s[0:1], 0x10
	s_load_b32 s16, s[0:1], 0x50
	s_bfe_u32 s2, ttmp6, 0x4000c
	s_and_b32 s3, ttmp6, 15
	s_add_co_i32 s2, s2, 1
	s_getreg_b32 s15, hwreg(HW_REG_IB_STS2, 6, 4)
	s_mul_i32 s2, ttmp9, s2
	s_mov_b32 s17, 0
	s_add_co_i32 s3, s3, s2
	s_cmp_eq_u32 s15, 0
	s_cselect_b32 s2, ttmp9, s3
	s_delay_alu instid0(SALU_CYCLE_1) | instskip(SKIP_3) | instid1(SALU_CYCLE_1)
	s_ashr_i32 s3, s2, 31
	s_wait_kmcnt 0x0
	s_ashr_i32 s19, s7, 31
	s_mov_b32 s18, s7
	s_mul_u64 s[8:9], s[18:19], s[2:3]
	s_delay_alu instid0(SALU_CYCLE_1) | instskip(NEXT) | instid1(SALU_CYCLE_1)
	s_and_b64 s[10:11], s[8:9], 0xffffffff00000000
	s_cmp_lg_u64 s[10:11], 0
	s_cbranch_scc0 .LBB23_21
; %bb.1:
	s_add_nc_u64 s[10:11], s[16:17], 0
	s_mov_b32 s23, s17
	s_xor_b64 s[10:11], s[10:11], 0
	s_mov_b32 s27, s17
	s_cvt_f32_u32 s3, s10
	s_cvt_f32_u32 s7, s11
	s_sub_nc_u64 s[20:21], 0, s[10:11]
	s_delay_alu instid0(SALU_CYCLE_2) | instskip(NEXT) | instid1(SALU_CYCLE_3)
	s_fmamk_f32 s3, s7, 0x4f800000, s3
	v_s_rcp_f32 s3, s3
	s_delay_alu instid0(TRANS32_DEP_1) | instskip(NEXT) | instid1(SALU_CYCLE_3)
	s_mul_f32 s3, s3, 0x5f7ffffc
	s_mul_f32 s7, s3, 0x2f800000
	s_delay_alu instid0(SALU_CYCLE_3) | instskip(NEXT) | instid1(SALU_CYCLE_3)
	s_trunc_f32 s7, s7
	s_fmamk_f32 s3, s7, 0xcf800000, s3
	s_cvt_u32_f32 s13, s7
	s_delay_alu instid0(SALU_CYCLE_2) | instskip(NEXT) | instid1(SALU_CYCLE_3)
	s_cvt_u32_f32 s12, s3
	s_mul_u64 s[24:25], s[20:21], s[12:13]
	s_delay_alu instid0(SALU_CYCLE_1)
	s_mul_hi_u32 s29, s12, s25
	s_mul_i32 s28, s12, s25
	s_mul_hi_u32 s22, s12, s24
	s_mul_i32 s7, s13, s24
	s_add_nc_u64 s[22:23], s[22:23], s[28:29]
	s_mul_hi_u32 s3, s13, s24
	s_mul_hi_u32 s14, s13, s25
	s_add_co_u32 s7, s22, s7
	s_add_co_ci_u32 s26, s23, s3
	s_mul_i32 s24, s13, s25
	s_add_co_ci_u32 s25, s14, 0
	s_delay_alu instid0(SALU_CYCLE_1) | instskip(SKIP_3) | instid1(SALU_CYCLE_1)
	s_add_nc_u64 s[22:23], s[26:27], s[24:25]
	s_mov_b32 s25, s17
	s_add_co_u32 s12, s12, s22
	s_cselect_b32 s3, -1, 0
	s_cmp_lg_u32 s3, 0
	s_add_co_ci_u32 s13, s13, s23
	s_mov_b32 s23, s17
	s_mul_u64 s[20:21], s[20:21], s[12:13]
	s_delay_alu instid0(SALU_CYCLE_1)
	s_mul_hi_u32 s27, s12, s21
	s_mul_i32 s26, s12, s21
	s_mul_hi_u32 s22, s12, s20
	s_mul_i32 s7, s13, s20
	s_add_nc_u64 s[22:23], s[22:23], s[26:27]
	s_mul_hi_u32 s3, s13, s20
	s_mul_hi_u32 s14, s13, s21
	s_add_co_u32 s7, s22, s7
	s_add_co_ci_u32 s24, s23, s3
	s_mul_i32 s20, s13, s21
	s_add_co_ci_u32 s21, s14, 0
	s_mov_b32 s23, s17
	s_add_nc_u64 s[20:21], s[24:25], s[20:21]
	s_delay_alu instid0(SALU_CYCLE_1) | instskip(SKIP_1) | instid1(SALU_CYCLE_1)
	s_add_co_u32 s3, s12, s20
	s_cselect_b32 s7, -1, 0
	s_cmp_lg_u32 s7, 0
	s_add_co_ci_u32 s7, s13, s21
	s_ashr_i32 s12, s9, 31
	s_delay_alu instid0(SALU_CYCLE_1) | instskip(NEXT) | instid1(SALU_CYCLE_1)
	s_mov_b32 s13, s12
	s_add_nc_u64 s[20:21], s[8:9], s[12:13]
	s_delay_alu instid0(SALU_CYCLE_1) | instskip(NEXT) | instid1(SALU_CYCLE_1)
	s_xor_b64 s[20:21], s[20:21], s[12:13]
	s_mul_hi_u32 s27, s20, s7
	s_mul_i32 s26, s20, s7
	s_mul_hi_u32 s22, s20, s3
	s_mul_hi_u32 s14, s21, s3
	s_mul_i32 s3, s21, s3
	s_add_nc_u64 s[22:23], s[22:23], s[26:27]
	s_mul_hi_u32 s9, s21, s7
	s_add_co_u32 s3, s22, s3
	s_add_co_ci_u32 s24, s23, s14
	s_mul_i32 s26, s21, s7
	s_add_co_ci_u32 s27, s9, 0
	s_delay_alu instid0(SALU_CYCLE_1) | instskip(NEXT) | instid1(SALU_CYCLE_1)
	s_add_nc_u64 s[22:23], s[24:25], s[26:27]
	s_and_b64 s[24:25], s[22:23], 0xffffffff00000000
	s_delay_alu instid0(SALU_CYCLE_1) | instskip(NEXT) | instid1(SALU_CYCLE_1)
	s_or_b32 s24, s24, s22
	s_mul_u64 s[22:23], s[10:11], s[24:25]
	s_add_nc_u64 s[26:27], s[24:25], 1
	s_sub_co_u32 s3, s20, s22
	s_cselect_b32 s7, -1, 0
	s_sub_co_i32 s9, s21, s23
	s_cmp_lg_u32 s7, 0
	s_add_nc_u64 s[28:29], s[24:25], 2
	s_sub_co_ci_u32 s9, s9, s11
	s_sub_co_u32 s14, s3, s10
	s_cselect_b32 s20, -1, 0
	s_delay_alu instid0(SALU_CYCLE_1) | instskip(SKIP_1) | instid1(SALU_CYCLE_1)
	s_cmp_lg_u32 s20, 0
	s_sub_co_ci_u32 s9, s9, 0
	s_cmp_ge_u32 s9, s11
	s_cselect_b32 s20, -1, 0
	s_cmp_ge_u32 s14, s10
	s_cselect_b32 s14, -1, 0
	s_cmp_eq_u32 s9, s11
	s_cselect_b32 s9, s14, s20
	s_delay_alu instid0(SALU_CYCLE_1) | instskip(SKIP_4) | instid1(SALU_CYCLE_1)
	s_cmp_lg_u32 s9, 0
	s_cselect_b32 s9, s28, s26
	s_cselect_b32 s14, s29, s27
	s_cmp_lg_u32 s7, 0
	s_sub_co_ci_u32 s7, s21, s23
	s_cmp_ge_u32 s7, s11
	s_cselect_b32 s20, -1, 0
	s_cmp_ge_u32 s3, s10
	s_cselect_b32 s3, -1, 0
	s_cmp_eq_u32 s7, s11
	s_cselect_b32 s3, s3, s20
	s_delay_alu instid0(SALU_CYCLE_1) | instskip(SKIP_4) | instid1(SALU_CYCLE_1)
	s_cmp_lg_u32 s3, 0
	s_mov_b32 s3, s17
	s_cselect_b32 s11, s14, s25
	s_cselect_b32 s10, s9, s24
	s_xor_b64 s[12:13], s[12:13], 0
	s_xor_b64 s[10:11], s[10:11], s[12:13]
	s_delay_alu instid0(SALU_CYCLE_1)
	s_sub_nc_u64 s[20:21], s[10:11], s[12:13]
	s_and_not1_b32 vcc_lo, exec_lo, s3
	s_cbranch_vccnz .LBB23_3
.LBB23_2:
	v_cvt_f32_u32_e32 v1, s16
	s_sub_co_i32 s7, 0, s16
	s_mov_b32 s21, 0
	s_delay_alu instid0(VALU_DEP_1) | instskip(SKIP_1) | instid1(TRANS32_DEP_1)
	v_rcp_iflag_f32_e32 v1, v1
	v_nop
	v_mul_f32_e32 v1, 0x4f7ffffe, v1
	s_delay_alu instid0(VALU_DEP_1) | instskip(NEXT) | instid1(VALU_DEP_1)
	v_cvt_u32_f32_e32 v1, v1
	v_readfirstlane_b32 s3, v1
	s_mul_i32 s7, s7, s3
	s_delay_alu instid0(SALU_CYCLE_1) | instskip(NEXT) | instid1(SALU_CYCLE_1)
	s_mul_hi_u32 s7, s3, s7
	s_add_co_i32 s3, s3, s7
	s_delay_alu instid0(SALU_CYCLE_1) | instskip(NEXT) | instid1(SALU_CYCLE_1)
	s_mul_hi_u32 s3, s8, s3
	s_mul_i32 s7, s3, s16
	s_delay_alu instid0(SALU_CYCLE_1)
	s_sub_co_i32 s7, s8, s7
	s_add_co_i32 s8, s3, 1
	s_sub_co_i32 s9, s7, s16
	s_cmp_ge_u32 s7, s16
	s_cselect_b32 s3, s8, s3
	s_cselect_b32 s7, s9, s7
	s_add_co_i32 s8, s3, 1
	s_cmp_ge_u32 s7, s16
	s_cselect_b32 s20, s8, s3
.LBB23_3:
	s_add_co_i32 s8, s2, 1
	s_delay_alu instid0(SALU_CYCLE_1) | instskip(NEXT) | instid1(SALU_CYCLE_1)
	s_ashr_i32 s9, s8, 31
	s_mul_u64 s[8:9], s[18:19], s[8:9]
	s_delay_alu instid0(SALU_CYCLE_1) | instskip(NEXT) | instid1(SALU_CYCLE_1)
	s_and_b64 s[10:11], s[8:9], 0xffffffff00000000
	s_cmp_lg_u64 s[10:11], 0
	s_cbranch_scc0 .LBB23_22
; %bb.4:
	s_add_nc_u64 s[10:11], s[16:17], 0
	s_delay_alu instid0(SALU_CYCLE_1) | instskip(SKIP_4) | instid1(SALU_CYCLE_2)
	s_xor_b64 s[12:13], s[10:11], 0
	s_mov_b32 s11, 0
	s_cvt_f32_u32 s3, s12
	s_cvt_f32_u32 s7, s13
	s_sub_nc_u64 s[24:25], 0, s[12:13]
	s_fmamk_f32 s3, s7, 0x4f800000, s3
	s_delay_alu instid0(SALU_CYCLE_3) | instskip(NEXT) | instid1(TRANS32_DEP_1)
	v_s_rcp_f32 s3, s3
	s_mul_f32 s3, s3, 0x5f7ffffc
	s_delay_alu instid0(SALU_CYCLE_3) | instskip(NEXT) | instid1(SALU_CYCLE_3)
	s_mul_f32 s7, s3, 0x2f800000
	s_trunc_f32 s7, s7
	s_delay_alu instid0(SALU_CYCLE_3) | instskip(SKIP_1) | instid1(SALU_CYCLE_2)
	s_fmamk_f32 s3, s7, 0xcf800000, s3
	s_cvt_u32_f32 s23, s7
	s_cvt_u32_f32 s22, s3
	s_delay_alu instid0(SALU_CYCLE_3) | instskip(NEXT) | instid1(SALU_CYCLE_1)
	s_mul_u64 s[26:27], s[24:25], s[22:23]
	s_mul_hi_u32 s29, s22, s27
	s_mul_i32 s28, s22, s27
	s_mul_hi_u32 s10, s22, s26
	s_mul_i32 s7, s23, s26
	s_add_nc_u64 s[28:29], s[10:11], s[28:29]
	s_mul_hi_u32 s3, s23, s26
	s_mul_hi_u32 s14, s23, s27
	s_add_co_u32 s7, s28, s7
	s_add_co_ci_u32 s10, s29, s3
	s_mul_i32 s26, s23, s27
	s_add_co_ci_u32 s27, s14, 0
	s_delay_alu instid0(SALU_CYCLE_1) | instskip(NEXT) | instid1(SALU_CYCLE_1)
	s_add_nc_u64 s[26:27], s[10:11], s[26:27]
	s_add_co_u32 s22, s22, s26
	s_cselect_b32 s3, -1, 0
	s_delay_alu instid0(SALU_CYCLE_1) | instskip(SKIP_1) | instid1(SALU_CYCLE_1)
	s_cmp_lg_u32 s3, 0
	s_add_co_ci_u32 s23, s23, s27
	s_mul_u64 s[24:25], s[24:25], s[22:23]
	s_delay_alu instid0(SALU_CYCLE_1)
	s_mul_hi_u32 s27, s22, s25
	s_mul_i32 s26, s22, s25
	s_mul_hi_u32 s10, s22, s24
	s_mul_i32 s7, s23, s24
	s_add_nc_u64 s[26:27], s[10:11], s[26:27]
	s_mul_hi_u32 s3, s23, s24
	s_mul_hi_u32 s14, s23, s25
	s_add_co_u32 s7, s26, s7
	s_add_co_ci_u32 s10, s27, s3
	s_mul_i32 s24, s23, s25
	s_add_co_ci_u32 s25, s14, 0
	s_delay_alu instid0(SALU_CYCLE_1) | instskip(NEXT) | instid1(SALU_CYCLE_1)
	s_add_nc_u64 s[24:25], s[10:11], s[24:25]
	s_add_co_u32 s3, s22, s24
	s_cselect_b32 s7, -1, 0
	s_delay_alu instid0(SALU_CYCLE_1) | instskip(SKIP_2) | instid1(SALU_CYCLE_1)
	s_cmp_lg_u32 s7, 0
	s_add_co_ci_u32 s7, s23, s25
	s_ashr_i32 s22, s9, 31
	s_mov_b32 s23, s22
	s_delay_alu instid0(SALU_CYCLE_1) | instskip(NEXT) | instid1(SALU_CYCLE_1)
	s_add_nc_u64 s[24:25], s[8:9], s[22:23]
	s_xor_b64 s[24:25], s[24:25], s[22:23]
	s_delay_alu instid0(SALU_CYCLE_1)
	s_mul_hi_u32 s27, s24, s7
	s_mul_i32 s26, s24, s7
	s_mul_hi_u32 s10, s24, s3
	s_mul_hi_u32 s14, s25, s3
	s_mul_i32 s3, s25, s3
	s_add_nc_u64 s[26:27], s[10:11], s[26:27]
	s_mul_hi_u32 s9, s25, s7
	s_add_co_u32 s3, s26, s3
	s_add_co_ci_u32 s10, s27, s14
	s_mul_i32 s28, s25, s7
	s_add_co_ci_u32 s29, s9, 0
	s_delay_alu instid0(SALU_CYCLE_1) | instskip(NEXT) | instid1(SALU_CYCLE_1)
	s_add_nc_u64 s[26:27], s[10:11], s[28:29]
	s_and_b64 s[28:29], s[26:27], 0xffffffff00000000
	s_delay_alu instid0(SALU_CYCLE_1) | instskip(NEXT) | instid1(SALU_CYCLE_1)
	s_or_b32 s28, s28, s26
	s_mul_u64 s[26:27], s[12:13], s[28:29]
	s_add_nc_u64 s[30:31], s[28:29], 1
	s_sub_co_u32 s3, s24, s26
	s_cselect_b32 s7, -1, 0
	s_sub_co_i32 s9, s25, s27
	s_cmp_lg_u32 s7, 0
	s_add_nc_u64 s[34:35], s[28:29], 2
	s_sub_co_ci_u32 s9, s9, s13
	s_sub_co_u32 s10, s3, s12
	s_cselect_b32 s14, -1, 0
	s_delay_alu instid0(SALU_CYCLE_1) | instskip(SKIP_1) | instid1(SALU_CYCLE_1)
	s_cmp_lg_u32 s14, 0
	s_sub_co_ci_u32 s9, s9, 0
	s_cmp_ge_u32 s9, s13
	s_cselect_b32 s14, -1, 0
	s_cmp_ge_u32 s10, s12
	s_cselect_b32 s10, -1, 0
	s_cmp_eq_u32 s9, s13
	s_cselect_b32 s9, s10, s14
	s_delay_alu instid0(SALU_CYCLE_1) | instskip(SKIP_4) | instid1(SALU_CYCLE_1)
	s_cmp_lg_u32 s9, 0
	s_cselect_b32 s9, s34, s30
	s_cselect_b32 s10, s35, s31
	s_cmp_lg_u32 s7, 0
	s_sub_co_ci_u32 s7, s25, s27
	s_cmp_ge_u32 s7, s13
	s_cselect_b32 s14, -1, 0
	s_cmp_ge_u32 s3, s12
	s_cselect_b32 s3, -1, 0
	s_cmp_eq_u32 s7, s13
	s_cselect_b32 s3, s3, s14
	s_delay_alu instid0(SALU_CYCLE_1) | instskip(SKIP_3) | instid1(SALU_CYCLE_1)
	s_cmp_lg_u32 s3, 0
	s_cselect_b32 s13, s10, s29
	s_cselect_b32 s12, s9, s28
	s_xor_b64 s[22:23], s[22:23], 0
	s_xor_b64 s[12:13], s[12:13], s[22:23]
	s_delay_alu instid0(SALU_CYCLE_1)
	s_sub_nc_u64 s[24:25], s[12:13], s[22:23]
	s_load_b96 s[12:14], s[0:1], 0x44
	s_cbranch_execnz .LBB23_6
.LBB23_5:
	v_cvt_f32_u32_e32 v1, s16
	s_sub_co_i32 s7, 0, s16
	s_delay_alu instid0(VALU_DEP_1) | instskip(SKIP_1) | instid1(TRANS32_DEP_1)
	v_rcp_iflag_f32_e32 v1, v1
	v_nop
	v_mul_f32_e32 v1, 0x4f7ffffe, v1
	s_delay_alu instid0(VALU_DEP_1) | instskip(NEXT) | instid1(VALU_DEP_1)
	v_cvt_u32_f32_e32 v1, v1
	v_readfirstlane_b32 s3, v1
	s_mul_i32 s7, s7, s3
	s_delay_alu instid0(SALU_CYCLE_1) | instskip(NEXT) | instid1(SALU_CYCLE_1)
	s_mul_hi_u32 s7, s3, s7
	s_add_co_i32 s3, s3, s7
	s_delay_alu instid0(SALU_CYCLE_1) | instskip(NEXT) | instid1(SALU_CYCLE_1)
	s_mul_hi_u32 s3, s8, s3
	s_mul_i32 s7, s3, s16
	s_delay_alu instid0(SALU_CYCLE_1)
	s_sub_co_i32 s7, s8, s7
	s_add_co_i32 s8, s3, 1
	s_sub_co_i32 s9, s7, s16
	s_cmp_ge_u32 s7, s16
	s_cselect_b32 s3, s8, s3
	s_cselect_b32 s7, s9, s7
	s_add_co_i32 s8, s3, 1
	s_cmp_ge_u32 s7, s16
	s_cselect_b32 s24, s8, s3
.LBB23_6:
	s_delay_alu instid0(SALU_CYCLE_1)
	s_cmp_eq_u32 s20, s24
	s_mov_b64 s[8:9], 0xffffffff
	s_cselect_b32 s3, -1, 0
	s_and_b64 s[8:9], s[20:21], s[8:9]
	s_mov_b32 s23, 0
	s_wait_kmcnt 0x0
	s_mov_b32 s22, s12
	s_mov_b32 s25, s23
	s_mul_u64 s[10:11], s[8:9], s[22:23]
	s_delay_alu instid0(SALU_CYCLE_1) | instskip(SKIP_2) | instid1(SALU_CYCLE_1)
	s_add_co_i32 s7, s11, s20
	s_mul_u64 s[10:11], s[24:25], s[22:23]
	s_lshr_b32 s12, s7, s13
	s_mul_i32 s7, s12, s14
	s_delay_alu instid0(SALU_CYCLE_1) | instskip(SKIP_2) | instid1(SALU_CYCLE_1)
	s_cmp_eq_u32 s7, s20
	s_cselect_b32 s7, -1, 0
	s_add_co_i32 s10, s11, s24
	s_lshr_b32 s10, s10, s13
	s_delay_alu instid0(SALU_CYCLE_1)
	s_cmp_eq_u32 s12, s10
	s_mul_i32 s10, s10, s14
	s_cselect_b32 s11, -1, 0
	s_cmp_lg_u32 s10, s24
	s_cselect_b32 s10, -1, 0
	s_or_b32 s3, s3, s7
	s_and_b32 s10, s11, s10
	s_delay_alu instid0(SALU_CYCLE_1) | instskip(NEXT) | instid1(SALU_CYCLE_1)
	s_or_b32 s3, s3, s10
	s_and_b32 vcc_lo, exec_lo, s3
	s_cbranch_vccnz .LBB23_24
; %bb.7:
	s_load_b256 s[24:31], s[0:1], 0x20
	s_bfe_u32 s7, ttmp6, 0x40014
	s_bfe_u32 s33, ttmp6, 0x40010
	s_lshr_b32 s3, ttmp7, 16
	s_add_co_i32 s7, s7, 1
	s_and_b32 s21, ttmp7, 0xffff
	s_add_co_i32 s33, s33, 1
	s_bfe_u32 s10, ttmp6, 0x40008
	s_mul_i32 s7, s3, s7
	s_bfe_u32 s34, ttmp6, 0x40004
	s_mul_i32 s33, s21, s33
	s_mov_b32 s11, s23
	s_add_co_i32 s35, s10, s7
	s_add_co_i32 s34, s34, s33
	s_cmp_eq_u32 s15, 0
	s_cselect_b32 s7, s21, s34
	s_cselect_b32 s3, s3, s35
	s_wait_kmcnt 0x0
	s_mov_b32 s10, s24
	s_delay_alu instid0(SALU_CYCLE_1) | instskip(NEXT) | instid1(SALU_CYCLE_1)
	s_mul_u64 s[8:9], s[8:9], s[10:11]
	s_add_co_i32 s8, s9, s20
	s_load_b32 s9, s[0:1], 0x40
	s_lshr_b32 s8, s8, s25
	s_delay_alu instid0(SALU_CYCLE_1) | instskip(NEXT) | instid1(SALU_CYCLE_1)
	s_mul_i32 s10, s8, s26
	s_sub_co_i32 s10, s20, s10
	s_delay_alu instid0(SALU_CYCLE_1) | instskip(NEXT) | instid1(SALU_CYCLE_1)
	s_mul_hi_u32 s11, s10, s27
	s_add_co_i32 s11, s10, s11
	s_delay_alu instid0(SALU_CYCLE_1) | instskip(NEXT) | instid1(SALU_CYCLE_1)
	s_lshr_b32 s15, s11, s28
	s_mul_i32 s11, s15, s29
	s_delay_alu instid0(SALU_CYCLE_1) | instskip(NEXT) | instid1(SALU_CYCLE_1)
	s_sub_co_i32 s10, s10, s11
	s_mul_hi_u32 s11, s10, s30
	s_delay_alu instid0(SALU_CYCLE_1) | instskip(NEXT) | instid1(SALU_CYCLE_1)
	s_add_co_i32 s11, s10, s11
	s_lshr_b32 s26, s11, s31
	s_mov_b32 s11, s23
	s_wait_kmcnt 0x0
	s_mul_i32 s9, s26, s9
	s_delay_alu instid0(SALU_CYCLE_1) | instskip(NEXT) | instid1(SALU_CYCLE_1)
	s_sub_co_i32 s10, s10, s9
	s_mul_u64 s[24:25], s[10:11], s[22:23]
	s_lshl_b32 s24, s26, 2
	s_add_co_i32 s9, s10, s25
	s_delay_alu instid0(SALU_CYCLE_1) | instskip(NEXT) | instid1(SALU_CYCLE_1)
	s_lshr_b32 s21, s9, s13
	s_lshl_b32 s9, s21, 3
	s_delay_alu instid0(SALU_CYCLE_1) | instskip(NEXT) | instid1(SALU_CYCLE_1)
	s_add_co_i32 s9, s9, s7
	s_cmp_lt_i32 s9, s4
	s_cselect_b32 s9, -1, 0
	s_add_co_i32 s10, s24, s3
	s_delay_alu instid0(SALU_CYCLE_1) | instskip(SKIP_1) | instid1(SALU_CYCLE_1)
	s_cmp_lt_i32 s10, s6
	s_cselect_b32 s10, -1, 0
	s_and_b32 s9, s9, s10
	s_delay_alu instid0(SALU_CYCLE_1)
	s_and_not1_b32 vcc_lo, exec_lo, s9
	s_cbranch_vccnz .LBB23_24
; %bb.8:
	s_mul_i32 s4, s8, s4
	s_load_b128 s[8:11], s[0:1], 0x0
	s_wait_xcnt 0x0
	s_add_co_i32 s0, s4, s7
	s_mul_i32 s15, s15, s6
	s_mul_i32 s0, s0, s5
	;; [unrolled: 1-line block ×3, first 2 shown]
	s_add_co_i32 s0, s0, s3
	s_lshl_b32 s1, s1, 9
	s_add_co_i32 s0, s0, s15
	s_lshl_b32 s15, s7, 2
	s_add_co_i32 s0, s0, s24
	s_add_co_i32 s15, s15, s3
	s_lshl_b32 s0, s0, 6
	v_lshl_or_b32 v6, s15, 6, v0
	s_add_co_i32 s1, s1, s0
	v_cvt_f32_u32_e32 v4, s16
	v_or_b32_e32 v2, s1, v0
	s_add_nc_u64 s[0:1], s[16:17], 0
	s_lshl_b32 s24, s16, 7
	s_xor_b64 s[6:7], s[0:1], 0
	s_lshl_b32 s0, s2, 5
	s_cvt_f32_u32 s3, s6
	s_add_co_i32 s0, s15, s0
	s_cvt_f32_u32 s4, s7
	s_ashr_i32 s1, s0, 31
	v_rcp_iflag_f32_e32 v4, v4
	s_lshl_b64 s[0:1], s[0:1], 3
	s_fmamk_f32 s3, s4, 0x4f800000, s3
	s_wait_kmcnt 0x0
	s_add_nc_u64 s[0:1], s[10:11], s[0:1]
	s_mov_b32 s25, 0
	s_load_b64 s[28:29], s[0:1], 0x0
	v_s_rcp_f32 s3, s3
	s_wait_xcnt 0x0
	s_lshl_b64 s[0:1], s[24:25], 2
	s_add_co_i32 s36, s2, -1
	s_add_nc_u64 s[26:27], s[10:11], s[0:1]
	s_sub_nc_u64 s[34:35], 0, s[6:7]
	v_mul_f32_e32 v4, 0x4f7ffffe, v4
	s_delay_alu instid0(TRANS32_DEP_1) | instskip(NEXT) | instid1(VALU_DEP_1)
	s_mul_f32 s3, s3, 0x5f7ffffc
	v_cvt_u32_f32_e32 v7, v4
	s_delay_alu instid0(SALU_CYCLE_2) | instskip(NEXT) | instid1(SALU_CYCLE_3)
	s_mul_f32 s4, s3, 0x2f800000
	s_trunc_f32 s4, s4
	s_wait_kmcnt 0x0
	v_mov_b32_e32 v0, s29
	global_load_b32 v1, v2, s[8:9] scale_offset
	v_ashrrev_i32_e32 v3, 31, v2
	s_fmamk_f32 s0, s4, 0xcf800000, s3
	s_cvt_u32_f32 s31, s4
	s_wait_xcnt 0x0
	s_delay_alu instid0(VALU_DEP_1)
	v_lshl_add_u64 v[2:3], v[2:3], 2, s[8:9]
	s_cvt_u32_f32 s30, s0
	s_mov_b64 s[8:9], 0xffffffff
.LBB23_9:                               ; =>This Inner Loop Header: Depth=1
	s_ashr_i32 s37, s36, 31
                                        ; implicit-def: $sgpr40_sgpr41
	s_delay_alu instid0(SALU_CYCLE_1) | instskip(NEXT) | instid1(SALU_CYCLE_1)
	s_mul_u64 s[0:1], s[36:37], s[18:19]
	s_and_b64 s[2:3], s[0:1], 0xffffffff00000000
	s_delay_alu instid0(SALU_CYCLE_1)
	s_cmp_lg_u64 s[2:3], 0
	s_mov_b32 s2, -1
	s_cbranch_scc0 .LBB23_11
; %bb.10:                               ;   in Loop: Header=BB23_9 Depth=1
	s_mul_u64 s[2:3], s[34:35], s[30:31]
	s_delay_alu instid0(SALU_CYCLE_1)
	s_mul_hi_u32 s5, s30, s3
	s_mul_i32 s4, s30, s3
	s_mul_hi_u32 s24, s30, s2
	s_mul_hi_u32 s17, s31, s2
	s_add_nc_u64 s[4:5], s[24:25], s[4:5]
	s_mul_i32 s2, s31, s2
	s_mul_hi_u32 s21, s31, s3
	s_add_co_u32 s2, s4, s2
	s_add_co_ci_u32 s24, s5, s17
	s_add_co_ci_u32 s5, s21, 0
	s_mul_i32 s4, s31, s3
	s_delay_alu instid0(SALU_CYCLE_1) | instskip(NEXT) | instid1(SALU_CYCLE_1)
	s_add_nc_u64 s[2:3], s[24:25], s[4:5]
	s_add_co_u32 s2, s30, s2
	s_cselect_b32 s4, -1, 0
	s_delay_alu instid0(SALU_CYCLE_1) | instskip(SKIP_1) | instid1(SALU_CYCLE_1)
	s_cmp_lg_u32 s4, 0
	s_add_co_ci_u32 s3, s31, s3
	s_mul_u64 s[4:5], s[34:35], s[2:3]
	s_delay_alu instid0(SALU_CYCLE_1)
	s_mul_hi_u32 s39, s2, s5
	s_mul_i32 s38, s2, s5
	s_mul_hi_u32 s24, s2, s4
	s_mul_hi_u32 s17, s3, s4
	s_mul_i32 s4, s3, s4
	s_add_nc_u64 s[38:39], s[24:25], s[38:39]
	s_mul_hi_u32 s21, s3, s5
	s_add_co_u32 s4, s38, s4
	s_add_co_ci_u32 s24, s39, s17
	s_mul_i32 s4, s3, s5
	s_add_co_ci_u32 s5, s21, 0
	s_delay_alu instid0(SALU_CYCLE_1) | instskip(NEXT) | instid1(SALU_CYCLE_1)
	s_add_nc_u64 s[4:5], s[24:25], s[4:5]
	s_add_co_u32 s17, s2, s4
	s_cselect_b32 s2, -1, 0
	s_delay_alu instid0(SALU_CYCLE_1) | instskip(SKIP_2) | instid1(SALU_CYCLE_1)
	s_cmp_lg_u32 s2, 0
	s_add_co_ci_u32 s21, s3, s5
	s_ashr_i32 s2, s1, 31
	s_mov_b32 s3, s2
	s_delay_alu instid0(SALU_CYCLE_1) | instskip(NEXT) | instid1(SALU_CYCLE_1)
	s_add_nc_u64 s[4:5], s[0:1], s[2:3]
	s_xor_b64 s[4:5], s[4:5], s[2:3]
	s_delay_alu instid0(SALU_CYCLE_1)
	s_mul_hi_u32 s39, s4, s21
	s_mul_i32 s38, s4, s21
	s_mul_hi_u32 s24, s4, s17
	s_mul_hi_u32 s29, s5, s17
	s_mul_i32 s17, s5, s17
	s_add_nc_u64 s[38:39], s[24:25], s[38:39]
	s_mul_hi_u32 s1, s5, s21
	s_add_co_u32 s17, s38, s17
	s_add_co_ci_u32 s24, s39, s29
	s_mul_i32 s40, s5, s21
	s_add_co_ci_u32 s41, s1, 0
	s_delay_alu instid0(SALU_CYCLE_1) | instskip(NEXT) | instid1(SALU_CYCLE_1)
	s_add_nc_u64 s[38:39], s[24:25], s[40:41]
	s_and_b64 s[40:41], s[38:39], 0xffffffff00000000
	s_delay_alu instid0(SALU_CYCLE_1) | instskip(NEXT) | instid1(SALU_CYCLE_1)
	s_or_b32 s40, s40, s38
	s_mul_u64 s[38:39], s[6:7], s[40:41]
	s_add_nc_u64 s[42:43], s[40:41], 1
	s_sub_co_u32 s1, s4, s38
	s_cselect_b32 s4, -1, 0
	s_sub_co_i32 s17, s5, s39
	s_cmp_lg_u32 s4, 0
	s_add_nc_u64 s[44:45], s[40:41], 2
	s_sub_co_ci_u32 s17, s17, s7
	s_sub_co_u32 s21, s1, s6
	s_cselect_b32 s24, -1, 0
	s_delay_alu instid0(SALU_CYCLE_1) | instskip(SKIP_1) | instid1(SALU_CYCLE_1)
	s_cmp_lg_u32 s24, 0
	s_sub_co_ci_u32 s17, s17, 0
	s_cmp_ge_u32 s17, s7
	s_cselect_b32 s24, -1, 0
	s_cmp_ge_u32 s21, s6
	s_cselect_b32 s21, -1, 0
	s_cmp_eq_u32 s17, s7
	s_cselect_b32 s17, s21, s24
	s_delay_alu instid0(SALU_CYCLE_1) | instskip(SKIP_4) | instid1(SALU_CYCLE_1)
	s_cmp_lg_u32 s17, 0
	s_cselect_b32 s17, s44, s42
	s_cselect_b32 s21, s45, s43
	s_cmp_lg_u32 s4, 0
	s_sub_co_ci_u32 s4, s5, s39
	s_cmp_ge_u32 s4, s7
	s_cselect_b32 s5, -1, 0
	s_cmp_ge_u32 s1, s6
	s_cselect_b32 s1, -1, 0
	s_cmp_eq_u32 s4, s7
	s_cselect_b32 s1, s1, s5
	s_delay_alu instid0(SALU_CYCLE_1) | instskip(SKIP_3) | instid1(SALU_CYCLE_1)
	s_cmp_lg_u32 s1, 0
	s_cselect_b32 s5, s21, s41
	s_cselect_b32 s4, s17, s40
	s_xor_b64 s[2:3], s[2:3], 0
	s_xor_b64 s[4:5], s[4:5], s[2:3]
	s_delay_alu instid0(SALU_CYCLE_1)
	s_sub_nc_u64 s[40:41], s[4:5], s[2:3]
	s_mov_b32 s2, 0
.LBB23_11:                              ;   in Loop: Header=BB23_9 Depth=1
	s_delay_alu instid0(SALU_CYCLE_1)
	s_and_not1_b32 vcc_lo, exec_lo, s2
	s_cbranch_vccnz .LBB23_13
; %bb.12:                               ;   in Loop: Header=BB23_9 Depth=1
	v_readfirstlane_b32 s1, v7
	s_sub_co_i32 s2, 0, s16
	s_delay_alu instid0(SALU_CYCLE_1) | instskip(NEXT) | instid1(SALU_CYCLE_1)
	s_mul_i32 s2, s2, s1
	s_mul_hi_u32 s2, s1, s2
	s_delay_alu instid0(SALU_CYCLE_1) | instskip(NEXT) | instid1(SALU_CYCLE_1)
	s_add_co_i32 s1, s1, s2
	s_mul_hi_u32 s1, s0, s1
	s_delay_alu instid0(SALU_CYCLE_1) | instskip(NEXT) | instid1(SALU_CYCLE_1)
	s_mul_i32 s2, s1, s16
	s_sub_co_i32 s0, s0, s2
	s_add_co_i32 s2, s1, 1
	s_sub_co_i32 s3, s0, s16
	s_cmp_ge_u32 s0, s16
	s_cselect_b32 s1, s2, s1
	s_cselect_b32 s0, s3, s0
	s_add_co_i32 s2, s1, 1
	s_cmp_ge_u32 s0, s16
	s_cselect_b32 s24, s2, s1
	s_delay_alu instid0(SALU_CYCLE_1)
	s_mov_b64 s[40:41], s[24:25]
.LBB23_13:                              ;   in Loop: Header=BB23_9 Depth=1
	s_delay_alu instid0(SALU_CYCLE_1)
	s_cmp_lg_u32 s20, s40
	s_mov_b32 s0, -1
                                        ; implicit-def: $vgpr4_vgpr5
                                        ; implicit-def: $sgpr24
                                        ; implicit-def: $sgpr17
                                        ; implicit-def: $sgpr21
                                        ; implicit-def: $sgpr29
	s_cbranch_scc0 .LBB23_18
; %bb.14:                               ;   in Loop: Header=BB23_9 Depth=1
	s_add_co_i32 s0, s36, s16
	v_max_num_f32_e64 v4, s28, s28
	s_lshl_b32 s0, s0, 5
	s_mov_b32 s29, s20
	s_add_co_i32 s0, s0, s15
	s_load_b64 s[38:39], s[10:11], s0 offset:0x0 scale_offset
	s_wait_xcnt 0x0
	v_readfirstlane_b32 s0, v4
	s_wait_kmcnt 0x0
	v_max_num_f32_e64 v5, s38, s38
	s_delay_alu instid0(VALU_DEP_1) | instskip(SKIP_1) | instid1(SALU_CYCLE_3)
	v_readfirstlane_b32 s1, v5
	s_max_num_f32 s17, s0, s1
	s_sub_f32 s33, s28, s17
	s_sub_f32 s37, s38, s17
	s_delay_alu instid0(SALU_CYCLE_2)
	s_cmp_nlt_f32 s33, 0xc2ce8ed0
	s_cselect_b32 s1, -1, 0
	s_cmp_ngt_f32 s33, 0x42b17218
	s_cselect_b32 s2, -1, 0
	s_cmp_ge_f32 s33, 0xc1a00000
	s_cselect_b32 s0, -1, 0
	s_cmp_nlt_f32 s37, 0xc2ce8ed0
	s_cselect_b32 s3, -1, 0
	s_cmp_ngt_f32 s37, 0x42b17218
	s_cselect_b32 s4, -1, 0
	s_cmp_ge_f32 s37, 0xc1a00000
	s_cselect_b32 s5, -1, 0
	s_and_b64 s[42:43], s[40:41], s[8:9]
	s_delay_alu instid0(SALU_CYCLE_1) | instskip(NEXT) | instid1(SALU_CYCLE_1)
	s_mul_u64 s[42:43], s[42:43], s[22:23]
	s_add_co_i32 s21, s43, s40
	s_delay_alu instid0(SALU_CYCLE_1) | instskip(NEXT) | instid1(SALU_CYCLE_1)
	s_lshr_b32 s21, s21, s13
	s_mul_i32 s24, s21, s14
	s_delay_alu instid0(SALU_CYCLE_1) | instskip(SKIP_3) | instid1(SALU_CYCLE_1)
	s_cmp_eq_u32 s24, s40
	s_cselect_b32 s24, -1, 0
	s_cmp_lt_u32 s21, s12
	s_cselect_b32 s21, -1, 0
	s_or_b32 s21, s21, s24
	s_mov_b32 s24, -1
	s_and_b32 vcc_lo, exec_lo, s21
	s_mov_b32 s21, s36
	s_cbranch_vccnz .LBB23_16
; %bb.15:                               ;   in Loop: Header=BB23_9 Depth=1
	s_add_co_i32 s21, s36, -1
	s_mov_b32 s24, 0
	s_mov_b32 s29, s40
.LBB23_16:                              ;   in Loop: Header=BB23_9 Depth=1
	v_lshl_add_u32 v4, s36, 11, v6
	s_mul_f32 s40, s33, 0x3fb8aa3b
	s_mul_f32 s38, s37, 0x3fb8aa3b
	s_delay_alu instid0(SALU_CYCLE_2)
	s_xor_b32 s42, s40, 0x80000000
	global_load_b32 v5, v4, s[26:27] scale_offset
	s_fmamk_f32 s42, s33, 0x3fb8aa3b, s42
	s_rndne_f32 s44, s40
	s_xor_b32 s41, s38, 0x80000000
	s_rndne_f32 s43, s38
	s_fmamk_f32 s33, s33, 0x32a5705f, s42
	s_sub_f32 s40, s40, s44
	s_fmamk_f32 s41, s37, 0x3fb8aa3b, s41
	s_sub_f32 s38, s38, s43
	s_delay_alu instid0(SALU_CYCLE_1) | instskip(NEXT) | instid1(SALU_CYCLE_1)
	s_add_f32 s33, s40, s33
	s_fmamk_f32 s37, s37, 0x32a5705f, s41
	s_cvt_i32_f32 s40, s44
	s_delay_alu instid0(SALU_CYCLE_1) | instskip(NEXT) | instid1(SALU_CYCLE_1)
	v_s_exp_f32 s33, s33
	s_add_f32 s37, s38, s37
	s_cvt_i32_f32 s38, s43
	s_delay_alu instid0(SALU_CYCLE_2) | instskip(NEXT) | instid1(TRANS32_DEP_2)
	v_s_exp_f32 s37, s37
	v_ldexp_f32 v8, s33, s40
	s_wait_xcnt 0x0
	s_delay_alu instid0(TRANS32_DEP_1) | instskip(NEXT) | instid1(VALU_DEP_2)
	v_ldexp_f32 v4, s37, s38
	v_cndmask_b32_e64 v8, 0, v8, s1
	s_delay_alu instid0(VALU_DEP_1) | instskip(NEXT) | instid1(VALU_DEP_1)
	v_cndmask_b32_e64 v9, 0x7f800000, v8, s2
	v_dual_cndmask_b32 v4, 0, v4, s3 :: v_dual_cndmask_b32 v10, 0, v9, s0
	s_delay_alu instid0(VALU_DEP_1) | instskip(NEXT) | instid1(VALU_DEP_1)
	v_cndmask_b32_e64 v4, 0x7f800000, v4, s4
	v_dual_cndmask_b32 v8, 0, v4, s5 :: v_dual_mov_b32 v4, s39
	s_wait_loadcnt 0x0
	s_delay_alu instid0(VALU_DEP_1) | instskip(NEXT) | instid1(VALU_DEP_1)
	v_pk_mul_f32 v[4:5], v[4:5], v[8:9] op_sel_hi:[1,0]
	v_pk_fma_f32 v[4:5], v[0:1], v[10:11], v[4:5] op_sel_hi:[1,0,1]
	s_cbranch_execz .LBB23_19
.LBB23_17:                              ;   in Loop: Header=BB23_9 Depth=1
	s_and_not1_b32 vcc_lo, exec_lo, s24
	s_cbranch_vccnz .LBB23_20
	s_branch .LBB23_23
.LBB23_18:                              ;   in Loop: Header=BB23_9 Depth=1
	s_and_not1_b32 vcc_lo, exec_lo, s0
	s_cbranch_vccnz .LBB23_17
.LBB23_19:                              ;   in Loop: Header=BB23_9 Depth=1
	s_wait_loadcnt 0x0
	v_mov_b64_e32 v[4:5], v[0:1]
	s_add_co_i32 s21, s36, -1
	s_mov_b32 s29, s20
	s_mov_b32 s17, s28
	s_cbranch_execz .LBB23_23
.LBB23_20:                              ;   in Loop: Header=BB23_9 Depth=1
	s_wait_loadcnt 0x0
	s_delay_alu instid0(VALU_DEP_1)
	v_mov_b64_e32 v[0:1], v[4:5]
	s_mov_b32 s20, s29
	s_mov_b32 s36, s21
	;; [unrolled: 1-line block ×3, first 2 shown]
	s_branch .LBB23_9
.LBB23_21:
                                        ; implicit-def: $sgpr20_sgpr21
	s_branch .LBB23_2
.LBB23_22:
                                        ; implicit-def: $sgpr24_sgpr25
	s_load_b96 s[12:14], s[0:1], 0x44
	s_branch .LBB23_5
.LBB23_23:
	s_delay_alu instid0(VALU_DEP_1) | instskip(SKIP_1) | instid1(VALU_DEP_1)
	v_div_scale_f32 v0, null, v4, v4, v5
	s_wait_loadcnt 0x0
	v_rcp_f32_e32 v1, v0
	v_nop
	s_delay_alu instid0(TRANS32_DEP_1) | instskip(NEXT) | instid1(VALU_DEP_1)
	v_fma_f32 v6, -v0, v1, 1.0
	v_fmac_f32_e32 v1, v6, v1
	v_div_scale_f32 v6, vcc_lo, v5, v4, v5
	s_delay_alu instid0(VALU_DEP_1) | instskip(NEXT) | instid1(VALU_DEP_1)
	v_mul_f32_e32 v7, v6, v1
	v_fma_f32 v8, -v0, v7, v6
	s_delay_alu instid0(VALU_DEP_1) | instskip(NEXT) | instid1(VALU_DEP_1)
	v_fmac_f32_e32 v7, v8, v1
	v_fma_f32 v0, -v0, v7, v6
	s_delay_alu instid0(VALU_DEP_1) | instskip(NEXT) | instid1(VALU_DEP_1)
	v_div_fmas_f32 v0, v0, v1, v7
	v_div_fixup_f32 v0, v0, v4, v5
	global_store_b32 v[2:3], v0, off
.LBB23_24:
	s_endpgm
	.section	.rodata,"a",@progbits
	.p2align	6, 0x0
	.amdhsa_kernel _ZL33flash_attn_stream_k_fixup_generalILi64ELi8ELi4EEvPfPK15HIP_vector_typeIfLj2EEiiiiS1_IjLj3EES5_S5_S5_
		.amdhsa_group_segment_fixed_size 0
		.amdhsa_private_segment_fixed_size 0
		.amdhsa_kernarg_size 336
		.amdhsa_user_sgpr_count 2
		.amdhsa_user_sgpr_dispatch_ptr 0
		.amdhsa_user_sgpr_queue_ptr 0
		.amdhsa_user_sgpr_kernarg_segment_ptr 1
		.amdhsa_user_sgpr_dispatch_id 0
		.amdhsa_user_sgpr_kernarg_preload_length 0
		.amdhsa_user_sgpr_kernarg_preload_offset 0
		.amdhsa_user_sgpr_private_segment_size 0
		.amdhsa_wavefront_size32 1
		.amdhsa_uses_dynamic_stack 0
		.amdhsa_enable_private_segment 0
		.amdhsa_system_sgpr_workgroup_id_x 1
		.amdhsa_system_sgpr_workgroup_id_y 1
		.amdhsa_system_sgpr_workgroup_id_z 1
		.amdhsa_system_sgpr_workgroup_info 0
		.amdhsa_system_vgpr_workitem_id 0
		.amdhsa_next_free_vgpr 12
		.amdhsa_next_free_sgpr 46
		.amdhsa_named_barrier_count 0
		.amdhsa_reserve_vcc 1
		.amdhsa_float_round_mode_32 0
		.amdhsa_float_round_mode_16_64 0
		.amdhsa_float_denorm_mode_32 3
		.amdhsa_float_denorm_mode_16_64 3
		.amdhsa_fp16_overflow 0
		.amdhsa_memory_ordered 1
		.amdhsa_forward_progress 1
		.amdhsa_inst_pref_size 27
		.amdhsa_round_robin_scheduling 0
		.amdhsa_exception_fp_ieee_invalid_op 0
		.amdhsa_exception_fp_denorm_src 0
		.amdhsa_exception_fp_ieee_div_zero 0
		.amdhsa_exception_fp_ieee_overflow 0
		.amdhsa_exception_fp_ieee_underflow 0
		.amdhsa_exception_fp_ieee_inexact 0
		.amdhsa_exception_int_div_zero 0
	.end_amdhsa_kernel
	.section	.text._ZL33flash_attn_stream_k_fixup_generalILi64ELi8ELi4EEvPfPK15HIP_vector_typeIfLj2EEiiiiS1_IjLj3EES5_S5_S5_,"axG",@progbits,_ZL33flash_attn_stream_k_fixup_generalILi64ELi8ELi4EEvPfPK15HIP_vector_typeIfLj2EEiiiiS1_IjLj3EES5_S5_S5_,comdat
.Lfunc_end23:
	.size	_ZL33flash_attn_stream_k_fixup_generalILi64ELi8ELi4EEvPfPK15HIP_vector_typeIfLj2EEiiiiS1_IjLj3EES5_S5_S5_, .Lfunc_end23-_ZL33flash_attn_stream_k_fixup_generalILi64ELi8ELi4EEvPfPK15HIP_vector_typeIfLj2EEiiiiS1_IjLj3EES5_S5_S5_
                                        ; -- End function
	.set _ZL33flash_attn_stream_k_fixup_generalILi64ELi8ELi4EEvPfPK15HIP_vector_typeIfLj2EEiiiiS1_IjLj3EES5_S5_S5_.num_vgpr, 12
	.set _ZL33flash_attn_stream_k_fixup_generalILi64ELi8ELi4EEvPfPK15HIP_vector_typeIfLj2EEiiiiS1_IjLj3EES5_S5_S5_.num_agpr, 0
	.set _ZL33flash_attn_stream_k_fixup_generalILi64ELi8ELi4EEvPfPK15HIP_vector_typeIfLj2EEiiiiS1_IjLj3EES5_S5_S5_.numbered_sgpr, 46
	.set _ZL33flash_attn_stream_k_fixup_generalILi64ELi8ELi4EEvPfPK15HIP_vector_typeIfLj2EEiiiiS1_IjLj3EES5_S5_S5_.num_named_barrier, 0
	.set _ZL33flash_attn_stream_k_fixup_generalILi64ELi8ELi4EEvPfPK15HIP_vector_typeIfLj2EEiiiiS1_IjLj3EES5_S5_S5_.private_seg_size, 0
	.set _ZL33flash_attn_stream_k_fixup_generalILi64ELi8ELi4EEvPfPK15HIP_vector_typeIfLj2EEiiiiS1_IjLj3EES5_S5_S5_.uses_vcc, 1
	.set _ZL33flash_attn_stream_k_fixup_generalILi64ELi8ELi4EEvPfPK15HIP_vector_typeIfLj2EEiiiiS1_IjLj3EES5_S5_S5_.uses_flat_scratch, 0
	.set _ZL33flash_attn_stream_k_fixup_generalILi64ELi8ELi4EEvPfPK15HIP_vector_typeIfLj2EEiiiiS1_IjLj3EES5_S5_S5_.has_dyn_sized_stack, 0
	.set _ZL33flash_attn_stream_k_fixup_generalILi64ELi8ELi4EEvPfPK15HIP_vector_typeIfLj2EEiiiiS1_IjLj3EES5_S5_S5_.has_recursion, 0
	.set _ZL33flash_attn_stream_k_fixup_generalILi64ELi8ELi4EEvPfPK15HIP_vector_typeIfLj2EEiiiiS1_IjLj3EES5_S5_S5_.has_indirect_call, 0
	.section	.AMDGPU.csdata,"",@progbits
; Kernel info:
; codeLenInByte = 3360
; TotalNumSgprs: 48
; NumVgprs: 12
; ScratchSize: 0
; MemoryBound: 0
; FloatMode: 240
; IeeeMode: 1
; LDSByteSize: 0 bytes/workgroup (compile time only)
; SGPRBlocks: 0
; VGPRBlocks: 0
; NumSGPRsForWavesPerEU: 48
; NumVGPRsForWavesPerEU: 12
; NamedBarCnt: 0
; Occupancy: 16
; WaveLimiterHint : 0
; COMPUTE_PGM_RSRC2:SCRATCH_EN: 0
; COMPUTE_PGM_RSRC2:USER_SGPR: 2
; COMPUTE_PGM_RSRC2:TRAP_HANDLER: 0
; COMPUTE_PGM_RSRC2:TGID_X_EN: 1
; COMPUTE_PGM_RSRC2:TGID_Y_EN: 1
; COMPUTE_PGM_RSRC2:TGID_Z_EN: 1
; COMPUTE_PGM_RSRC2:TIDIG_COMP_CNT: 0
	.section	.text._ZL15flash_attn_tileILi64ELi64ELi4ELi4ELb0EEvPKcS1_S1_S1_S1_PKiPfP15HIP_vector_typeIfLj2EEffffjfiS5_IjLj3EEiiiiiiiiiiiliiliiiiil,"axG",@progbits,_ZL15flash_attn_tileILi64ELi64ELi4ELi4ELb0EEvPKcS1_S1_S1_S1_PKiPfP15HIP_vector_typeIfLj2EEffffjfiS5_IjLj3EEiiiiiiiiiiiliiliiiiil,comdat
	.globl	_ZL15flash_attn_tileILi64ELi64ELi4ELi4ELb0EEvPKcS1_S1_S1_S1_PKiPfP15HIP_vector_typeIfLj2EEffffjfiS5_IjLj3EEiiiiiiiiiiiliiliiiiil ; -- Begin function _ZL15flash_attn_tileILi64ELi64ELi4ELi4ELb0EEvPKcS1_S1_S1_S1_PKiPfP15HIP_vector_typeIfLj2EEffffjfiS5_IjLj3EEiiiiiiiiiiiliiliiiiil
	.p2align	8
	.type	_ZL15flash_attn_tileILi64ELi64ELi4ELi4ELb0EEvPKcS1_S1_S1_S1_PKiPfP15HIP_vector_typeIfLj2EEffffjfiS5_IjLj3EEiiiiiiiiiiiliiliiiiil,@function
_ZL15flash_attn_tileILi64ELi64ELi4ELi4ELb0EEvPKcS1_S1_S1_S1_PKiPfP15HIP_vector_typeIfLj2EEffffjfiS5_IjLj3EEiiiiiiiiiiiliiliiiiil: ; @_ZL15flash_attn_tileILi64ELi64ELi4ELi4ELb0EEvPKcS1_S1_S1_S1_PKiPfP15HIP_vector_typeIfLj2EEffffjfiS5_IjLj3EEiiiiiiiiiiiliiliiiiil
; %bb.0:
	s_clause 0x1
	s_load_b128 s[20:23], s[0:1], 0x5c
	s_load_b64 s[30:31], s[0:1], 0x80
	s_bfe_u32 s5, ttmp6, 0x40014
	s_lshr_b32 s4, ttmp7, 16
	s_add_co_i32 s5, s5, 1
	s_bfe_u32 s6, ttmp6, 0x40008
	s_mul_i32 s5, s4, s5
	s_getreg_b32 s24, hwreg(HW_REG_IB_STS2, 6, 4)
	s_add_co_i32 s6, s6, s5
	s_load_b64 s[38:39], s[0:1], 0xb8
	s_mov_b32 s37, 0
	s_mov_b64 s[34:35], 0
	s_wait_kmcnt 0x0
	s_ashr_i32 s2, s23, 31
	s_delay_alu instid0(SALU_CYCLE_1) | instskip(NEXT) | instid1(SALU_CYCLE_1)
	s_lshr_b32 s2, s2, 30
	s_add_co_i32 s2, s23, s2
	s_delay_alu instid0(SALU_CYCLE_1) | instskip(NEXT) | instid1(SALU_CYCLE_1)
	s_ashr_i32 s2, s2, 2
	s_cvt_f32_u32 s3, s2
	s_sub_co_i32 s7, 0, s2
	s_delay_alu instid0(SALU_CYCLE_2) | instskip(SKIP_1) | instid1(TRANS32_DEP_1)
	v_rcp_iflag_f32_e32 v1, s3
	v_nop
	v_readfirstlane_b32 s3, v1
	s_mul_f32 s3, s3, 0x4f7ffffe
	s_delay_alu instid0(SALU_CYCLE_3) | instskip(NEXT) | instid1(SALU_CYCLE_3)
	s_cvt_u32_f32 s3, s3
	s_mul_i32 s7, s7, s3
	s_delay_alu instid0(SALU_CYCLE_1) | instskip(NEXT) | instid1(SALU_CYCLE_1)
	s_mul_hi_u32 s7, s3, s7
	s_add_co_i32 s3, s3, s7
	s_cmp_eq_u32 s24, 0
	s_cselect_b32 s4, s4, s6
	s_delay_alu instid0(SALU_CYCLE_1) | instskip(NEXT) | instid1(SALU_CYCLE_1)
	s_mul_hi_u32 s3, s4, s3
	s_mul_i32 s5, s3, s2
	s_add_co_i32 s6, s3, 1
	s_sub_co_i32 s5, s4, s5
	s_delay_alu instid0(SALU_CYCLE_1)
	s_sub_co_i32 s7, s5, s2
	s_cmp_ge_u32 s5, s2
	s_cselect_b32 s3, s6, s3
	s_cselect_b32 s5, s7, s5
	s_add_co_i32 s6, s3, 1
	s_cmp_ge_u32 s5, s2
	s_cselect_b32 s2, s6, s3
	s_abs_i32 s3, s31
	s_lshl_b32 s4, s4, 2
	s_cvt_f32_u32 s5, s3
	s_sub_co_i32 s6, 0, s3
	s_mul_i32 s7, s2, s23
	s_abs_i32 s8, s23
	v_rcp_iflag_f32_e32 v1, s5
	s_sub_co_i32 s28, s4, s7
	v_nop
	s_delay_alu instid0(TRANS32_DEP_1) | instskip(SKIP_1) | instid1(SALU_CYCLE_3)
	v_readfirstlane_b32 s5, v1
	s_mul_f32 s5, s5, 0x4f7ffffe
	s_cvt_u32_f32 s5, s5
	s_delay_alu instid0(SALU_CYCLE_3) | instskip(NEXT) | instid1(SALU_CYCLE_1)
	s_mul_i32 s6, s6, s5
	s_mul_hi_u32 s6, s5, s6
	s_delay_alu instid0(SALU_CYCLE_1) | instskip(NEXT) | instid1(SALU_CYCLE_1)
	s_add_co_i32 s5, s5, s6
	s_mul_hi_u32 s4, s8, s5
	s_xor_b32 s5, s23, s31
	s_mul_i32 s6, s4, s3
	s_ashr_i32 s25, s5, 31
	s_sub_co_i32 s5, s8, s6
	s_add_co_i32 s6, s4, 1
	s_sub_co_i32 s7, s5, s3
	s_cmp_ge_u32 s5, s3
	s_cselect_b32 s4, s6, s4
	s_cselect_b32 s5, s7, s5
	s_add_co_i32 s6, s4, 1
	s_cmp_ge_u32 s5, s3
	s_cselect_b32 s3, s6, s4
	s_load_b512 s[4:19], s[0:1], 0x0
	s_xor_b32 s3, s3, s25
	s_delay_alu instid0(SALU_CYCLE_1) | instskip(NEXT) | instid1(SALU_CYCLE_1)
	s_sub_co_i32 s3, s3, s25
	s_abs_i32 s29, s3
	s_delay_alu instid0(SALU_CYCLE_1) | instskip(NEXT) | instid1(SALU_CYCLE_3)
	s_cvt_f32_u32 s25, s29
	v_rcp_iflag_f32_e32 v1, s25
	v_nop
	s_delay_alu instid0(TRANS32_DEP_1)
	v_readfirstlane_b32 s33, v1
	s_wait_kmcnt 0x0
	s_cmp_eq_u64 s[10:11], 0
	s_cbranch_scc1 .LBB24_2
; %bb.1:
	s_abs_i32 s25, s38
	s_abs_i32 s31, s2
	s_cvt_f32_u32 s26, s25
	s_sub_co_i32 s27, 0, s25
	s_delay_alu instid0(SALU_CYCLE_2) | instskip(SKIP_1) | instid1(TRANS32_DEP_1)
	v_rcp_iflag_f32_e32 v1, s26
	v_nop
	v_readfirstlane_b32 s26, v1
	s_mul_f32 s26, s26, 0x4f7ffffe
	s_delay_alu instid0(SALU_CYCLE_3) | instskip(NEXT) | instid1(SALU_CYCLE_3)
	s_cvt_u32_f32 s26, s26
	s_mul_i32 s27, s27, s26
	s_delay_alu instid0(SALU_CYCLE_1) | instskip(NEXT) | instid1(SALU_CYCLE_1)
	s_mul_hi_u32 s27, s26, s27
	s_add_co_i32 s26, s26, s27
	s_delay_alu instid0(SALU_CYCLE_1) | instskip(SKIP_2) | instid1(SALU_CYCLE_1)
	s_mul_hi_u32 s34, s31, s26
	s_load_b64 s[26:27], s[0:1], 0xc8
	s_mul_i32 s34, s34, s25
	s_sub_co_i32 s31, s31, s34
	s_ashr_i32 s34, s2, 31
	s_sub_co_i32 s35, s31, s25
	s_cmp_ge_u32 s31, s25
	s_cselect_b32 s31, s35, s31
	s_delay_alu instid0(SALU_CYCLE_1) | instskip(SKIP_2) | instid1(SALU_CYCLE_1)
	s_sub_co_i32 s35, s31, s25
	s_cmp_ge_u32 s31, s25
	s_cselect_b32 s25, s35, s31
	s_xor_b32 s25, s25, s34
	s_delay_alu instid0(SALU_CYCLE_1) | instskip(NEXT) | instid1(SALU_CYCLE_1)
	s_sub_co_i32 s34, s25, s34
	s_ashr_i32 s35, s34, 31
	s_wait_kmcnt 0x0
	s_mul_u64 s[26:27], s[26:27], s[34:35]
	s_delay_alu instid0(SALU_CYCLE_1)
	s_add_nc_u64 s[34:35], s[10:11], s[26:27]
.LBB24_2:
	s_bfe_u32 s10, ttmp6, 0x4000c
	s_and_b32 s11, ttmp6, 15
	s_add_co_i32 s10, s10, 1
	v_bfe_u32 v1, v0, 10, 10
	s_mul_i32 s10, ttmp9, s10
	s_load_b96 s[40:42], s[0:1], 0x70
	s_add_co_i32 s11, s11, s10
	s_cmp_eq_u32 s24, 0
	v_and_b32_e32 v70, 0x3ff, v0
	s_cselect_b32 s10, ttmp9, s11
	v_lshl_add_u32 v72, v1, 9, 0x5800
	v_lshl_add_u32 v71, s10, 2, v1
	v_mov_b32_e32 v5, 0
	s_delay_alu instid0(VALU_DEP_2) | instskip(NEXT) | instid1(VALU_DEP_2)
	v_mul_hi_u32 v2, s20, v71
	v_mov_b32_e32 v3, v5
	s_wait_kmcnt 0x0
	s_mul_i32 s20, s28, s41
	s_ashr_i32 s27, s41, 31
	s_delay_alu instid0(VALU_DEP_2) | instskip(SKIP_2) | instid1(SALU_CYCLE_1)
	v_add_nc_u32_e32 v2, v71, v2
	s_mov_b32 s26, s41
	s_ashr_i32 s41, s40, 31
	s_lshr_b64 s[40:41], s[40:41], 2
	s_delay_alu instid0(VALU_DEP_1) | instskip(SKIP_1) | instid1(VALU_DEP_1)
	v_lshrrev_b32_e32 v2, s21, v2
	s_ashr_i32 s21, s20, 31
	v_mul_lo_u32 v2, v2, s22
	s_delay_alu instid0(VALU_DEP_1) | instskip(SKIP_1) | instid1(VALU_DEP_2)
	v_sub_nc_u32_e32 v4, v71, v2
	v_lshlrev_b32_e32 v2, 3, v70
	v_mul_u64_e32 v[6:7], s[40:41], v[4:5]
	s_mul_i32 s40, s2, s42
	s_delay_alu instid0(SALU_CYCLE_1) | instskip(NEXT) | instid1(SALU_CYCLE_1)
	s_ashr_i32 s41, s40, 31
	s_add_nc_u64 s[4:5], s[4:5], s[40:41]
	s_delay_alu instid0(SALU_CYCLE_1) | instskip(SKIP_1) | instid1(VALU_DEP_1)
	s_add_nc_u64 s[4:5], s[4:5], s[20:21]
	s_and_b64 s[20:21], s[26:27], -4
	v_lshl_add_u64 v[6:7], v[6:7], 2, s[4:5]
	s_lshr_b64 s[4:5], s[26:27], 2
	s_cmp_eq_u64 s[14:15], 0
	s_delay_alu instid0(VALU_DEP_1) | instskip(NEXT) | instid1(VALU_DEP_1)
	v_add_nc_u64_e32 v[6:7], v[6:7], v[2:3]
	v_mad_nc_u64_u32 v[8:9], s4, 12, v[6:7]
	v_add_nc_u64_e32 v[10:11], s[20:21], v[6:7]
	global_load_b64 v[12:13], v[6:7], off
	s_wait_xcnt 0x0
	v_lshl_add_u64 v[6:7], s[4:5], 3, v[6:7]
	s_load_b32 s4, s[0:1], 0x40
	v_mad_u32 v9, s27, 12, v9
	s_clause 0x2
	global_load_b64 v[14:15], v[10:11], off
	global_load_b64 v[16:17], v[6:7], off
	;; [unrolled: 1-line block ×3, first 2 shown]
	s_wait_xcnt 0x2
	v_lshl_add_u32 v11, v70, 2, v72
	s_wait_loadcnt 0x3
	s_wait_kmcnt 0x0
	v_fma_mixlo_f16 v0, s4, v13, 0
	v_fma_mixlo_f16 v3, s4, v12, 0
	s_delay_alu instid0(VALU_DEP_2) | instskip(NEXT) | instid1(VALU_DEP_2)
	v_lshlrev_b32_e32 v0, 16, v0
	v_and_b32_e32 v3, 0xffff, v3
	s_delay_alu instid0(VALU_DEP_1)
	v_or_b32_e32 v0, v0, v3
	s_wait_loadcnt 0x2
	v_fma_mixlo_f16 v5, s4, v15, 0
	s_wait_xcnt 0x1
	v_fma_mixlo_f16 v6, s4, v14, 0
	s_wait_loadcnt 0x1
	v_fma_mixlo_f16 v7, s4, v16, 0
	s_wait_xcnt 0x0
	v_fma_mixlo_f16 v8, s4, v17, 0
	s_wait_loadcnt 0x0
	v_fma_mixlo_f16 v9, s4, v19, 0
	v_fma_mixlo_f16 v10, s4, v18, 0
	v_lshlrev_b32_e32 v5, 16, v5
	v_and_b32_e32 v6, 0xffff, v6
	s_delay_alu instid0(VALU_DEP_4) | instskip(SKIP_2) | instid1(VALU_DEP_4)
	v_dual_lshlrev_b32 v8, 16, v8 :: v_dual_lshlrev_b32 v9, 16, v9
	v_and_b32_e32 v7, 0xffff, v7
	v_and_b32_e32 v10, 0xffff, v10
	v_or_b32_e32 v3, v5, v6
	s_delay_alu instid0(VALU_DEP_3) | instskip(NEXT) | instid1(VALU_DEP_3)
	v_or_b32_e32 v5, v8, v7
	v_or_b32_e32 v6, v9, v10
	ds_store_2addr_b32 v11, v0, v3 offset1:32
	ds_store_2addr_b32 v11, v5, v6 offset0:64 offset1:96
	s_wait_dscnt 0x0
	s_barrier_signal -1
	s_barrier_wait -1
	s_cbranch_scc1 .LBB24_4
; %bb.3:
	s_load_b32 s4, s[0:1], 0xd0
	s_wait_kmcnt 0x0
	s_mul_i32 s4, s4, s2
	s_delay_alu instid0(SALU_CYCLE_1)
	s_add_co_i32 s4, s4, s10
	s_load_b32 s30, s[14:15], s4 offset:0x0 scale_offset
.LBB24_4:
	s_wait_xcnt 0x0
	s_bfe_u32 s4, ttmp6, 0x40010
	s_and_b32 s5, ttmp7, 0xffff
	s_add_co_i32 s4, s4, 1
	s_bfe_u32 s10, ttmp6, 0x40004
	s_mul_i32 s4, s5, s4
	v_mbcnt_lo_u32_b32 v73, -1, 0
	s_add_co_i32 s10, s10, s4
	s_cmp_eq_u32 s24, 0
	s_cselect_b32 s31, s5, s10
	s_mov_b32 s5, 0
	s_lshl_b32 s4, s31, 7
	s_wait_kmcnt 0x0
	s_cmp_lt_i32 s4, s30
	s_cbranch_scc1 .LBB24_7
; %bb.5:
	v_mbcnt_lo_u32_b32 v5, -1, 0
	s_delay_alu instid0(VALU_DEP_1)
	v_dual_mov_b32 v75, 32 :: v_dual_bitop2_b32 v81, 16, v5 bitop3:0x14
	v_xor_b32_e32 v79, 8, v5
	v_xor_b32_e32 v78, 4, v5
	;; [unrolled: 1-line block ×4, first 2 shown]
	s_and_not1_b32 vcc_lo, exec_lo, s5
	s_cbranch_vccz .LBB24_8
; %bb.6:
	v_dual_mov_b32 v106, 0 :: v_dual_mov_b32 v47, 0
	v_dual_mov_b32 v3, 0xfeffffff :: v_dual_mov_b32 v2, 0xfeffffff
	;; [unrolled: 1-line block ×3, first 2 shown]
	s_delay_alu instid0(VALU_DEP_3)
	v_dual_mov_b32 v46, v47 :: v_dual_mov_b32 v53, v47
	v_dual_mov_b32 v52, v47 :: v_dual_mov_b32 v105, 0
	;; [unrolled: 1-line block ×3, first 2 shown]
	s_branch .LBB24_11
.LBB24_7:
                                        ; implicit-def: $vgpr5
                                        ; implicit-def: $vgpr75
                                        ; implicit-def: $vgpr81
                                        ; implicit-def: $vgpr79
                                        ; implicit-def: $vgpr78
                                        ; implicit-def: $vgpr77
                                        ; implicit-def: $vgpr76
.LBB24_8:
	s_clause 0x1
	s_load_b64 s[14:15], s[0:1], 0x8c
	s_load_b128 s[24:27], s[0:1], 0x98
	s_mul_f32 s5, s33, 0x4f7ffffe
	s_sub_co_i32 s10, 0, s29
	s_abs_i32 s36, s28
	s_mov_b32 s11, s37
	s_cvt_u32_f32 s20, s5
	s_ashr_i32 s21, s28, 31
	s_ashr_i32 s33, s3, 31
	s_ashr_i32 s5, s39, 1
	s_mul_i32 s10, s10, s20
	s_ashr_i32 s3, s2, 31
	s_mul_hi_u32 s10, s20, s10
	s_xor_b32 s33, s21, s33
	s_add_co_i32 s10, s20, s10
	s_load_b64 s[20:21], s[0:1], 0xa8
	s_mul_u64 s[10:11], s[36:37], s[10:11]
	v_mad_u32 v84, v4, s5, v70
	s_mul_i32 s10, s11, s29
	s_add_co_i32 s37, s11, 1
	s_sub_co_i32 s36, s36, s10
	s_wait_kmcnt 0x0
	s_ashr_i32 s10, s26, 2
	s_ashr_i32 s14, s14, 2
	s_sub_co_i32 s26, s36, s29
	s_cmp_ge_u32 s36, s29
	s_mul_u64 s[24:25], s[24:25], s[2:3]
	s_cselect_b32 s11, s37, s11
	s_cselect_b32 s26, s26, s36
	s_add_co_i32 s36, s11, 1
	s_cmp_ge_u32 s26, s29
	v_lshl_add_u32 v85, v1, 10, 0x4800
	s_cselect_b32 s11, s36, s11
	s_lshl_b32 s26, s14, 4
	v_lshrrev_b32_e32 v0, 3, v70
	s_xor_b32 s11, s11, s33
	s_mul_u64 s[20:21], s[20:21], s[2:3]
	s_lshl_b32 s3, s10, 4
	s_sub_co_i32 s11, s11, s33
	v_lshl_add_u32 v0, v1, 2, v0
	s_mul_i32 s36, s11, s15
	s_add_nc_u64 s[6:7], s[6:7], s[24:25]
	s_mul_i32 s24, s11, s27
	v_mul_u32_u24_e32 v82, 0x90, v70
	v_mul_lo_u32 v32, s14, v0
	v_mul_lo_u32 v36, s10, v0
	v_dual_mov_b32 v1, 0xfeffffff :: v_dual_lshlrev_b32 v74, 2, v70
	v_dual_mov_b32 v75, 32 :: v_dual_bitop2_b32 v81, 16, v73 bitop3:0x14
	v_xor_b32_e32 v76, 1, v73
	s_ashr_i32 s37, s36, 31
	s_add_nc_u64 s[8:9], s[8:9], s[20:21]
	s_ashr_i32 s25, s24, 31
	s_add_nc_u64 s[6:7], s[6:7], s[36:37]
	v_add_nc_u32_e32 v34, s26, v32
	v_dual_add_nc_u32 v42, s3, v36 :: v_dual_ashrrev_i32 v37, 31, v36
	v_add_nc_u32_e32 v89, 0x400, v74
	v_add_nc_u32_e32 v90, 0x800, v74
	s_delay_alu instid0(VALU_DEP_4) | instskip(NEXT) | instid1(VALU_DEP_4)
	v_dual_mov_b32 v55, 0 :: v_dual_add_nc_u32 v38, s26, v34
	v_dual_ashrrev_i32 v43, 31, v42 :: v_dual_bitop2_b32 v79, 8, v73 bitop3:0x14
	s_delay_alu instid0(VALU_DEP_2) | instskip(NEXT) | instid1(VALU_DEP_3)
	v_dual_add_nc_u32 v40, s26, v38 :: v_dual_bitop2_b32 v78, 4, v73 bitop3:0x14
	v_dual_mov_b32 v53, v55 :: v_dual_add_nc_u32 v48, s3, v42
	v_dual_mov_b32 v46, v55 :: v_dual_bitop2_b32 v77, 2, v73 bitop3:0x14
	s_delay_alu instid0(VALU_DEP_3) | instskip(SKIP_2) | instid1(VALU_DEP_3)
	v_dual_mov_b32 v106, v55 :: v_dual_add_nc_u32 v44, s26, v40
	v_dual_ashrrev_i32 v41, 31, v40 :: v_dual_bitop2_b32 v6, 28, v74 bitop3:0x40
	v_dual_ashrrev_i32 v33, 31, v32 :: v_dual_ashrrev_i32 v39, 31, v38
	v_dual_ashrrev_i32 v45, 31, v44 :: v_dual_add_nc_u32 v50, s26, v44
	s_delay_alu instid0(VALU_DEP_3) | instskip(SKIP_1) | instid1(VALU_DEP_3)
	v_dual_add_nc_u32 v56, s3, v48 :: v_dual_lshlrev_b32 v3, 2, v6
	v_dual_mov_b32 v52, v55 :: v_dual_add_nc_u32 v91, 0xc00, v74
	v_add_nc_u32_e32 v58, s26, v50
	s_delay_alu instid0(VALU_DEP_3) | instskip(SKIP_2) | instid1(VALU_DEP_4)
	v_dual_ashrrev_i32 v35, 31, v34 :: v_dual_add_nc_u32 v60, s3, v56
	v_ashrrev_i32_e32 v51, 31, v50
	v_lshl_or_b32 v83, v0, 7, v3
	v_dual_add_nc_u32 v62, s26, v58 :: v_dual_ashrrev_i32 v59, 31, v58
	s_delay_alu instid0(VALU_DEP_4) | instskip(SKIP_2) | instid1(VALU_DEP_3)
	v_add_nc_u32_e32 v64, s3, v60
	v_mad_u32_u24 v80, 0x90, v0, v3
	v_dual_mov_b32 v0, 0xfeffffff :: v_dual_ashrrev_i32 v61, 31, v60
	v_dual_ashrrev_i32 v63, 31, v62 :: v_dual_add_nc_u32 v66, s3, v64
	v_ashrrev_i32_e32 v49, 31, v48
	v_ashrrev_i32_e32 v57, 31, v56
	v_dual_ashrrev_i32 v65, 31, v64 :: v_dual_lshlrev_b32 v54, 2, v6
	s_delay_alu instid0(VALU_DEP_4) | instskip(SKIP_2) | instid1(VALU_DEP_3)
	v_dual_add_nc_u32 v68, s3, v66 :: v_dual_ashrrev_i32 v67, 31, v66
	v_add_nc_u32_e32 v86, v85, v2
	v_dual_mov_b32 v2, 0xfeffffff :: v_dual_mov_b32 v3, 0xfeffffff
	v_dual_ashrrev_i32 v69, 31, v68 :: v_dual_mov_b32 v47, v55
	v_add_nc_u32_e32 v88, 0x3800, v83
	v_dual_mov_b32 v104, v55 :: v_dual_add_nc_u32 v87, 0x3000, v83
	v_add_nc_u32_e32 v92, 0x1000, v74
	v_add_nc_u32_e32 v93, 0x1400, v74
	;; [unrolled: 1-line block ×12, first 2 shown]
	v_dual_mov_b32 v107, v55 :: v_dual_mov_b32 v105, v55
	s_add_nc_u64 s[8:9], s[8:9], s[24:25]
	s_ashr_i32 s15, s14, 31
	s_ashr_i32 s11, s10, 31
	s_add_nc_u64 s[20:21], s[0:1], 0xd0
.LBB24_9:                               ; =>This Inner Loop Header: Depth=1
	s_ashr_i32 s5, s4, 31
	v_dual_mov_b32 v110, v1 :: v_dual_mov_b32 v111, v0
	s_mul_u64 s[24:25], s[4:5], s[14:15]
	v_dual_mov_b32 v108, v3 :: v_dual_mov_b32 v109, v2
	s_lshl_b64 s[24:25], s[24:25], 2
	v_dual_mov_b32 v115, 0 :: v_dual_add_nc_u32 v4, 0x900, v80
	s_add_nc_u64 s[24:25], s[6:7], s[24:25]
	v_dual_mov_b32 v114, 0 :: v_dual_mov_b32 v112, 0
	v_lshl_add_u64 v[0:1], v[32:33], 2, s[24:25]
	v_cmp_gt_i32_e32 vcc_lo, 32, v81
	v_mov_b32_e32 v113, 0
	s_delay_alu instid0(VALU_DEP_3) | instskip(SKIP_4) | instid1(VALU_DEP_1)
	v_add_nc_u64_e32 v[0:1], v[0:1], v[54:55]
	global_load_b128 v[0:3], v[0:1], off
	s_wait_loadcnt 0x0
	ds_store_b128 v80, v[0:3]
	v_lshl_add_u64 v[0:1], v[34:35], 2, s[24:25]
	v_add_nc_u64_e32 v[0:1], v[0:1], v[54:55]
	global_load_b128 v[0:3], v[0:1], off
	s_wait_loadcnt 0x0
	ds_store_b128 v4, v[0:3]
	v_lshl_add_u64 v[0:1], v[38:39], 2, s[24:25]
	v_add_nc_u32_e32 v4, 0x1200, v80
	s_delay_alu instid0(VALU_DEP_2)
	v_add_nc_u64_e32 v[0:1], v[0:1], v[54:55]
	global_load_b128 v[0:3], v[0:1], off
	s_wait_loadcnt 0x0
	ds_store_b128 v4, v[0:3]
	v_lshl_add_u64 v[0:1], v[40:41], 2, s[24:25]
	v_add_nc_u32_e32 v4, 0x1b00, v80
	s_delay_alu instid0(VALU_DEP_2)
	;; [unrolled: 7-line block ×5, first 2 shown]
	v_add_nc_u64_e32 v[0:1], v[0:1], v[54:55]
	global_load_b128 v[0:3], v[0:1], off
	s_wait_loadcnt 0x0
	ds_store_b128 v4, v[0:3]
	v_lshl_add_u64 v[0:1], v[62:63], 2, s[24:25]
	v_add_nc_u32_e32 v4, 0x3f00, v80
	s_mul_u64 s[24:25], s[4:5], s[10:11]
	s_delay_alu instid0(SALU_CYCLE_1) | instskip(NEXT) | instid1(VALU_DEP_2)
	s_lshl_b64 s[24:25], s[24:25], 2
	v_add_nc_u64_e32 v[0:1], v[0:1], v[54:55]
	s_add_nc_u64 s[24:25], s[8:9], s[24:25]
	global_load_b128 v[0:3], v[0:1], off
	s_wait_loadcnt 0x0
	ds_store_b128 v4, v[0:3]
	s_wait_dscnt 0x0
	s_barrier_signal -1
	s_barrier_wait -1
	ds_load_b128 v[28:31], v82
	ds_load_b128 v[24:27], v82 offset:4608
	ds_load_b128 v[20:23], v82 offset:9216
	;; [unrolled: 1-line block ×3, first 2 shown]
	ds_load_b128 v[16:19], v72
	ds_load_b128 v[12:15], v72 offset:128
	ds_load_b128 v[8:11], v72 offset:256
	;; [unrolled: 1-line block ×3, first 2 shown]
	s_wait_dscnt 0x3
	;;#ASMSTART
	v_dot2_f32_f16 v115, v28, v16, v115
	;;#ASMEND
	;;#ASMSTART
	v_dot2_f32_f16 v115, v29, v17, v115
	;;#ASMEND
	;;#ASMSTART
	v_dot2_f32_f16 v115, v30, v18, v115
	;;#ASMEND
	;;#ASMSTART
	v_dot2_f32_f16 v115, v31, v19, v115
	;;#ASMEND
	s_wait_dscnt 0x2
	;;#ASMSTART
	v_dot2_f32_f16 v114, v28, v12, v114
	;;#ASMEND
	;;#ASMSTART
	v_dot2_f32_f16 v114, v29, v13, v114
	;;#ASMEND
	;;#ASMSTART
	v_dot2_f32_f16 v114, v30, v14, v114
	;;#ASMEND
	;;#ASMSTART
	v_dot2_f32_f16 v114, v31, v15, v114
	;;#ASMEND
	s_wait_dscnt 0x1
	;;#ASMSTART
	v_dot2_f32_f16 v113, v28, v8, v113
	;;#ASMEND
	;;#ASMSTART
	v_dot2_f32_f16 v113, v29, v9, v113
	;;#ASMEND
	;;#ASMSTART
	v_dot2_f32_f16 v113, v30, v10, v113
	;;#ASMEND
	;;#ASMSTART
	v_dot2_f32_f16 v113, v31, v11, v113
	;;#ASMEND
	s_wait_dscnt 0x0
	;;#ASMSTART
	v_dot2_f32_f16 v112, v28, v4, v112
	;;#ASMEND
	;;#ASMSTART
	v_dot2_f32_f16 v112, v29, v5, v112
	;;#ASMEND
	;;#ASMSTART
	v_dot2_f32_f16 v112, v30, v6, v112
	;;#ASMEND
	;;#ASMSTART
	v_dot2_f32_f16 v112, v31, v7, v112
	;;#ASMEND
	v_mov_b32_e32 v31, 0
	;;#ASMSTART
	v_dot2_f32_f16 v31, v24, v16, v31
	;;#ASMEND
	;;#ASMSTART
	v_dot2_f32_f16 v31, v25, v17, v31
	;;#ASMEND
	;; [unrolled: 3-line block ×3, first 2 shown]
	v_dual_mov_b32 v30, 0 :: v_dual_mov_b32 v28, 0
	;;#ASMSTART
	v_dot2_f32_f16 v31, v27, v19, v31
	;;#ASMEND
	;;#ASMSTART
	v_dot2_f32_f16 v30, v24, v12, v30
	;;#ASMEND
	;; [unrolled: 3-line block ×4, first 2 shown]
	v_mov_b32_e32 v29, 0
	;;#ASMSTART
	v_dot2_f32_f16 v30, v27, v15, v30
	;;#ASMEND
	;;#ASMSTART
	v_dot2_f32_f16 v29, v24, v8, v29
	;;#ASMEND
	;; [unrolled: 3-line block ×9, first 2 shown]
	v_mov_b32_e32 v27, 0
	;;#ASMSTART
	v_dot2_f32_f16 v27, v20, v16, v27
	;;#ASMEND
	;;#ASMSTART
	v_dot2_f32_f16 v27, v21, v17, v27
	;;#ASMEND
	;; [unrolled: 3-line block ×3, first 2 shown]
	v_dual_mov_b32 v26, 0 :: v_dual_mov_b32 v24, 0
	;;#ASMSTART
	v_dot2_f32_f16 v27, v23, v19, v27
	;;#ASMEND
	;;#ASMSTART
	v_dot2_f32_f16 v26, v20, v12, v26
	;;#ASMEND
	;; [unrolled: 3-line block ×4, first 2 shown]
	v_mov_b32_e32 v25, 0
	;;#ASMSTART
	v_dot2_f32_f16 v26, v23, v15, v26
	;;#ASMEND
	;;#ASMSTART
	v_dot2_f32_f16 v25, v20, v8, v25
	;;#ASMEND
	;; [unrolled: 3-line block ×8, first 2 shown]
	v_mov_b32_e32 v20, 0
	;;#ASMSTART
	v_dot2_f32_f16 v24, v23, v7, v24
	;;#ASMEND
	;;#ASMSTART
	v_dot2_f32_f16 v20, v0, v16, v20
	;;#ASMEND
	;; [unrolled: 3-line block ×4, first 2 shown]
	v_mov_b32_e32 v16, 0
	;;#ASMSTART
	v_dot2_f32_f16 v20, v3, v19, v20
	;;#ASMEND
	;;#ASMSTART
	v_dot2_f32_f16 v16, v0, v12, v16
	;;#ASMEND
	;; [unrolled: 3-line block ×5, first 2 shown]
	v_mov_b32_e32 v15, 0
	;;#ASMSTART
	v_dot2_f32_f16 v15, v0, v8, v15
	;;#ASMEND
	;;#ASMSTART
	v_dot2_f32_f16 v15, v1, v9, v15
	;;#ASMEND
	;; [unrolled: 3-line block ×3, first 2 shown]
	v_mov_b32_e32 v21, 0
	;;#ASMSTART
	v_dot2_f32_f16 v15, v3, v11, v15
	;;#ASMEND
	;;#ASMSTART
	v_dot2_f32_f16 v21, v0, v4, v21
	;;#ASMEND
	;; [unrolled: 3-line block ×5, first 2 shown]
	ds_load_b128 v[0:3], v82 offset:16
	ds_load_b128 v[4:7], v82 offset:4624
	;; [unrolled: 1-line block ×8, first 2 shown]
	s_wait_dscnt 0x3
	;;#ASMSTART
	v_dot2_f32_f16 v115, v0, v120, v115
	;;#ASMEND
	;;#ASMSTART
	v_dot2_f32_f16 v115, v1, v121, v115
	;;#ASMEND
	;;#ASMSTART
	v_dot2_f32_f16 v115, v2, v122, v115
	;;#ASMEND
	;;#ASMSTART
	v_dot2_f32_f16 v115, v3, v123, v115
	;;#ASMEND
	s_wait_dscnt 0x2
	;;#ASMSTART
	v_dot2_f32_f16 v114, v0, v124, v114
	;;#ASMEND
	;;#ASMSTART
	v_dot2_f32_f16 v114, v1, v125, v114
	;;#ASMEND
	;;#ASMSTART
	v_dot2_f32_f16 v114, v2, v126, v114
	;;#ASMEND
	;;#ASMSTART
	v_dot2_f32_f16 v114, v3, v127, v114
	;;#ASMEND
	;; [unrolled: 13-line block ×4, first 2 shown]
	;;#ASMSTART
	v_dot2_f32_f16 v31, v4, v120, v31
	;;#ASMEND
	;;#ASMSTART
	v_dot2_f32_f16 v31, v5, v121, v31
	;;#ASMEND
	;; [unrolled: 3-line block ×48, first 2 shown]
	ds_load_b128 v[0:3], v82 offset:32
	ds_load_b128 v[4:7], v82 offset:4640
	;; [unrolled: 1-line block ×8, first 2 shown]
	s_wait_dscnt 0x3
	;;#ASMSTART
	v_dot2_f32_f16 v115, v0, v120, v115
	;;#ASMEND
	;;#ASMSTART
	v_dot2_f32_f16 v115, v1, v121, v115
	;;#ASMEND
	;;#ASMSTART
	v_dot2_f32_f16 v115, v2, v122, v115
	;;#ASMEND
	;;#ASMSTART
	v_dot2_f32_f16 v115, v3, v123, v115
	;;#ASMEND
	s_wait_dscnt 0x2
	;;#ASMSTART
	v_dot2_f32_f16 v114, v0, v124, v114
	;;#ASMEND
	;;#ASMSTART
	v_dot2_f32_f16 v114, v1, v125, v114
	;;#ASMEND
	;;#ASMSTART
	v_dot2_f32_f16 v114, v2, v126, v114
	;;#ASMEND
	;;#ASMSTART
	v_dot2_f32_f16 v114, v3, v127, v114
	;;#ASMEND
	;; [unrolled: 13-line block ×4, first 2 shown]
	;;#ASMSTART
	v_dot2_f32_f16 v31, v4, v120, v31
	;;#ASMEND
	;;#ASMSTART
	v_dot2_f32_f16 v31, v5, v121, v31
	;;#ASMEND
	;; [unrolled: 3-line block ×48, first 2 shown]
	ds_load_b128 v[0:3], v82 offset:48
	ds_load_b128 v[4:7], v82 offset:4656
	;; [unrolled: 1-line block ×8, first 2 shown]
	s_wait_dscnt 0x3
	;;#ASMSTART
	v_dot2_f32_f16 v115, v0, v120, v115
	;;#ASMEND
	;;#ASMSTART
	v_dot2_f32_f16 v115, v1, v121, v115
	;;#ASMEND
	;;#ASMSTART
	v_dot2_f32_f16 v115, v2, v122, v115
	;;#ASMEND
	;;#ASMSTART
	v_dot2_f32_f16 v115, v3, v123, v115
	;;#ASMEND
	s_wait_dscnt 0x2
	;;#ASMSTART
	v_dot2_f32_f16 v114, v0, v124, v114
	;;#ASMEND
	;;#ASMSTART
	v_dot2_f32_f16 v114, v1, v125, v114
	;;#ASMEND
	;;#ASMSTART
	v_dot2_f32_f16 v114, v2, v126, v114
	;;#ASMEND
	;;#ASMSTART
	v_dot2_f32_f16 v114, v3, v127, v114
	;;#ASMEND
	;; [unrolled: 13-line block ×4, first 2 shown]
	;;#ASMSTART
	v_dot2_f32_f16 v31, v4, v120, v31
	;;#ASMEND
	;;#ASMSTART
	v_dot2_f32_f16 v31, v5, v121, v31
	;;#ASMEND
	;; [unrolled: 3-line block ×48, first 2 shown]
	ds_load_b128 v[0:3], v82 offset:64
	ds_load_b128 v[4:7], v82 offset:4672
	;; [unrolled: 1-line block ×8, first 2 shown]
	s_wait_dscnt 0x3
	;;#ASMSTART
	v_dot2_f32_f16 v115, v0, v120, v115
	;;#ASMEND
	;;#ASMSTART
	v_dot2_f32_f16 v115, v1, v121, v115
	;;#ASMEND
	;;#ASMSTART
	v_dot2_f32_f16 v115, v2, v122, v115
	;;#ASMEND
	;;#ASMSTART
	v_dot2_f32_f16 v115, v3, v123, v115
	;;#ASMEND
	s_wait_dscnt 0x2
	;;#ASMSTART
	v_dot2_f32_f16 v114, v0, v124, v114
	;;#ASMEND
	;;#ASMSTART
	v_dot2_f32_f16 v114, v1, v125, v114
	;;#ASMEND
	;;#ASMSTART
	v_dot2_f32_f16 v114, v2, v126, v114
	;;#ASMEND
	;;#ASMSTART
	v_dot2_f32_f16 v114, v3, v127, v114
	;;#ASMEND
	;; [unrolled: 13-line block ×4, first 2 shown]
	;;#ASMSTART
	v_dot2_f32_f16 v31, v4, v120, v31
	;;#ASMEND
	;;#ASMSTART
	v_dot2_f32_f16 v31, v5, v121, v31
	;;#ASMEND
	;; [unrolled: 3-line block ×48, first 2 shown]
	ds_load_b128 v[0:3], v82 offset:80
	ds_load_b128 v[4:7], v82 offset:4688
	;; [unrolled: 1-line block ×8, first 2 shown]
	s_wait_dscnt 0x3
	;;#ASMSTART
	v_dot2_f32_f16 v115, v0, v120, v115
	;;#ASMEND
	;;#ASMSTART
	v_dot2_f32_f16 v115, v1, v121, v115
	;;#ASMEND
	;;#ASMSTART
	v_dot2_f32_f16 v115, v2, v122, v115
	;;#ASMEND
	;;#ASMSTART
	v_dot2_f32_f16 v115, v3, v123, v115
	;;#ASMEND
	s_wait_dscnt 0x2
	;;#ASMSTART
	v_dot2_f32_f16 v114, v0, v124, v114
	;;#ASMEND
	;;#ASMSTART
	v_dot2_f32_f16 v114, v1, v125, v114
	;;#ASMEND
	;;#ASMSTART
	v_dot2_f32_f16 v114, v2, v126, v114
	;;#ASMEND
	;;#ASMSTART
	v_dot2_f32_f16 v114, v3, v127, v114
	;;#ASMEND
	;; [unrolled: 13-line block ×4, first 2 shown]
	;;#ASMSTART
	v_dot2_f32_f16 v31, v4, v120, v31
	;;#ASMEND
	;;#ASMSTART
	v_dot2_f32_f16 v31, v5, v121, v31
	;;#ASMEND
	;; [unrolled: 3-line block ×48, first 2 shown]
	ds_load_b128 v[0:3], v82 offset:96
	ds_load_b128 v[4:7], v82 offset:4704
	ds_load_b128 v[8:11], v82 offset:9312
	ds_load_b128 v[116:119], v82 offset:13920
	ds_load_b128 v[120:123], v72 offset:96
	ds_load_b128 v[124:127], v72 offset:224
	ds_load_b128 v[128:131], v72 offset:352
	ds_load_b128 v[132:135], v72 offset:480
	s_wait_dscnt 0x3
	;;#ASMSTART
	v_dot2_f32_f16 v115, v0, v120, v115
	;;#ASMEND
	;;#ASMSTART
	v_dot2_f32_f16 v115, v1, v121, v115
	;;#ASMEND
	;;#ASMSTART
	v_dot2_f32_f16 v115, v2, v122, v115
	;;#ASMEND
	;;#ASMSTART
	v_dot2_f32_f16 v115, v3, v123, v115
	;;#ASMEND
	s_wait_dscnt 0x2
	;;#ASMSTART
	v_dot2_f32_f16 v114, v0, v124, v114
	;;#ASMEND
	;;#ASMSTART
	v_dot2_f32_f16 v114, v1, v125, v114
	;;#ASMEND
	;;#ASMSTART
	v_dot2_f32_f16 v114, v2, v126, v114
	;;#ASMEND
	;;#ASMSTART
	v_dot2_f32_f16 v114, v3, v127, v114
	;;#ASMEND
	s_wait_dscnt 0x1
	;;#ASMSTART
	v_dot2_f32_f16 v113, v0, v128, v113
	;;#ASMEND
	;;#ASMSTART
	v_dot2_f32_f16 v113, v1, v129, v113
	;;#ASMEND
	;;#ASMSTART
	v_dot2_f32_f16 v113, v2, v130, v113
	;;#ASMEND
	;;#ASMSTART
	v_dot2_f32_f16 v113, v3, v131, v113
	;;#ASMEND
	s_wait_dscnt 0x0
	;;#ASMSTART
	v_dot2_f32_f16 v112, v0, v132, v112
	;;#ASMEND
	;;#ASMSTART
	v_dot2_f32_f16 v112, v1, v133, v112
	;;#ASMEND
	;;#ASMSTART
	v_dot2_f32_f16 v112, v2, v134, v112
	;;#ASMEND
	;;#ASMSTART
	v_dot2_f32_f16 v112, v3, v135, v112
	;;#ASMEND
	;;#ASMSTART
	v_dot2_f32_f16 v31, v4, v120, v31
	;;#ASMEND
	;;#ASMSTART
	v_dot2_f32_f16 v31, v5, v121, v31
	;;#ASMEND
	;; [unrolled: 3-line block ×48, first 2 shown]
	ds_load_b128 v[0:3], v82 offset:112
	ds_load_b128 v[4:7], v82 offset:4720
	;; [unrolled: 1-line block ×8, first 2 shown]
	s_wait_dscnt 0x3
	;;#ASMSTART
	v_dot2_f32_f16 v115, v0, v120, v115
	;;#ASMEND
	;;#ASMSTART
	v_dot2_f32_f16 v115, v1, v121, v115
	;;#ASMEND
	;;#ASMSTART
	v_dot2_f32_f16 v115, v2, v122, v115
	;;#ASMEND
	;;#ASMSTART
	v_dot2_f32_f16 v115, v3, v123, v115
	;;#ASMEND
	s_wait_dscnt 0x2
	;;#ASMSTART
	v_dot2_f32_f16 v114, v0, v124, v114
	;;#ASMEND
	;;#ASMSTART
	v_dot2_f32_f16 v114, v1, v125, v114
	;;#ASMEND
	;;#ASMSTART
	v_dot2_f32_f16 v114, v2, v126, v114
	;;#ASMEND
	;;#ASMSTART
	v_dot2_f32_f16 v114, v3, v127, v114
	;;#ASMEND
	;; [unrolled: 13-line block ×4, first 2 shown]
	;;#ASMSTART
	v_dot2_f32_f16 v31, v4, v120, v31
	;;#ASMEND
	;;#ASMSTART
	v_dot2_f32_f16 v31, v5, v121, v31
	;;#ASMEND
	;; [unrolled: 3-line block ×15, first 2 shown]
	v_cndmask_b32_e32 v1, v73, v81, vcc_lo
	v_cmp_gt_i32_e32 vcc_lo, 32, v79
	;;#ASMSTART
	v_dot2_f32_f16 v28, v7, v135, v28
	;;#ASMEND
	;;#ASMSTART
	v_dot2_f32_f16 v27, v8, v120, v27
	;;#ASMEND
	;;#ASMSTART
	v_dot2_f32_f16 v27, v9, v121, v27
	;;#ASMEND
	;;#ASMSTART
	v_dot2_f32_f16 v27, v10, v122, v27
	;;#ASMEND
	;;#ASMSTART
	v_dot2_f32_f16 v27, v11, v123, v27
	;;#ASMEND
	;;#ASMSTART
	v_dot2_f32_f16 v26, v8, v124, v26
	;;#ASMEND
	;;#ASMSTART
	v_dot2_f32_f16 v26, v9, v125, v26
	;;#ASMEND
	v_dual_cndmask_b32 v1, v73, v79 :: v_dual_lshlrev_b32 v4, 2, v1
	v_cmp_gt_i32_e32 vcc_lo, 32, v78
	;;#ASMSTART
	v_dot2_f32_f16 v26, v10, v126, v26
	;;#ASMEND
	;;#ASMSTART
	v_dot2_f32_f16 v26, v11, v127, v26
	;;#ASMEND
	;;#ASMSTART
	v_dot2_f32_f16 v25, v8, v128, v25
	;;#ASMEND
	;;#ASMSTART
	v_dot2_f32_f16 v25, v9, v129, v25
	;;#ASMEND
	;;#ASMSTART
	v_dot2_f32_f16 v25, v10, v130, v25
	;;#ASMEND
	;;#ASMSTART
	v_dot2_f32_f16 v25, v11, v131, v25
	;;#ASMEND
	;;#ASMSTART
	v_dot2_f32_f16 v24, v8, v132, v24
	;;#ASMEND
	v_dual_lshlrev_b32 v3, 2, v1 :: v_dual_cndmask_b32 v1, v73, v78, vcc_lo
	v_cmp_gt_i32_e32 vcc_lo, 32, v77
	;;#ASMSTART
	v_dot2_f32_f16 v24, v9, v133, v24
	;;#ASMEND
	;;#ASMSTART
	v_dot2_f32_f16 v24, v10, v134, v24
	;;#ASMEND
	;; [unrolled: 3-line block ×6, first 2 shown]
	v_lshlrev_b32_e32 v22, 2, v1
	v_cndmask_b32_e32 v1, v73, v77, vcc_lo
	v_cmp_gt_i32_e32 vcc_lo, 32, v76
	;;#ASMSTART
	v_dot2_f32_f16 v20, v119, v123, v20
	;;#ASMEND
	;;#ASMSTART
	v_dot2_f32_f16 v16, v116, v124, v16
	;;#ASMEND
	;; [unrolled: 3-line block ×7, first 2 shown]
	v_dual_add_nc_u32 v0, s4, v84 :: v_dual_lshlrev_b32 v12, 2, v1
	v_cndmask_b32_e32 v1, v73, v76, vcc_lo
	;;#ASMSTART
	v_dot2_f32_f16 v15, v118, v130, v15
	;;#ASMEND
	;;#ASMSTART
	v_dot2_f32_f16 v15, v119, v131, v15
	;;#ASMEND
	;; [unrolled: 3-line block ×6, first 2 shown]
	v_lshlrev_b32_e32 v6, 2, v1
	s_clause 0x1
	global_load_u16 v1, v0, s[34:35] scale_offset
	global_load_u16 v2, v0, s[34:35] offset:64 scale_offset
	s_wait_loadcnt 0x1
	v_cvt_f32_f16_e32 v17, v1
	s_wait_loadcnt 0x0
	v_cvt_f32_f16_e32 v19, v2
	s_delay_alu instid0(VALU_DEP_2) | instskip(NEXT) | instid1(VALU_DEP_2)
	v_add_f32_e32 v23, v115, v17
	v_dual_add_f32 v13, v31, v19 :: v_dual_add_f32 v7, v30, v19
	v_add_f32_e32 v5, v114, v17
	s_delay_alu instid0(VALU_DEP_2) | instskip(NEXT) | instid1(VALU_DEP_1)
	v_dual_add_f32 v1, 0x40051340, v23 :: v_dual_add_f32 v2, 0x40051340, v13
	v_max3_num_f32 v1, v111, v1, v2
	s_clause 0x1
	global_load_u16 v2, v0, s[34:35] offset:128 scale_offset
	global_load_u16 v0, v0, s[34:35] offset:192 scale_offset
	s_wait_loadcnt 0x0
	s_barrier_signal -1
	s_barrier_wait -1
	v_cvt_f32_f16_e32 v31, v2
	s_delay_alu instid0(VALU_DEP_1) | instskip(SKIP_1) | instid1(VALU_DEP_2)
	v_add_f32_e32 v8, v27, v31
	v_cvt_f32_f16_e32 v27, v0
	v_dual_add_f32 v9, v26, v31 :: v_dual_add_f32 v2, 0x40051340, v8
	s_delay_alu instid0(VALU_DEP_2)
	v_add_f32_e32 v10, v20, v27
	v_add_f32_e32 v11, v16, v27
	;; [unrolled: 1-line block ×3, first 2 shown]
	v_dual_add_f32 v20, v15, v27 :: v_dual_add_f32 v21, v21, v27
	s_wait_xcnt 0x0
	v_add_f32_e32 v0, 0x40051340, v10
	v_add_f32_e32 v14, 0x40051340, v11
	;; [unrolled: 1-line block ×3, first 2 shown]
	v_dual_add_f32 v15, 0x40051340, v20 :: v_dual_add_f32 v26, 0x40051340, v21
	s_delay_alu instid0(VALU_DEP_4) | instskip(SKIP_4) | instid1(VALU_DEP_1)
	v_max3_num_f32 v0, v1, v2, v0
	v_add_f32_e32 v2, 0x40051340, v7
	ds_bpermute_b32 v1, v4, v0
	s_wait_dscnt 0x0
	v_max_num_f32_e32 v1, v1, v1
	v_max_num_f32_e32 v0, v0, v1
	ds_bpermute_b32 v1, v3, v0
	s_wait_dscnt 0x0
	v_max_num_f32_e32 v1, v1, v1
	s_delay_alu instid0(VALU_DEP_1) | instskip(SKIP_3) | instid1(VALU_DEP_1)
	v_max_num_f32_e32 v0, v0, v1
	ds_bpermute_b32 v1, v22, v0
	s_wait_dscnt 0x0
	v_max_num_f32_e32 v1, v1, v1
	v_max_num_f32_e32 v0, v0, v1
	ds_bpermute_b32 v1, v12, v0
	s_wait_dscnt 0x0
	v_max_num_f32_e32 v1, v1, v1
	s_delay_alu instid0(VALU_DEP_1) | instskip(SKIP_3) | instid1(VALU_DEP_1)
	v_max_num_f32_e32 v0, v0, v1
	ds_bpermute_b32 v1, v6, v0
	s_wait_dscnt 0x0
	v_max_num_f32_e32 v1, v1, v1
	v_max_num_f32_e32 v0, v0, v1
	v_add_f32_e32 v1, 0x40051340, v5
	s_delay_alu instid0(VALU_DEP_1) | instskip(SKIP_1) | instid1(VALU_DEP_1)
	v_max3_num_f32 v1, v110, v1, v2
	v_add_f32_e32 v2, 0x40051340, v9
	v_max3_num_f32 v1, v1, v2, v14
	v_add_f32_e32 v14, v113, v17
	ds_bpermute_b32 v2, v4, v1
	s_wait_dscnt 0x0
	v_max_num_f32_e32 v2, v2, v2
	s_delay_alu instid0(VALU_DEP_1) | instskip(SKIP_4) | instid1(VALU_DEP_1)
	v_dual_max_num_f32 v1, v1, v2 :: v_dual_sub_f32 v10, v10, v0
	v_sub_f32_e32 v8, v8, v0
	ds_bpermute_b32 v2, v3, v1
	s_wait_dscnt 0x0
	v_max_num_f32_e32 v2, v2, v2
	v_max_num_f32_e32 v1, v1, v2
	ds_bpermute_b32 v2, v22, v1
	s_wait_dscnt 0x0
	v_max_num_f32_e32 v2, v2, v2
	s_delay_alu instid0(VALU_DEP_1) | instskip(SKIP_3) | instid1(VALU_DEP_1)
	v_max_num_f32_e32 v1, v1, v2
	ds_bpermute_b32 v2, v12, v1
	s_wait_dscnt 0x0
	v_max_num_f32_e32 v2, v2, v2
	v_max_num_f32_e32 v1, v1, v2
	ds_bpermute_b32 v2, v6, v1
	s_wait_dscnt 0x0
	v_max_num_f32_e32 v2, v2, v2
	s_delay_alu instid0(VALU_DEP_1) | instskip(NEXT) | instid1(VALU_DEP_1)
	v_max_num_f32_e32 v1, v1, v2
	v_dual_add_f32 v2, 0x40051340, v14 :: v_dual_sub_f32 v5, v5, v1
	s_delay_alu instid0(VALU_DEP_1) | instskip(SKIP_2) | instid1(VALU_DEP_2)
	v_max3_num_f32 v2, v109, v2, v18
	v_dual_add_f32 v18, v25, v31 :: v_dual_sub_f32 v11, v11, v1
	v_dual_sub_f32 v7, v7, v1 :: v_dual_sub_f32 v9, v9, v1
	v_add_f32_e32 v25, 0x40051340, v18
	s_delay_alu instid0(VALU_DEP_1) | instskip(SKIP_3) | instid1(VALU_DEP_1)
	v_max3_num_f32 v2, v2, v25, v15
	ds_bpermute_b32 v15, v4, v2
	s_wait_dscnt 0x0
	v_max_num_f32_e32 v15, v15, v15
	v_max_num_f32_e32 v2, v2, v15
	ds_bpermute_b32 v15, v3, v2
	s_wait_dscnt 0x0
	v_max_num_f32_e32 v15, v15, v15
	s_delay_alu instid0(VALU_DEP_1) | instskip(SKIP_3) | instid1(VALU_DEP_1)
	v_max_num_f32_e32 v2, v2, v15
	ds_bpermute_b32 v15, v22, v2
	s_wait_dscnt 0x0
	v_max_num_f32_e32 v15, v15, v15
	v_max_num_f32_e32 v2, v2, v15
	ds_bpermute_b32 v15, v12, v2
	s_wait_dscnt 0x0
	v_max_num_f32_e32 v15, v15, v15
	s_delay_alu instid0(VALU_DEP_1) | instskip(SKIP_3) | instid1(VALU_DEP_1)
	v_max_num_f32_e32 v2, v2, v15
	ds_bpermute_b32 v15, v6, v2
	s_wait_dscnt 0x0
	v_max_num_f32_e32 v15, v15, v15
	v_dual_max_num_f32 v2, v2, v15 :: v_dual_add_f32 v15, v112, v17
	v_add_f32_e32 v17, v28, v19
	s_delay_alu instid0(VALU_DEP_2) | instskip(NEXT) | instid1(VALU_DEP_2)
	v_add_f32_e32 v25, 0x40051340, v15
	v_dual_add_f32 v19, 0x40051340, v17 :: v_dual_sub_f32 v14, v14, v2
	v_dual_sub_f32 v18, v18, v2 :: v_dual_sub_f32 v20, v20, v2
	v_sub_f32_e32 v16, v16, v2
	s_delay_alu instid0(VALU_DEP_3) | instskip(SKIP_1) | instid1(VALU_DEP_1)
	v_max3_num_f32 v25, v108, v25, v19
	v_add_f32_e32 v19, v24, v31
	v_add_f32_e32 v24, 0x40051340, v19
	s_delay_alu instid0(VALU_DEP_1) | instskip(SKIP_3) | instid1(VALU_DEP_1)
	v_max3_num_f32 v24, v25, v24, v26
	ds_bpermute_b32 v4, v4, v24
	s_wait_dscnt 0x0
	v_max_num_f32_e32 v4, v4, v4
	v_max_num_f32_e32 v4, v24, v4
	ds_bpermute_b32 v3, v3, v4
	s_wait_dscnt 0x0
	v_max_num_f32_e32 v3, v3, v3
	s_delay_alu instid0(VALU_DEP_1) | instskip(SKIP_3) | instid1(VALU_DEP_1)
	v_max_num_f32_e32 v3, v4, v3
	ds_bpermute_b32 v4, v22, v3
	s_wait_dscnt 0x0
	v_max_num_f32_e32 v4, v4, v4
	v_max_num_f32_e32 v3, v3, v4
	ds_bpermute_b32 v4, v12, v3
	s_wait_dscnt 0x0
	v_max_num_f32_e32 v4, v4, v4
	s_delay_alu instid0(VALU_DEP_1) | instskip(SKIP_3) | instid1(VALU_DEP_1)
	v_max_num_f32_e32 v3, v3, v4
	ds_bpermute_b32 v4, v6, v3
	s_wait_dscnt 0x0
	v_max_num_f32_e32 v4, v4, v4
	v_max_num_f32_e32 v3, v3, v4
	v_sub_f32_e32 v4, v23, v0
	s_delay_alu instid0(VALU_DEP_1) | instskip(NEXT) | instid1(VALU_DEP_1)
	v_mul_f32_e32 v6, 0x3fb8aa3b, v4
	v_fma_f32 v22, 0x3fb8aa3b, v4, -v6
	v_rndne_f32_e32 v23, v6
	v_sub_f32_e32 v12, v111, v0
	s_delay_alu instid0(VALU_DEP_3) | instskip(NEXT) | instid1(VALU_DEP_3)
	v_fmac_f32_e32 v22, 0x32a5705f, v4
	v_sub_f32_e32 v6, v6, v23
	v_dual_sub_f32 v15, v15, v3 :: v_dual_sub_f32 v17, v17, v3
	v_dual_sub_f32 v19, v19, v3 :: v_dual_sub_f32 v21, v21, v3
	s_delay_alu instid0(VALU_DEP_3) | instskip(SKIP_2) | instid1(VALU_DEP_3)
	v_add_f32_e32 v6, v6, v22
	v_cvt_i32_f32_e32 v22, v23
	v_cmp_ngt_f32_e32 vcc_lo, 0xc2ce8ed0, v4
	v_exp_f32_e32 v6, v6
	v_nop
	s_delay_alu instid0(TRANS32_DEP_1) | instskip(NEXT) | instid1(VALU_DEP_1)
	v_ldexp_f32 v6, v6, v22
	v_cndmask_b32_e32 v6, 0, v6, vcc_lo
	v_cmp_nlt_f32_e32 vcc_lo, 0x42b17218, v4
	s_delay_alu instid0(VALU_DEP_2) | instskip(SKIP_1) | instid1(VALU_DEP_1)
	v_cndmask_b32_e32 v4, 0x7f800000, v6, vcc_lo
	v_sub_f32_e32 v6, v13, v0
	v_mul_f32_e32 v13, 0x3fb8aa3b, v6
	s_delay_alu instid0(VALU_DEP_1) | instskip(SKIP_1) | instid1(VALU_DEP_1)
	v_fma_f32 v22, 0x3fb8aa3b, v6, -v13
	v_rndne_f32_e32 v23, v13
	v_dual_fmac_f32 v22, 0x32a5705f, v6 :: v_dual_sub_f32 v13, v13, v23
	s_delay_alu instid0(VALU_DEP_1) | instskip(SKIP_2) | instid1(VALU_DEP_3)
	v_add_f32_e32 v13, v13, v22
	v_cvt_i32_f32_e32 v22, v23
	v_cmp_ngt_f32_e32 vcc_lo, 0xc2ce8ed0, v6
	v_exp_f32_e32 v13, v13
	v_nop
	s_delay_alu instid0(TRANS32_DEP_1) | instskip(NEXT) | instid1(VALU_DEP_1)
	v_ldexp_f32 v13, v13, v22
	v_cndmask_b32_e32 v13, 0, v13, vcc_lo
	v_cmp_nlt_f32_e32 vcc_lo, 0x42b17218, v6
	s_delay_alu instid0(VALU_DEP_2) | instskip(SKIP_2) | instid1(VALU_DEP_2)
	v_cndmask_b32_e32 v6, 0x7f800000, v13, vcc_lo
	v_mul_f32_e32 v13, 0x3fb8aa3b, v8
	v_cmp_ngt_f32_e32 vcc_lo, 0xc2ce8ed0, v8
	v_fma_f32 v22, 0x3fb8aa3b, v8, -v13
	v_rndne_f32_e32 v23, v13
	s_delay_alu instid0(VALU_DEP_1) | instskip(NEXT) | instid1(VALU_DEP_1)
	v_dual_fmac_f32 v22, 0x32a5705f, v8 :: v_dual_sub_f32 v13, v13, v23
	v_add_f32_e32 v13, v13, v22
	v_cvt_i32_f32_e32 v22, v23
	s_delay_alu instid0(VALU_DEP_2) | instskip(SKIP_1) | instid1(TRANS32_DEP_1)
	v_exp_f32_e32 v13, v13
	v_nop
	v_ldexp_f32 v13, v13, v22
	s_delay_alu instid0(VALU_DEP_1) | instskip(SKIP_1) | instid1(VALU_DEP_2)
	v_cndmask_b32_e32 v13, 0, v13, vcc_lo
	v_cmp_nlt_f32_e32 vcc_lo, 0x42b17218, v8
	v_cndmask_b32_e32 v8, 0x7f800000, v13, vcc_lo
	v_mul_f32_e32 v13, 0x3fb8aa3b, v10
	s_delay_alu instid0(VALU_DEP_1) | instskip(SKIP_1) | instid1(VALU_DEP_1)
	v_fma_f32 v22, 0x3fb8aa3b, v10, -v13
	v_rndne_f32_e32 v23, v13
	v_dual_fmac_f32 v22, 0x32a5705f, v10 :: v_dual_sub_f32 v13, v13, v23
	s_delay_alu instid0(VALU_DEP_1) | instskip(SKIP_2) | instid1(VALU_DEP_3)
	v_add_f32_e32 v13, v13, v22
	v_cvt_i32_f32_e32 v22, v23
	v_cmp_ngt_f32_e32 vcc_lo, 0xc2ce8ed0, v10
	v_exp_f32_e32 v13, v13
	v_nop
	s_delay_alu instid0(TRANS32_DEP_1) | instskip(NEXT) | instid1(VALU_DEP_1)
	v_ldexp_f32 v13, v13, v22
	v_cndmask_b32_e32 v13, 0, v13, vcc_lo
	v_cmp_nlt_f32_e32 vcc_lo, 0x42b17218, v10
	s_delay_alu instid0(VALU_DEP_2) | instskip(SKIP_2) | instid1(VALU_DEP_2)
	v_cndmask_b32_e32 v10, 0x7f800000, v13, vcc_lo
	v_mul_f32_e32 v13, 0x3fb8aa3b, v12
	v_cmp_ngt_f32_e32 vcc_lo, 0xc2ce8ed0, v12
	v_fma_f32 v22, 0x3fb8aa3b, v12, -v13
	v_rndne_f32_e32 v23, v13
	s_delay_alu instid0(VALU_DEP_1) | instskip(NEXT) | instid1(VALU_DEP_1)
	v_dual_fmac_f32 v22, 0x32a5705f, v12 :: v_dual_sub_f32 v13, v13, v23
	v_add_f32_e32 v13, v13, v22
	v_cvt_i32_f32_e32 v22, v23
	s_delay_alu instid0(VALU_DEP_2) | instskip(SKIP_1) | instid1(TRANS32_DEP_1)
	v_exp_f32_e32 v13, v13
	v_nop
	v_ldexp_f32 v13, v13, v22
	v_mul_f32_e32 v22, 0x3fb8aa3b, v5
	s_delay_alu instid0(VALU_DEP_2) | instskip(NEXT) | instid1(VALU_DEP_2)
	v_cndmask_b32_e32 v13, 0, v13, vcc_lo
	v_fma_f32 v23, 0x3fb8aa3b, v5, -v22
	v_rndne_f32_e32 v25, v22
	v_cmp_nlt_f32_e32 vcc_lo, 0x42b17218, v12
	s_delay_alu instid0(VALU_DEP_3) | instskip(NEXT) | instid1(VALU_DEP_3)
	v_fmac_f32_e32 v23, 0x32a5705f, v5
	v_sub_f32_e32 v22, v22, v25
	v_cndmask_b32_e32 v12, 0x7f800000, v13, vcc_lo
	v_cmp_ngt_f32_e32 vcc_lo, 0xc2ce8ed0, v5
	s_delay_alu instid0(VALU_DEP_3) | instskip(NEXT) | instid1(VALU_DEP_3)
	v_add_f32_e32 v22, v22, v23
	v_cvt_f16_f32_e32 v13, v12
	v_cvt_i32_f32_e32 v23, v25
	s_delay_alu instid0(VALU_DEP_3) | instskip(NEXT) | instid1(VALU_DEP_2)
	v_exp_f32_e32 v22, v22
	v_and_b32_e32 v13, 0xffff, v13
	s_delay_alu instid0(VALU_DEP_1) | instskip(NEXT) | instid1(TRANS32_DEP_1)
	v_mul_u32_u24_e32 v24, 0x10001, v13
	v_ldexp_f32 v22, v22, v23
	s_delay_alu instid0(VALU_DEP_1) | instskip(SKIP_1) | instid1(VALU_DEP_2)
	v_dual_sub_f32 v13, v110, v1 :: v_dual_cndmask_b32 v22, 0, v22
	v_cmp_nlt_f32_e32 vcc_lo, 0x42b17218, v5
	v_cndmask_b32_e32 v5, 0x7f800000, v22, vcc_lo
	v_mul_f32_e32 v22, 0x3fb8aa3b, v7
	v_cmp_ngt_f32_e32 vcc_lo, 0xc2ce8ed0, v7
	s_delay_alu instid0(VALU_DEP_2) | instskip(SKIP_1) | instid1(VALU_DEP_1)
	v_fma_f32 v23, 0x3fb8aa3b, v7, -v22
	v_rndne_f32_e32 v25, v22
	v_dual_fmac_f32 v23, 0x32a5705f, v7 :: v_dual_sub_f32 v22, v22, v25
	s_delay_alu instid0(VALU_DEP_1) | instskip(SKIP_1) | instid1(VALU_DEP_2)
	v_add_f32_e32 v22, v22, v23
	v_cvt_i32_f32_e32 v23, v25
	v_exp_f32_e32 v22, v22
	v_nop
	s_delay_alu instid0(TRANS32_DEP_1) | instskip(NEXT) | instid1(VALU_DEP_1)
	v_ldexp_f32 v22, v22, v23
	v_cndmask_b32_e32 v22, 0, v22, vcc_lo
	v_cmp_nlt_f32_e32 vcc_lo, 0x42b17218, v7
	s_delay_alu instid0(VALU_DEP_2) | instskip(SKIP_2) | instid1(VALU_DEP_2)
	v_cndmask_b32_e32 v7, 0x7f800000, v22, vcc_lo
	v_mul_f32_e32 v22, 0x3fb8aa3b, v9
	v_cmp_ngt_f32_e32 vcc_lo, 0xc2ce8ed0, v9
	v_fma_f32 v23, 0x3fb8aa3b, v9, -v22
	v_rndne_f32_e32 v25, v22
	s_delay_alu instid0(VALU_DEP_2) | instskip(NEXT) | instid1(VALU_DEP_2)
	v_fmac_f32_e32 v23, 0x32a5705f, v9
	v_sub_f32_e32 v22, v22, v25
	s_delay_alu instid0(VALU_DEP_1) | instskip(SKIP_1) | instid1(VALU_DEP_2)
	v_add_f32_e32 v22, v22, v23
	v_cvt_i32_f32_e32 v23, v25
	v_exp_f32_e32 v22, v22
	v_nop
	s_delay_alu instid0(TRANS32_DEP_1) | instskip(NEXT) | instid1(VALU_DEP_1)
	v_ldexp_f32 v22, v22, v23
	v_cndmask_b32_e32 v22, 0, v22, vcc_lo
	v_cmp_nlt_f32_e32 vcc_lo, 0x42b17218, v9
	s_delay_alu instid0(VALU_DEP_2) | instskip(SKIP_1) | instid1(VALU_DEP_1)
	v_cndmask_b32_e32 v9, 0x7f800000, v22, vcc_lo
	v_mul_f32_e32 v22, 0x3fb8aa3b, v11
	v_fma_f32 v23, 0x3fb8aa3b, v11, -v22
	v_rndne_f32_e32 v25, v22
	s_delay_alu instid0(VALU_DEP_1) | instskip(NEXT) | instid1(VALU_DEP_1)
	v_dual_fmac_f32 v23, 0x32a5705f, v11 :: v_dual_sub_f32 v22, v22, v25
	v_add_f32_e32 v22, v22, v23
	v_cvt_i32_f32_e32 v23, v25
	v_cmp_ngt_f32_e32 vcc_lo, 0xc2ce8ed0, v11
	s_delay_alu instid0(VALU_DEP_3) | instskip(SKIP_1) | instid1(TRANS32_DEP_1)
	v_exp_f32_e32 v22, v22
	v_nop
	v_ldexp_f32 v22, v22, v23
	s_delay_alu instid0(VALU_DEP_1) | instskip(SKIP_1) | instid1(VALU_DEP_2)
	v_cndmask_b32_e32 v22, 0, v22, vcc_lo
	v_cmp_nlt_f32_e32 vcc_lo, 0x42b17218, v11
	v_cndmask_b32_e32 v11, 0x7f800000, v22, vcc_lo
	v_mul_f32_e32 v22, 0x3fb8aa3b, v13
	v_cmp_ngt_f32_e32 vcc_lo, 0xc2ce8ed0, v13
	s_delay_alu instid0(VALU_DEP_2) | instskip(SKIP_1) | instid1(VALU_DEP_2)
	v_fma_f32 v23, 0x3fb8aa3b, v13, -v22
	v_rndne_f32_e32 v25, v22
	v_fmac_f32_e32 v23, 0x32a5705f, v13
	s_delay_alu instid0(VALU_DEP_2) | instskip(NEXT) | instid1(VALU_DEP_1)
	v_sub_f32_e32 v22, v22, v25
	v_add_f32_e32 v22, v22, v23
	v_cvt_i32_f32_e32 v23, v25
	s_delay_alu instid0(VALU_DEP_2) | instskip(SKIP_1) | instid1(TRANS32_DEP_1)
	v_exp_f32_e32 v22, v22
	v_nop
	v_ldexp_f32 v22, v22, v23
	v_mul_f32_e32 v23, 0x3fb8aa3b, v14
	s_delay_alu instid0(VALU_DEP_2) | instskip(NEXT) | instid1(VALU_DEP_2)
	v_cndmask_b32_e32 v22, 0, v22, vcc_lo
	v_fma_f32 v26, 0x3fb8aa3b, v14, -v23
	v_rndne_f32_e32 v27, v23
	v_cmp_nlt_f32_e32 vcc_lo, 0x42b17218, v13
	s_delay_alu instid0(VALU_DEP_2) | instskip(SKIP_2) | instid1(VALU_DEP_3)
	v_dual_fmac_f32 v26, 0x32a5705f, v14 :: v_dual_sub_f32 v23, v23, v27
	v_cndmask_b32_e32 v13, 0x7f800000, v22, vcc_lo
	v_cmp_ngt_f32_e32 vcc_lo, 0xc2ce8ed0, v14
	v_add_f32_e32 v23, v23, v26
	v_cvt_i32_f32_e32 v26, v27
	s_delay_alu instid0(VALU_DEP_4) | instskip(NEXT) | instid1(VALU_DEP_3)
	v_cvt_f16_f32_e32 v22, v13
	v_exp_f32_e32 v23, v23
	s_delay_alu instid0(VALU_DEP_1) | instskip(NEXT) | instid1(TRANS32_DEP_1)
	v_and_b32_e32 v22, 0xffff, v22
	v_ldexp_f32 v23, v23, v26
	s_delay_alu instid0(VALU_DEP_2) | instskip(NEXT) | instid1(VALU_DEP_2)
	v_mul_u32_u24_e32 v25, 0x10001, v22
	v_dual_sub_f32 v22, v109, v2 :: v_dual_cndmask_b32 v23, 0, v23
	v_cmp_nlt_f32_e32 vcc_lo, 0x42b17218, v14
	s_delay_alu instid0(VALU_DEP_2) | instskip(SKIP_2) | instid1(VALU_DEP_2)
	v_cndmask_b32_e32 v14, 0x7f800000, v23, vcc_lo
	v_mul_f32_e32 v23, 0x3fb8aa3b, v16
	v_cmp_ngt_f32_e32 vcc_lo, 0xc2ce8ed0, v16
	v_fma_f32 v26, 0x3fb8aa3b, v16, -v23
	v_rndne_f32_e32 v27, v23
	s_delay_alu instid0(VALU_DEP_1) | instskip(NEXT) | instid1(VALU_DEP_1)
	v_dual_fmac_f32 v26, 0x32a5705f, v16 :: v_dual_sub_f32 v23, v23, v27
	v_add_f32_e32 v23, v23, v26
	v_cvt_i32_f32_e32 v26, v27
	s_delay_alu instid0(VALU_DEP_2) | instskip(SKIP_1) | instid1(TRANS32_DEP_1)
	v_exp_f32_e32 v23, v23
	v_nop
	v_ldexp_f32 v23, v23, v26
	s_delay_alu instid0(VALU_DEP_1) | instskip(SKIP_1) | instid1(VALU_DEP_2)
	v_cndmask_b32_e32 v23, 0, v23, vcc_lo
	v_cmp_nlt_f32_e32 vcc_lo, 0x42b17218, v16
	v_cndmask_b32_e32 v16, 0x7f800000, v23, vcc_lo
	v_mul_f32_e32 v23, 0x3fb8aa3b, v18
	v_cmp_ngt_f32_e32 vcc_lo, 0xc2ce8ed0, v18
	s_delay_alu instid0(VALU_DEP_2) | instskip(SKIP_1) | instid1(VALU_DEP_1)
	v_fma_f32 v26, 0x3fb8aa3b, v18, -v23
	v_rndne_f32_e32 v27, v23
	v_dual_fmac_f32 v26, 0x32a5705f, v18 :: v_dual_sub_f32 v23, v23, v27
	s_delay_alu instid0(VALU_DEP_1) | instskip(SKIP_1) | instid1(VALU_DEP_2)
	v_add_f32_e32 v23, v23, v26
	v_cvt_i32_f32_e32 v26, v27
	v_exp_f32_e32 v23, v23
	v_nop
	s_delay_alu instid0(TRANS32_DEP_1) | instskip(NEXT) | instid1(VALU_DEP_1)
	v_ldexp_f32 v23, v23, v26
	v_cndmask_b32_e32 v23, 0, v23, vcc_lo
	v_cmp_nlt_f32_e32 vcc_lo, 0x42b17218, v18
	s_delay_alu instid0(VALU_DEP_2) | instskip(SKIP_2) | instid1(VALU_DEP_2)
	v_cndmask_b32_e32 v18, 0x7f800000, v23, vcc_lo
	v_mul_f32_e32 v23, 0x3fb8aa3b, v20
	v_cmp_ngt_f32_e32 vcc_lo, 0xc2ce8ed0, v20
	v_fma_f32 v26, 0x3fb8aa3b, v20, -v23
	v_rndne_f32_e32 v27, v23
	s_delay_alu instid0(VALU_DEP_1) | instskip(NEXT) | instid1(VALU_DEP_1)
	v_dual_fmac_f32 v26, 0x32a5705f, v20 :: v_dual_sub_f32 v23, v23, v27
	v_add_f32_e32 v23, v23, v26
	v_cvt_i32_f32_e32 v26, v27
	s_delay_alu instid0(VALU_DEP_2) | instskip(SKIP_1) | instid1(TRANS32_DEP_1)
	v_exp_f32_e32 v23, v23
	v_nop
	v_ldexp_f32 v23, v23, v26
	s_delay_alu instid0(VALU_DEP_1) | instskip(SKIP_1) | instid1(VALU_DEP_2)
	v_cndmask_b32_e32 v23, 0, v23, vcc_lo
	v_cmp_nlt_f32_e32 vcc_lo, 0x42b17218, v20
	v_cndmask_b32_e32 v20, 0x7f800000, v23, vcc_lo
	v_mul_f32_e32 v23, 0x3fb8aa3b, v22
	v_cmp_ngt_f32_e32 vcc_lo, 0xc2ce8ed0, v22
	s_delay_alu instid0(VALU_DEP_2) | instskip(SKIP_1) | instid1(VALU_DEP_1)
	v_fma_f32 v26, 0x3fb8aa3b, v22, -v23
	v_rndne_f32_e32 v27, v23
	v_dual_fmac_f32 v26, 0x32a5705f, v22 :: v_dual_sub_f32 v23, v23, v27
	s_delay_alu instid0(VALU_DEP_1) | instskip(SKIP_2) | instid1(VALU_DEP_3)
	v_add_f32_e32 v23, v23, v26
	v_cvt_i32_f32_e32 v26, v27
	v_mul_f32_e32 v27, 0x3fb8aa3b, v15
	v_exp_f32_e32 v23, v23
	s_delay_alu instid0(VALU_DEP_1) | instskip(SKIP_1) | instid1(TRANS32_DEP_1)
	v_rndne_f32_e32 v29, v27
	v_fma_f32 v28, 0x3fb8aa3b, v15, -v27
	v_ldexp_f32 v23, v23, v26
	s_delay_alu instid0(VALU_DEP_2) | instskip(NEXT) | instid1(VALU_DEP_2)
	v_dual_sub_f32 v27, v27, v29 :: v_dual_fmac_f32 v28, 0x32a5705f, v15
	v_cndmask_b32_e32 v23, 0, v23, vcc_lo
	v_cmp_nlt_f32_e32 vcc_lo, 0x42b17218, v22
	s_delay_alu instid0(VALU_DEP_3) | instskip(SKIP_1) | instid1(VALU_DEP_4)
	v_add_f32_e32 v27, v27, v28
	v_cvt_i32_f32_e32 v28, v29
	v_cndmask_b32_e32 v22, 0x7f800000, v23, vcc_lo
	s_delay_alu instid0(VALU_DEP_3) | instskip(SKIP_1) | instid1(VALU_DEP_2)
	v_exp_f32_e32 v27, v27
	v_cmp_ngt_f32_e32 vcc_lo, 0xc2ce8ed0, v15
	v_cvt_f16_f32_e32 v23, v22
	s_delay_alu instid0(TRANS32_DEP_1) | instskip(NEXT) | instid1(VALU_DEP_2)
	v_ldexp_f32 v27, v27, v28
	v_and_b32_e32 v23, 0xffff, v23
	s_delay_alu instid0(VALU_DEP_2) | instskip(SKIP_1) | instid1(VALU_DEP_3)
	v_cndmask_b32_e32 v27, 0, v27, vcc_lo
	v_cmp_nlt_f32_e32 vcc_lo, 0x42b17218, v15
	v_mul_u32_u24_e32 v26, 0x10001, v23
	v_sub_f32_e32 v23, v108, v3
	s_delay_alu instid0(VALU_DEP_4) | instskip(SKIP_2) | instid1(VALU_DEP_2)
	v_cndmask_b32_e32 v15, 0x7f800000, v27, vcc_lo
	v_mul_f32_e32 v27, 0x3fb8aa3b, v17
	v_cmp_ngt_f32_e32 vcc_lo, 0xc2ce8ed0, v17
	v_fma_f32 v28, 0x3fb8aa3b, v17, -v27
	v_rndne_f32_e32 v29, v27
	s_delay_alu instid0(VALU_DEP_2) | instskip(NEXT) | instid1(VALU_DEP_2)
	v_fmac_f32_e32 v28, 0x32a5705f, v17
	v_sub_f32_e32 v27, v27, v29
	s_delay_alu instid0(VALU_DEP_1) | instskip(SKIP_1) | instid1(VALU_DEP_2)
	v_add_f32_e32 v27, v27, v28
	v_cvt_i32_f32_e32 v28, v29
	v_exp_f32_e32 v27, v27
	v_nop
	s_delay_alu instid0(TRANS32_DEP_1) | instskip(NEXT) | instid1(VALU_DEP_1)
	v_ldexp_f32 v27, v27, v28
	v_cndmask_b32_e32 v27, 0, v27, vcc_lo
	v_cmp_nlt_f32_e32 vcc_lo, 0x42b17218, v17
	s_delay_alu instid0(VALU_DEP_2) | instskip(SKIP_2) | instid1(VALU_DEP_3)
	v_cndmask_b32_e32 v17, 0x7f800000, v27, vcc_lo
	v_mul_f32_e32 v27, 0x3fb8aa3b, v19
	v_cmp_ngt_f32_e32 vcc_lo, 0xc2ce8ed0, v19
	v_pk_add_f32 v[30:31], v[14:15], v[16:17]
	s_delay_alu instid0(VALU_DEP_3) | instskip(SKIP_1) | instid1(VALU_DEP_1)
	v_fma_f32 v28, 0x3fb8aa3b, v19, -v27
	v_rndne_f32_e32 v29, v27
	v_dual_fmac_f32 v28, 0x32a5705f, v19 :: v_dual_sub_f32 v27, v27, v29
	s_delay_alu instid0(VALU_DEP_1) | instskip(SKIP_1) | instid1(VALU_DEP_2)
	v_add_f32_e32 v27, v27, v28
	v_cvt_i32_f32_e32 v28, v29
	v_exp_f32_e32 v27, v27
	v_nop
	s_delay_alu instid0(TRANS32_DEP_1) | instskip(NEXT) | instid1(VALU_DEP_1)
	v_ldexp_f32 v27, v27, v28
	v_cndmask_b32_e32 v27, 0, v27, vcc_lo
	v_cmp_nlt_f32_e32 vcc_lo, 0x42b17218, v19
	s_delay_alu instid0(VALU_DEP_2) | instskip(SKIP_2) | instid1(VALU_DEP_3)
	v_cndmask_b32_e32 v19, 0x7f800000, v27, vcc_lo
	v_mul_f32_e32 v27, 0x3fb8aa3b, v21
	v_cmp_ngt_f32_e32 vcc_lo, 0xc2ce8ed0, v21
	v_pk_add_f32 v[30:31], v[18:19], v[30:31]
	s_delay_alu instid0(VALU_DEP_3) | instskip(SKIP_1) | instid1(VALU_DEP_2)
	v_fma_f32 v28, 0x3fb8aa3b, v21, -v27
	v_rndne_f32_e32 v29, v27
	v_fmac_f32_e32 v28, 0x32a5705f, v21
	s_delay_alu instid0(VALU_DEP_2) | instskip(NEXT) | instid1(VALU_DEP_1)
	v_sub_f32_e32 v27, v27, v29
	v_add_f32_e32 v27, v27, v28
	v_cvt_i32_f32_e32 v28, v29
	s_delay_alu instid0(VALU_DEP_2) | instskip(SKIP_1) | instid1(TRANS32_DEP_1)
	v_exp_f32_e32 v27, v27
	v_nop
	v_ldexp_f32 v27, v27, v28
	s_delay_alu instid0(VALU_DEP_1) | instskip(SKIP_1) | instid1(VALU_DEP_2)
	v_cndmask_b32_e32 v27, 0, v27, vcc_lo
	v_cmp_nlt_f32_e32 vcc_lo, 0x42b17218, v21
	v_cndmask_b32_e32 v21, 0x7f800000, v27, vcc_lo
	v_mul_f32_e32 v27, 0x3fb8aa3b, v23
	v_cmp_ngt_f32_e32 vcc_lo, 0xc2ce8ed0, v23
	s_delay_alu instid0(VALU_DEP_3) | instskip(NEXT) | instid1(VALU_DEP_3)
	v_pk_add_f32 v[30:31], v[20:21], v[30:31]
	v_fma_f32 v28, 0x3fb8aa3b, v23, -v27
	v_rndne_f32_e32 v29, v27
	s_delay_alu instid0(VALU_DEP_1) | instskip(NEXT) | instid1(VALU_DEP_1)
	v_dual_fmac_f32 v28, 0x32a5705f, v23 :: v_dual_sub_f32 v27, v27, v29
	v_add_f32_e32 v27, v27, v28
	v_cvt_i32_f32_e32 v28, v29
	s_delay_alu instid0(VALU_DEP_2) | instskip(SKIP_1) | instid1(TRANS32_DEP_1)
	v_exp_f32_e32 v27, v27
	v_nop
	v_ldexp_f32 v27, v27, v28
	v_pk_add_f32 v[28:29], v[4:5], v[6:7]
	s_delay_alu instid0(VALU_DEP_2) | instskip(SKIP_1) | instid1(VALU_DEP_3)
	v_cndmask_b32_e32 v27, 0, v27, vcc_lo
	v_cmp_nlt_f32_e32 vcc_lo, 0x42b17218, v23
	v_pk_add_f32 v[28:29], v[8:9], v[28:29]
	s_delay_alu instid0(VALU_DEP_3) | instskip(NEXT) | instid1(VALU_DEP_2)
	v_cndmask_b32_e32 v23, 0x7f800000, v27, vcc_lo
	v_pk_add_f32 v[28:29], v[10:11], v[28:29]
	s_delay_alu instid0(VALU_DEP_2) | instskip(NEXT) | instid1(VALU_DEP_2)
	v_pk_fma_f32 v[46:47], v[46:47], v[22:23], v[30:31]
	v_pk_fma_f32 v[52:53], v[52:53], v[12:13], v[28:29]
	v_cvt_f16_f32_e32 v12, v23
	v_cvt_pk_f16_f32 v13, v14, v15
	s_delay_alu instid0(VALU_DEP_2) | instskip(NEXT) | instid1(VALU_DEP_1)
	v_and_b32_e32 v12, 0xffff, v12
	v_mul_u32_u24_e32 v12, 0x10001, v12
	s_delay_alu instid0(VALU_DEP_1)
	v_pk_mul_f16 v22, v107, v12
	v_cvt_pk_f16_f32 v12, v4, v5
	v_cvt_pk_f16_f32 v5, v16, v17
	;; [unrolled: 1-line block ×5, first 2 shown]
	ds_store_2addr_b64 v86, v[12:13], v[4:5] offset1:32
	v_cvt_pk_f16_f32 v5, v18, v19
	v_cvt_pk_f16_f32 v4, v8, v9
	ds_store_2addr_b64 v86, v[4:5], v[6:7] offset0:64 offset1:96
	v_lshl_add_u64 v[6:7], v[42:43], 2, s[24:25]
	v_lshl_add_u64 v[4:5], v[36:37], 2, s[24:25]
	s_delay_alu instid0(VALU_DEP_2) | instskip(SKIP_1) | instid1(VALU_DEP_3)
	v_add_nc_u64_e32 v[20:21], v[6:7], v[54:55]
	v_lshl_add_u64 v[6:7], v[48:49], 2, s[24:25]
	v_add_nc_u64_e32 v[4:5], v[4:5], v[54:55]
	s_delay_alu instid0(VALU_DEP_2) | instskip(SKIP_1) | instid1(VALU_DEP_1)
	v_add_nc_u64_e32 v[18:19], v[6:7], v[54:55]
	v_lshl_add_u64 v[6:7], v[56:57], 2, s[24:25]
	v_add_nc_u64_e32 v[16:17], v[6:7], v[54:55]
	v_lshl_add_u64 v[6:7], v[60:61], 2, s[24:25]
	s_delay_alu instid0(VALU_DEP_1) | instskip(SKIP_1) | instid1(VALU_DEP_1)
	v_add_nc_u64_e32 v[14:15], v[6:7], v[54:55]
	v_lshl_add_u64 v[6:7], v[64:65], 2, s[24:25]
	v_add_nc_u64_e32 v[12:13], v[6:7], v[54:55]
	v_lshl_add_u64 v[6:7], v[66:67], 2, s[24:25]
	s_delay_alu instid0(VALU_DEP_1) | instskip(SKIP_1) | instid1(VALU_DEP_1)
	v_add_nc_u64_e32 v[10:11], v[6:7], v[54:55]
	v_lshl_add_u64 v[6:7], v[68:69], 2, s[24:25]
	v_add_nc_u64_e32 v[8:9], v[6:7], v[54:55]
	global_load_b128 v[4:7], v[4:5], off
	s_wait_loadcnt 0x0
	ds_store_b128 v83, v[4:7]
	global_load_b128 v[4:7], v[20:21], off
	s_wait_xcnt 0x0
	v_add_nc_u32_e32 v20, 0x800, v83
	s_wait_loadcnt 0x0
	ds_store_b128 v20, v[4:7]
	global_load_b128 v[4:7], v[18:19], off
	s_wait_xcnt 0x0
	v_add_nc_u32_e32 v18, 0x1000, v83
	;; [unrolled: 5-line block ×5, first 2 shown]
	s_wait_loadcnt 0x0
	ds_store_b128 v12, v[4:7]
	global_load_b128 v[4:7], v[10:11], off
	s_wait_loadcnt 0x0
	ds_store_b128 v87, v[4:7]
	global_load_b128 v[4:7], v[8:9], off
	s_wait_loadcnt 0x0
	ds_store_b128 v88, v[4:7]
	s_wait_dscnt 0x0
	s_barrier_signal -1
	s_barrier_wait -1
	ds_load_2addr_b32 v[20:21], v74 offset1:32
	ds_load_b128 v[12:15], v85
	ds_load_b128 v[16:19], v85 offset:16
	ds_load_b128 v[8:11], v85 offset:32
	;; [unrolled: 1-line block ×3, first 2 shown]
	s_wait_dscnt 0x3
	v_lshrrev_b32_e32 v23, 16, v12
	v_and_b32_e32 v12, 0xffff, v12
	v_lshrrev_b32_e32 v27, 16, v13
	v_and_b32_e32 v13, 0xffff, v13
	s_delay_alu instid0(VALU_DEP_4) | instskip(NEXT) | instid1(VALU_DEP_4)
	v_mul_u32_u24_e32 v23, 0x10001, v23
	v_mul_u32_u24_e32 v12, 0x10001, v12
	s_delay_alu instid0(VALU_DEP_4) | instskip(NEXT) | instid1(VALU_DEP_4)
	v_mul_u32_u24_e32 v27, 0x10001, v27
	v_mul_u32_u24_e32 v13, 0x10001, v13
	s_delay_alu instid0(VALU_DEP_4) | instskip(NEXT) | instid1(VALU_DEP_4)
	v_pk_mul_f16 v23, v20, v23
	v_pk_mul_f16 v12, v20, v12
	s_delay_alu instid0(VALU_DEP_3) | instskip(SKIP_2) | instid1(VALU_DEP_4)
	v_pk_mul_f16 v13, v20, v13
	v_pk_fma_f16 v20, v20, v27, v22
	v_lshrrev_b32_e32 v22, 16, v14
	v_pk_fma_f16 v12, v106, v24, v12
	v_lshrrev_b32_e32 v24, 16, v15
	v_and_b32_e32 v14, 0xffff, v14
	v_and_b32_e32 v15, 0xffff, v15
	v_pk_fma_f16 v13, v104, v26, v13
	v_pk_fma_f16 v23, v105, v25, v23
	v_mul_u32_u24_e32 v22, 0x10001, v22
	v_mul_u32_u24_e32 v14, 0x10001, v14
	;; [unrolled: 1-line block ×4, first 2 shown]
	s_delay_alu instid0(VALU_DEP_4) | instskip(NEXT) | instid1(VALU_DEP_4)
	v_pk_fma_f16 v22, v21, v22, v23
	v_pk_fma_f16 v14, v21, v14, v12
	s_delay_alu instid0(VALU_DEP_4)
	v_pk_fma_f16 v15, v21, v15, v13
	ds_load_2addr_b32 v[12:13], v74 offset0:64 offset1:96
	v_pk_fma_f16 v20, v21, v24, v20
	s_wait_dscnt 0x3
	v_dual_lshrrev_b32 v21, 16, v16 :: v_dual_lshrrev_b32 v23, 16, v17
	v_and_b32_e32 v16, 0xffff, v16
	v_and_b32_e32 v17, 0xffff, v17
	s_delay_alu instid0(VALU_DEP_3) | instskip(NEXT) | instid1(VALU_DEP_4)
	v_mul_u32_u24_e32 v21, 0x10001, v21
	v_mul_u32_u24_e32 v23, 0x10001, v23
	s_delay_alu instid0(VALU_DEP_4) | instskip(NEXT) | instid1(VALU_DEP_4)
	v_mul_u32_u24_e32 v16, 0x10001, v16
	v_mul_u32_u24_e32 v17, 0x10001, v17
	s_wait_dscnt 0x0
	s_delay_alu instid0(VALU_DEP_2) | instskip(SKIP_1) | instid1(VALU_DEP_3)
	v_pk_fma_f16 v14, v12, v16, v14
	v_pk_fma_f16 v16, v12, v21, v22
	;; [unrolled: 1-line block ×4, first 2 shown]
	v_dual_lshrrev_b32 v17, 16, v18 :: v_dual_lshrrev_b32 v20, 16, v19
	v_and_b32_e32 v18, 0xffff, v18
	v_and_b32_e32 v19, 0xffff, v19
	s_delay_alu instid0(VALU_DEP_3) | instskip(NEXT) | instid1(VALU_DEP_4)
	v_mul_u32_u24_e32 v17, 0x10001, v17
	v_mul_u32_u24_e32 v20, 0x10001, v20
	s_delay_alu instid0(VALU_DEP_4) | instskip(NEXT) | instid1(VALU_DEP_4)
	v_mul_u32_u24_e32 v18, 0x10001, v18
	v_mul_u32_u24_e32 v19, 0x10001, v19
	s_delay_alu instid0(VALU_DEP_4) | instskip(NEXT) | instid1(VALU_DEP_4)
	v_pk_fma_f16 v16, v13, v17, v16
	v_pk_fma_f16 v17, v13, v20, v12
	s_delay_alu instid0(VALU_DEP_4) | instskip(NEXT) | instid1(VALU_DEP_4)
	v_pk_fma_f16 v14, v13, v18, v14
	v_pk_fma_f16 v15, v13, v19, v15
	ds_load_2addr_b32 v[12:13], v74 offset0:128 offset1:160
	v_dual_lshrrev_b32 v18, 16, v8 :: v_dual_lshrrev_b32 v19, 16, v9
	v_and_b32_e32 v8, 0xffff, v8
	v_and_b32_e32 v9, 0xffff, v9
	s_delay_alu instid0(VALU_DEP_3) | instskip(NEXT) | instid1(VALU_DEP_3)
	v_mul_u32_u24_e32 v18, 0x10001, v18
	v_mul_u32_u24_e32 v8, 0x10001, v8
	s_delay_alu instid0(VALU_DEP_3) | instskip(SKIP_1) | instid1(VALU_DEP_2)
	v_mul_u32_u24_e32 v9, 0x10001, v9
	s_wait_dscnt 0x0
	v_pk_fma_f16 v8, v12, v8, v14
	v_pk_fma_f16 v14, v12, v18, v16
	s_delay_alu instid0(VALU_DEP_3) | instskip(SKIP_4) | instid1(VALU_DEP_4)
	v_pk_fma_f16 v9, v12, v9, v15
	v_dual_lshrrev_b32 v15, 16, v10 :: v_dual_lshrrev_b32 v16, 16, v11
	v_and_b32_e32 v10, 0xffff, v10
	v_and_b32_e32 v11, 0xffff, v11
	v_mul_u32_u24_e32 v19, 0x10001, v19
	v_mul_u32_u24_e32 v15, 0x10001, v15
	;; [unrolled: 1-line block ×5, first 2 shown]
	v_pk_fma_f16 v12, v12, v19, v17
	v_pk_fma_f16 v14, v13, v15, v14
	v_lshrrev_b32_e32 v15, 16, v5
	v_pk_fma_f16 v10, v13, v10, v8
	v_pk_fma_f16 v11, v13, v11, v9
	ds_load_2addr_b32 v[8:9], v74 offset0:192 offset1:224
	v_pk_fma_f16 v12, v13, v16, v12
	v_lshrrev_b32_e32 v13, 16, v4
	v_and_b32_e32 v4, 0xffff, v4
	v_and_b32_e32 v5, 0xffff, v5
	v_mul_u32_u24_e32 v15, 0x10001, v15
	s_delay_alu instid0(VALU_DEP_4) | instskip(NEXT) | instid1(VALU_DEP_4)
	v_mul_u32_u24_e32 v13, 0x10001, v13
	v_mul_u32_u24_e32 v4, 0x10001, v4
	s_delay_alu instid0(VALU_DEP_4) | instskip(SKIP_1) | instid1(VALU_DEP_2)
	v_mul_u32_u24_e32 v5, 0x10001, v5
	s_wait_dscnt 0x0
	v_pk_fma_f16 v4, v8, v4, v10
	v_pk_fma_f16 v10, v8, v13, v14
	s_delay_alu instid0(VALU_DEP_3) | instskip(SKIP_4) | instid1(VALU_DEP_3)
	v_pk_fma_f16 v5, v8, v5, v11
	v_pk_fma_f16 v8, v8, v15, v12
	v_dual_lshrrev_b32 v11, 16, v6 :: v_dual_lshrrev_b32 v12, 16, v7
	v_and_b32_e32 v6, 0xffff, v6
	v_and_b32_e32 v7, 0xffff, v7
	v_mul_u32_u24_e32 v11, 0x10001, v11
	s_delay_alu instid0(VALU_DEP_4) | instskip(NEXT) | instid1(VALU_DEP_4)
	v_mul_u32_u24_e32 v12, 0x10001, v12
	v_mul_u32_u24_e32 v6, 0x10001, v6
	s_delay_alu instid0(VALU_DEP_4) | instskip(NEXT) | instid1(VALU_DEP_4)
	v_mul_u32_u24_e32 v7, 0x10001, v7
	v_pk_fma_f16 v10, v9, v11, v10
	s_delay_alu instid0(VALU_DEP_4) | instskip(NEXT) | instid1(VALU_DEP_4)
	v_pk_fma_f16 v12, v9, v12, v8
	v_pk_fma_f16 v13, v9, v6, v4
	s_delay_alu instid0(VALU_DEP_4)
	v_pk_fma_f16 v11, v9, v7, v5
	ds_load_2addr_b32 v[8:9], v89 offset1:32
	ds_load_b128 v[4:7], v85 offset:64
	s_wait_dscnt 0x0
	v_dual_lshrrev_b32 v14, 16, v4 :: v_dual_lshrrev_b32 v15, 16, v5
	v_and_b32_e32 v4, 0xffff, v4
	v_and_b32_e32 v5, 0xffff, v5
	s_delay_alu instid0(VALU_DEP_3) | instskip(NEXT) | instid1(VALU_DEP_4)
	v_mul_u32_u24_e32 v14, 0x10001, v14
	v_mul_u32_u24_e32 v15, 0x10001, v15
	s_delay_alu instid0(VALU_DEP_4) | instskip(NEXT) | instid1(VALU_DEP_4)
	v_mul_u32_u24_e32 v4, 0x10001, v4
	v_mul_u32_u24_e32 v5, 0x10001, v5
	s_delay_alu instid0(VALU_DEP_4) | instskip(NEXT) | instid1(VALU_DEP_3)
	v_pk_fma_f16 v10, v8, v14, v10
	v_pk_fma_f16 v4, v8, v4, v13
	s_delay_alu instid0(VALU_DEP_3) | instskip(SKIP_4) | instid1(VALU_DEP_3)
	v_pk_fma_f16 v5, v8, v5, v11
	v_pk_fma_f16 v8, v8, v15, v12
	v_dual_lshrrev_b32 v11, 16, v6 :: v_dual_lshrrev_b32 v12, 16, v7
	v_and_b32_e32 v6, 0xffff, v6
	v_and_b32_e32 v7, 0xffff, v7
	v_mul_u32_u24_e32 v11, 0x10001, v11
	s_delay_alu instid0(VALU_DEP_4) | instskip(NEXT) | instid1(VALU_DEP_4)
	v_mul_u32_u24_e32 v12, 0x10001, v12
	v_mul_u32_u24_e32 v6, 0x10001, v6
	s_delay_alu instid0(VALU_DEP_4) | instskip(NEXT) | instid1(VALU_DEP_4)
	v_mul_u32_u24_e32 v7, 0x10001, v7
	v_pk_fma_f16 v10, v9, v11, v10
	s_delay_alu instid0(VALU_DEP_4) | instskip(NEXT) | instid1(VALU_DEP_4)
	v_pk_fma_f16 v12, v9, v12, v8
	v_pk_fma_f16 v13, v9, v6, v4
	s_delay_alu instid0(VALU_DEP_4)
	v_pk_fma_f16 v11, v9, v7, v5
	ds_load_2addr_b32 v[8:9], v89 offset0:64 offset1:96
	ds_load_b128 v[4:7], v85 offset:80
	s_wait_dscnt 0x0
	v_lshrrev_b32_e32 v15, 16, v5
	v_and_b32_e32 v5, 0xffff, v5
	v_lshrrev_b32_e32 v14, 16, v4
	v_and_b32_e32 v4, 0xffff, v4
	s_delay_alu instid0(VALU_DEP_3) | instskip(NEXT) | instid1(VALU_DEP_3)
	v_mul_u32_u24_e32 v5, 0x10001, v5
	v_mul_u32_u24_e32 v14, 0x10001, v14
	s_delay_alu instid0(VALU_DEP_3) | instskip(NEXT) | instid1(VALU_DEP_3)
	v_mul_u32_u24_e32 v4, 0x10001, v4
	v_pk_fma_f16 v5, v8, v5, v11
	v_lshrrev_b32_e32 v11, 16, v6
	v_mul_u32_u24_e32 v15, 0x10001, v15
	s_delay_alu instid0(VALU_DEP_4)
	v_pk_fma_f16 v4, v8, v4, v13
	v_pk_fma_f16 v10, v8, v14, v10
	v_and_b32_e32 v6, 0xffff, v6
	v_mul_u32_u24_e32 v11, 0x10001, v11
	v_pk_fma_f16 v8, v8, v15, v12
	v_lshrrev_b32_e32 v12, 16, v7
	v_and_b32_e32 v7, 0xffff, v7
	v_mul_u32_u24_e32 v6, 0x10001, v6
	v_pk_fma_f16 v10, v9, v11, v10
	s_delay_alu instid0(VALU_DEP_4) | instskip(NEXT) | instid1(VALU_DEP_4)
	v_mul_u32_u24_e32 v12, 0x10001, v12
	v_mul_u32_u24_e32 v7, 0x10001, v7
	s_delay_alu instid0(VALU_DEP_4) | instskip(NEXT) | instid1(VALU_DEP_3)
	v_pk_fma_f16 v13, v9, v6, v4
	v_pk_fma_f16 v12, v9, v12, v8
	s_delay_alu instid0(VALU_DEP_3)
	v_pk_fma_f16 v11, v9, v7, v5
	ds_load_2addr_b32 v[8:9], v89 offset0:128 offset1:160
	ds_load_b128 v[4:7], v85 offset:96
	s_wait_dscnt 0x0
	v_dual_lshrrev_b32 v14, 16, v4 :: v_dual_lshrrev_b32 v15, 16, v5
	v_and_b32_e32 v4, 0xffff, v4
	v_and_b32_e32 v5, 0xffff, v5
	s_delay_alu instid0(VALU_DEP_3) | instskip(NEXT) | instid1(VALU_DEP_4)
	v_mul_u32_u24_e32 v14, 0x10001, v14
	v_mul_u32_u24_e32 v15, 0x10001, v15
	s_delay_alu instid0(VALU_DEP_4) | instskip(NEXT) | instid1(VALU_DEP_4)
	v_mul_u32_u24_e32 v4, 0x10001, v4
	v_mul_u32_u24_e32 v5, 0x10001, v5
	s_delay_alu instid0(VALU_DEP_4) | instskip(NEXT) | instid1(VALU_DEP_3)
	v_pk_fma_f16 v10, v8, v14, v10
	v_pk_fma_f16 v4, v8, v4, v13
	s_delay_alu instid0(VALU_DEP_3) | instskip(SKIP_4) | instid1(VALU_DEP_3)
	v_pk_fma_f16 v5, v8, v5, v11
	v_pk_fma_f16 v8, v8, v15, v12
	v_dual_lshrrev_b32 v11, 16, v6 :: v_dual_lshrrev_b32 v12, 16, v7
	v_and_b32_e32 v6, 0xffff, v6
	v_and_b32_e32 v7, 0xffff, v7
	v_mul_u32_u24_e32 v11, 0x10001, v11
	s_delay_alu instid0(VALU_DEP_4) | instskip(NEXT) | instid1(VALU_DEP_4)
	v_mul_u32_u24_e32 v12, 0x10001, v12
	v_mul_u32_u24_e32 v6, 0x10001, v6
	s_delay_alu instid0(VALU_DEP_4) | instskip(NEXT) | instid1(VALU_DEP_4)
	v_mul_u32_u24_e32 v7, 0x10001, v7
	v_pk_fma_f16 v10, v9, v11, v10
	s_delay_alu instid0(VALU_DEP_4) | instskip(NEXT) | instid1(VALU_DEP_4)
	v_pk_fma_f16 v12, v9, v12, v8
	v_pk_fma_f16 v13, v9, v6, v4
	s_delay_alu instid0(VALU_DEP_4)
	v_pk_fma_f16 v11, v9, v7, v5
	ds_load_2addr_b32 v[8:9], v89 offset0:192 offset1:224
	ds_load_b128 v[4:7], v85 offset:112
	s_wait_dscnt 0x0
	v_lshrrev_b32_e32 v15, 16, v5
	v_and_b32_e32 v5, 0xffff, v5
	v_lshrrev_b32_e32 v14, 16, v4
	v_and_b32_e32 v4, 0xffff, v4
	s_delay_alu instid0(VALU_DEP_3) | instskip(NEXT) | instid1(VALU_DEP_3)
	v_mul_u32_u24_e32 v5, 0x10001, v5
	v_mul_u32_u24_e32 v14, 0x10001, v14
	s_delay_alu instid0(VALU_DEP_3) | instskip(NEXT) | instid1(VALU_DEP_3)
	v_mul_u32_u24_e32 v4, 0x10001, v4
	v_pk_fma_f16 v5, v8, v5, v11
	v_lshrrev_b32_e32 v11, 16, v6
	v_mul_u32_u24_e32 v15, 0x10001, v15
	s_delay_alu instid0(VALU_DEP_4)
	v_pk_fma_f16 v4, v8, v4, v13
	v_pk_fma_f16 v10, v8, v14, v10
	v_and_b32_e32 v6, 0xffff, v6
	v_mul_u32_u24_e32 v11, 0x10001, v11
	v_pk_fma_f16 v8, v8, v15, v12
	v_lshrrev_b32_e32 v12, 16, v7
	v_and_b32_e32 v7, 0xffff, v7
	v_mul_u32_u24_e32 v6, 0x10001, v6
	v_pk_fma_f16 v10, v9, v11, v10
	s_delay_alu instid0(VALU_DEP_4) | instskip(NEXT) | instid1(VALU_DEP_4)
	v_mul_u32_u24_e32 v12, 0x10001, v12
	v_mul_u32_u24_e32 v7, 0x10001, v7
	s_delay_alu instid0(VALU_DEP_4) | instskip(NEXT) | instid1(VALU_DEP_3)
	v_pk_fma_f16 v13, v9, v6, v4
	v_pk_fma_f16 v12, v9, v12, v8
	s_delay_alu instid0(VALU_DEP_3)
	v_pk_fma_f16 v11, v9, v7, v5
	ds_load_2addr_b32 v[8:9], v90 offset1:32
	ds_load_b128 v[4:7], v85 offset:128
	s_wait_dscnt 0x0
	v_dual_lshrrev_b32 v14, 16, v4 :: v_dual_lshrrev_b32 v15, 16, v5
	v_and_b32_e32 v4, 0xffff, v4
	v_and_b32_e32 v5, 0xffff, v5
	s_delay_alu instid0(VALU_DEP_3) | instskip(NEXT) | instid1(VALU_DEP_4)
	v_mul_u32_u24_e32 v14, 0x10001, v14
	v_mul_u32_u24_e32 v15, 0x10001, v15
	s_delay_alu instid0(VALU_DEP_4) | instskip(NEXT) | instid1(VALU_DEP_4)
	v_mul_u32_u24_e32 v4, 0x10001, v4
	v_mul_u32_u24_e32 v5, 0x10001, v5
	s_delay_alu instid0(VALU_DEP_4) | instskip(NEXT) | instid1(VALU_DEP_3)
	v_pk_fma_f16 v10, v8, v14, v10
	v_pk_fma_f16 v4, v8, v4, v13
	s_delay_alu instid0(VALU_DEP_3) | instskip(SKIP_4) | instid1(VALU_DEP_3)
	v_pk_fma_f16 v5, v8, v5, v11
	v_pk_fma_f16 v8, v8, v15, v12
	v_dual_lshrrev_b32 v11, 16, v6 :: v_dual_lshrrev_b32 v12, 16, v7
	v_and_b32_e32 v6, 0xffff, v6
	v_and_b32_e32 v7, 0xffff, v7
	v_mul_u32_u24_e32 v11, 0x10001, v11
	s_delay_alu instid0(VALU_DEP_4) | instskip(NEXT) | instid1(VALU_DEP_4)
	v_mul_u32_u24_e32 v12, 0x10001, v12
	v_mul_u32_u24_e32 v6, 0x10001, v6
	s_delay_alu instid0(VALU_DEP_4) | instskip(NEXT) | instid1(VALU_DEP_4)
	v_mul_u32_u24_e32 v7, 0x10001, v7
	v_pk_fma_f16 v10, v9, v11, v10
	s_delay_alu instid0(VALU_DEP_4) | instskip(NEXT) | instid1(VALU_DEP_4)
	v_pk_fma_f16 v12, v9, v12, v8
	v_pk_fma_f16 v13, v9, v6, v4
	s_delay_alu instid0(VALU_DEP_4)
	v_pk_fma_f16 v11, v9, v7, v5
	ds_load_2addr_b32 v[8:9], v90 offset0:64 offset1:96
	ds_load_b128 v[4:7], v85 offset:144
	s_wait_dscnt 0x0
	v_lshrrev_b32_e32 v15, 16, v5
	v_and_b32_e32 v5, 0xffff, v5
	v_lshrrev_b32_e32 v14, 16, v4
	v_and_b32_e32 v4, 0xffff, v4
	s_delay_alu instid0(VALU_DEP_3) | instskip(NEXT) | instid1(VALU_DEP_3)
	v_mul_u32_u24_e32 v5, 0x10001, v5
	v_mul_u32_u24_e32 v14, 0x10001, v14
	s_delay_alu instid0(VALU_DEP_3) | instskip(NEXT) | instid1(VALU_DEP_3)
	v_mul_u32_u24_e32 v4, 0x10001, v4
	v_pk_fma_f16 v5, v8, v5, v11
	v_lshrrev_b32_e32 v11, 16, v6
	v_mul_u32_u24_e32 v15, 0x10001, v15
	s_delay_alu instid0(VALU_DEP_4)
	v_pk_fma_f16 v4, v8, v4, v13
	v_pk_fma_f16 v10, v8, v14, v10
	v_and_b32_e32 v6, 0xffff, v6
	v_mul_u32_u24_e32 v11, 0x10001, v11
	v_pk_fma_f16 v8, v8, v15, v12
	v_lshrrev_b32_e32 v12, 16, v7
	v_and_b32_e32 v7, 0xffff, v7
	v_mul_u32_u24_e32 v6, 0x10001, v6
	v_pk_fma_f16 v10, v9, v11, v10
	s_delay_alu instid0(VALU_DEP_4) | instskip(NEXT) | instid1(VALU_DEP_4)
	v_mul_u32_u24_e32 v12, 0x10001, v12
	v_mul_u32_u24_e32 v7, 0x10001, v7
	s_delay_alu instid0(VALU_DEP_4) | instskip(NEXT) | instid1(VALU_DEP_3)
	v_pk_fma_f16 v13, v9, v6, v4
	v_pk_fma_f16 v12, v9, v12, v8
	s_delay_alu instid0(VALU_DEP_3)
	v_pk_fma_f16 v11, v9, v7, v5
	ds_load_2addr_b32 v[8:9], v90 offset0:128 offset1:160
	ds_load_b128 v[4:7], v85 offset:160
	s_wait_dscnt 0x0
	v_dual_lshrrev_b32 v14, 16, v4 :: v_dual_lshrrev_b32 v15, 16, v5
	v_and_b32_e32 v4, 0xffff, v4
	v_and_b32_e32 v5, 0xffff, v5
	s_delay_alu instid0(VALU_DEP_3) | instskip(NEXT) | instid1(VALU_DEP_4)
	v_mul_u32_u24_e32 v14, 0x10001, v14
	v_mul_u32_u24_e32 v15, 0x10001, v15
	s_delay_alu instid0(VALU_DEP_4) | instskip(NEXT) | instid1(VALU_DEP_4)
	v_mul_u32_u24_e32 v4, 0x10001, v4
	v_mul_u32_u24_e32 v5, 0x10001, v5
	s_delay_alu instid0(VALU_DEP_4) | instskip(NEXT) | instid1(VALU_DEP_3)
	v_pk_fma_f16 v10, v8, v14, v10
	v_pk_fma_f16 v4, v8, v4, v13
	s_delay_alu instid0(VALU_DEP_3) | instskip(SKIP_4) | instid1(VALU_DEP_3)
	v_pk_fma_f16 v5, v8, v5, v11
	v_pk_fma_f16 v8, v8, v15, v12
	v_dual_lshrrev_b32 v11, 16, v6 :: v_dual_lshrrev_b32 v12, 16, v7
	v_and_b32_e32 v6, 0xffff, v6
	v_and_b32_e32 v7, 0xffff, v7
	v_mul_u32_u24_e32 v11, 0x10001, v11
	s_delay_alu instid0(VALU_DEP_4) | instskip(NEXT) | instid1(VALU_DEP_4)
	v_mul_u32_u24_e32 v12, 0x10001, v12
	v_mul_u32_u24_e32 v6, 0x10001, v6
	s_delay_alu instid0(VALU_DEP_4) | instskip(NEXT) | instid1(VALU_DEP_4)
	v_mul_u32_u24_e32 v7, 0x10001, v7
	v_pk_fma_f16 v10, v9, v11, v10
	s_delay_alu instid0(VALU_DEP_4) | instskip(NEXT) | instid1(VALU_DEP_4)
	v_pk_fma_f16 v12, v9, v12, v8
	v_pk_fma_f16 v13, v9, v6, v4
	s_delay_alu instid0(VALU_DEP_4)
	v_pk_fma_f16 v11, v9, v7, v5
	ds_load_2addr_b32 v[8:9], v90 offset0:192 offset1:224
	ds_load_b128 v[4:7], v85 offset:176
	s_wait_dscnt 0x0
	v_lshrrev_b32_e32 v15, 16, v5
	v_and_b32_e32 v5, 0xffff, v5
	v_lshrrev_b32_e32 v14, 16, v4
	v_and_b32_e32 v4, 0xffff, v4
	s_delay_alu instid0(VALU_DEP_3) | instskip(NEXT) | instid1(VALU_DEP_3)
	v_mul_u32_u24_e32 v5, 0x10001, v5
	v_mul_u32_u24_e32 v14, 0x10001, v14
	s_delay_alu instid0(VALU_DEP_3) | instskip(NEXT) | instid1(VALU_DEP_3)
	v_mul_u32_u24_e32 v4, 0x10001, v4
	v_pk_fma_f16 v5, v8, v5, v11
	v_lshrrev_b32_e32 v11, 16, v6
	v_mul_u32_u24_e32 v15, 0x10001, v15
	s_delay_alu instid0(VALU_DEP_4)
	v_pk_fma_f16 v4, v8, v4, v13
	v_pk_fma_f16 v10, v8, v14, v10
	v_and_b32_e32 v6, 0xffff, v6
	v_mul_u32_u24_e32 v11, 0x10001, v11
	v_pk_fma_f16 v8, v8, v15, v12
	v_lshrrev_b32_e32 v12, 16, v7
	v_and_b32_e32 v7, 0xffff, v7
	v_mul_u32_u24_e32 v6, 0x10001, v6
	v_pk_fma_f16 v10, v9, v11, v10
	s_delay_alu instid0(VALU_DEP_4) | instskip(NEXT) | instid1(VALU_DEP_4)
	v_mul_u32_u24_e32 v12, 0x10001, v12
	v_mul_u32_u24_e32 v7, 0x10001, v7
	s_delay_alu instid0(VALU_DEP_4) | instskip(NEXT) | instid1(VALU_DEP_3)
	v_pk_fma_f16 v13, v9, v6, v4
	v_pk_fma_f16 v12, v9, v12, v8
	s_delay_alu instid0(VALU_DEP_3)
	v_pk_fma_f16 v11, v9, v7, v5
	ds_load_2addr_b32 v[8:9], v91 offset1:32
	ds_load_b128 v[4:7], v85 offset:192
	s_wait_dscnt 0x0
	v_lshrrev_b32_e32 v15, 16, v5
	v_and_b32_e32 v5, 0xffff, v5
	v_lshrrev_b32_e32 v14, 16, v4
	v_and_b32_e32 v4, 0xffff, v4
	s_delay_alu instid0(VALU_DEP_3) | instskip(NEXT) | instid1(VALU_DEP_3)
	v_mul_u32_u24_e32 v5, 0x10001, v5
	v_mul_u32_u24_e32 v14, 0x10001, v14
	s_delay_alu instid0(VALU_DEP_3) | instskip(NEXT) | instid1(VALU_DEP_3)
	v_mul_u32_u24_e32 v4, 0x10001, v4
	v_pk_fma_f16 v5, v8, v5, v11
	v_lshrrev_b32_e32 v11, 16, v6
	v_mul_u32_u24_e32 v15, 0x10001, v15
	s_delay_alu instid0(VALU_DEP_4)
	v_pk_fma_f16 v4, v8, v4, v13
	v_pk_fma_f16 v10, v8, v14, v10
	v_and_b32_e32 v6, 0xffff, v6
	v_mul_u32_u24_e32 v11, 0x10001, v11
	v_pk_fma_f16 v8, v8, v15, v12
	v_lshrrev_b32_e32 v12, 16, v7
	v_and_b32_e32 v7, 0xffff, v7
	v_mul_u32_u24_e32 v6, 0x10001, v6
	v_pk_fma_f16 v10, v9, v11, v10
	s_delay_alu instid0(VALU_DEP_4) | instskip(NEXT) | instid1(VALU_DEP_4)
	v_mul_u32_u24_e32 v12, 0x10001, v12
	v_mul_u32_u24_e32 v7, 0x10001, v7
	s_delay_alu instid0(VALU_DEP_4) | instskip(NEXT) | instid1(VALU_DEP_3)
	v_pk_fma_f16 v13, v9, v6, v4
	v_pk_fma_f16 v12, v9, v12, v8
	s_delay_alu instid0(VALU_DEP_3)
	v_pk_fma_f16 v11, v9, v7, v5
	ds_load_2addr_b32 v[8:9], v91 offset0:64 offset1:96
	ds_load_b128 v[4:7], v85 offset:208
	s_wait_dscnt 0x0
	v_lshrrev_b32_e32 v15, 16, v5
	v_and_b32_e32 v5, 0xffff, v5
	v_lshrrev_b32_e32 v14, 16, v4
	v_and_b32_e32 v4, 0xffff, v4
	s_delay_alu instid0(VALU_DEP_3) | instskip(NEXT) | instid1(VALU_DEP_3)
	v_mul_u32_u24_e32 v5, 0x10001, v5
	v_mul_u32_u24_e32 v14, 0x10001, v14
	s_delay_alu instid0(VALU_DEP_3) | instskip(NEXT) | instid1(VALU_DEP_3)
	v_mul_u32_u24_e32 v4, 0x10001, v4
	v_pk_fma_f16 v5, v8, v5, v11
	v_lshrrev_b32_e32 v11, 16, v6
	v_mul_u32_u24_e32 v15, 0x10001, v15
	s_delay_alu instid0(VALU_DEP_4)
	v_pk_fma_f16 v4, v8, v4, v13
	v_pk_fma_f16 v10, v8, v14, v10
	v_and_b32_e32 v6, 0xffff, v6
	v_mul_u32_u24_e32 v11, 0x10001, v11
	v_pk_fma_f16 v8, v8, v15, v12
	v_lshrrev_b32_e32 v12, 16, v7
	v_and_b32_e32 v7, 0xffff, v7
	v_mul_u32_u24_e32 v6, 0x10001, v6
	v_pk_fma_f16 v10, v9, v11, v10
	s_delay_alu instid0(VALU_DEP_4) | instskip(NEXT) | instid1(VALU_DEP_4)
	v_mul_u32_u24_e32 v12, 0x10001, v12
	v_mul_u32_u24_e32 v7, 0x10001, v7
	s_delay_alu instid0(VALU_DEP_4) | instskip(NEXT) | instid1(VALU_DEP_3)
	v_pk_fma_f16 v13, v9, v6, v4
	v_pk_fma_f16 v12, v9, v12, v8
	s_delay_alu instid0(VALU_DEP_3)
	v_pk_fma_f16 v11, v9, v7, v5
	ds_load_2addr_b32 v[8:9], v91 offset0:128 offset1:160
	;; [unrolled: 33-line block ×3, first 2 shown]
	ds_load_b128 v[4:7], v85 offset:240
	s_wait_dscnt 0x0
	v_lshrrev_b32_e32 v15, 16, v5
	v_and_b32_e32 v5, 0xffff, v5
	v_lshrrev_b32_e32 v14, 16, v4
	v_and_b32_e32 v4, 0xffff, v4
	s_delay_alu instid0(VALU_DEP_3) | instskip(NEXT) | instid1(VALU_DEP_3)
	v_mul_u32_u24_e32 v5, 0x10001, v5
	v_mul_u32_u24_e32 v14, 0x10001, v14
	s_delay_alu instid0(VALU_DEP_3) | instskip(NEXT) | instid1(VALU_DEP_3)
	v_mul_u32_u24_e32 v4, 0x10001, v4
	v_pk_fma_f16 v5, v8, v5, v11
	v_lshrrev_b32_e32 v11, 16, v6
	v_mul_u32_u24_e32 v15, 0x10001, v15
	s_delay_alu instid0(VALU_DEP_4)
	v_pk_fma_f16 v4, v8, v4, v13
	v_pk_fma_f16 v10, v8, v14, v10
	v_and_b32_e32 v6, 0xffff, v6
	v_mul_u32_u24_e32 v11, 0x10001, v11
	v_pk_fma_f16 v8, v8, v15, v12
	v_lshrrev_b32_e32 v12, 16, v7
	v_and_b32_e32 v7, 0xffff, v7
	v_mul_u32_u24_e32 v6, 0x10001, v6
	v_pk_fma_f16 v10, v9, v11, v10
	s_delay_alu instid0(VALU_DEP_4) | instskip(NEXT) | instid1(VALU_DEP_4)
	v_mul_u32_u24_e32 v12, 0x10001, v12
	v_mul_u32_u24_e32 v7, 0x10001, v7
	s_delay_alu instid0(VALU_DEP_4) | instskip(NEXT) | instid1(VALU_DEP_3)
	v_pk_fma_f16 v13, v9, v6, v4
	v_pk_fma_f16 v12, v9, v12, v8
	s_delay_alu instid0(VALU_DEP_3)
	v_pk_fma_f16 v11, v9, v7, v5
	ds_load_2addr_b32 v[8:9], v92 offset1:32
	ds_load_b128 v[4:7], v85 offset:256
	s_wait_dscnt 0x0
	v_lshrrev_b32_e32 v15, 16, v5
	v_and_b32_e32 v5, 0xffff, v5
	v_lshrrev_b32_e32 v14, 16, v4
	v_and_b32_e32 v4, 0xffff, v4
	s_delay_alu instid0(VALU_DEP_3) | instskip(NEXT) | instid1(VALU_DEP_3)
	v_mul_u32_u24_e32 v5, 0x10001, v5
	v_mul_u32_u24_e32 v14, 0x10001, v14
	s_delay_alu instid0(VALU_DEP_3) | instskip(NEXT) | instid1(VALU_DEP_3)
	v_mul_u32_u24_e32 v4, 0x10001, v4
	v_pk_fma_f16 v5, v8, v5, v11
	v_lshrrev_b32_e32 v11, 16, v6
	v_mul_u32_u24_e32 v15, 0x10001, v15
	s_delay_alu instid0(VALU_DEP_4)
	v_pk_fma_f16 v4, v8, v4, v13
	v_pk_fma_f16 v10, v8, v14, v10
	v_and_b32_e32 v6, 0xffff, v6
	v_mul_u32_u24_e32 v11, 0x10001, v11
	v_pk_fma_f16 v8, v8, v15, v12
	v_lshrrev_b32_e32 v12, 16, v7
	v_and_b32_e32 v7, 0xffff, v7
	v_mul_u32_u24_e32 v6, 0x10001, v6
	v_pk_fma_f16 v10, v9, v11, v10
	s_delay_alu instid0(VALU_DEP_4) | instskip(NEXT) | instid1(VALU_DEP_4)
	v_mul_u32_u24_e32 v12, 0x10001, v12
	v_mul_u32_u24_e32 v7, 0x10001, v7
	s_delay_alu instid0(VALU_DEP_4) | instskip(NEXT) | instid1(VALU_DEP_3)
	v_pk_fma_f16 v13, v9, v6, v4
	v_pk_fma_f16 v12, v9, v12, v8
	s_delay_alu instid0(VALU_DEP_3)
	v_pk_fma_f16 v11, v9, v7, v5
	ds_load_2addr_b32 v[8:9], v92 offset0:64 offset1:96
	ds_load_b128 v[4:7], v85 offset:272
	s_wait_dscnt 0x0
	v_lshrrev_b32_e32 v15, 16, v5
	v_and_b32_e32 v5, 0xffff, v5
	v_lshrrev_b32_e32 v14, 16, v4
	v_and_b32_e32 v4, 0xffff, v4
	s_delay_alu instid0(VALU_DEP_3) | instskip(NEXT) | instid1(VALU_DEP_3)
	v_mul_u32_u24_e32 v5, 0x10001, v5
	v_mul_u32_u24_e32 v14, 0x10001, v14
	s_delay_alu instid0(VALU_DEP_3) | instskip(NEXT) | instid1(VALU_DEP_3)
	v_mul_u32_u24_e32 v4, 0x10001, v4
	v_pk_fma_f16 v5, v8, v5, v11
	v_lshrrev_b32_e32 v11, 16, v6
	v_mul_u32_u24_e32 v15, 0x10001, v15
	s_delay_alu instid0(VALU_DEP_4)
	v_pk_fma_f16 v4, v8, v4, v13
	v_pk_fma_f16 v10, v8, v14, v10
	v_and_b32_e32 v6, 0xffff, v6
	v_mul_u32_u24_e32 v11, 0x10001, v11
	v_pk_fma_f16 v8, v8, v15, v12
	v_lshrrev_b32_e32 v12, 16, v7
	v_and_b32_e32 v7, 0xffff, v7
	v_mul_u32_u24_e32 v6, 0x10001, v6
	v_pk_fma_f16 v10, v9, v11, v10
	s_delay_alu instid0(VALU_DEP_4) | instskip(NEXT) | instid1(VALU_DEP_4)
	v_mul_u32_u24_e32 v12, 0x10001, v12
	v_mul_u32_u24_e32 v7, 0x10001, v7
	s_delay_alu instid0(VALU_DEP_4) | instskip(NEXT) | instid1(VALU_DEP_3)
	v_pk_fma_f16 v13, v9, v6, v4
	v_pk_fma_f16 v12, v9, v12, v8
	s_delay_alu instid0(VALU_DEP_3)
	v_pk_fma_f16 v11, v9, v7, v5
	ds_load_2addr_b32 v[8:9], v92 offset0:128 offset1:160
	;; [unrolled: 33-line block ×3, first 2 shown]
	ds_load_b128 v[4:7], v85 offset:304
	s_wait_dscnt 0x0
	v_lshrrev_b32_e32 v15, 16, v5
	v_and_b32_e32 v5, 0xffff, v5
	v_lshrrev_b32_e32 v14, 16, v4
	v_and_b32_e32 v4, 0xffff, v4
	s_delay_alu instid0(VALU_DEP_3) | instskip(NEXT) | instid1(VALU_DEP_3)
	v_mul_u32_u24_e32 v5, 0x10001, v5
	v_mul_u32_u24_e32 v14, 0x10001, v14
	s_delay_alu instid0(VALU_DEP_3) | instskip(NEXT) | instid1(VALU_DEP_3)
	v_mul_u32_u24_e32 v4, 0x10001, v4
	v_pk_fma_f16 v5, v8, v5, v11
	v_lshrrev_b32_e32 v11, 16, v6
	v_mul_u32_u24_e32 v15, 0x10001, v15
	s_delay_alu instid0(VALU_DEP_4)
	v_pk_fma_f16 v4, v8, v4, v13
	v_pk_fma_f16 v10, v8, v14, v10
	v_and_b32_e32 v6, 0xffff, v6
	v_mul_u32_u24_e32 v11, 0x10001, v11
	v_pk_fma_f16 v8, v8, v15, v12
	v_lshrrev_b32_e32 v12, 16, v7
	v_and_b32_e32 v7, 0xffff, v7
	v_mul_u32_u24_e32 v6, 0x10001, v6
	v_pk_fma_f16 v10, v9, v11, v10
	s_delay_alu instid0(VALU_DEP_4) | instskip(NEXT) | instid1(VALU_DEP_4)
	v_mul_u32_u24_e32 v12, 0x10001, v12
	v_mul_u32_u24_e32 v7, 0x10001, v7
	s_delay_alu instid0(VALU_DEP_4) | instskip(NEXT) | instid1(VALU_DEP_3)
	v_pk_fma_f16 v13, v9, v6, v4
	v_pk_fma_f16 v12, v9, v12, v8
	s_delay_alu instid0(VALU_DEP_3)
	v_pk_fma_f16 v11, v9, v7, v5
	ds_load_2addr_b32 v[8:9], v93 offset1:32
	ds_load_b128 v[4:7], v85 offset:320
	s_wait_dscnt 0x0
	v_lshrrev_b32_e32 v15, 16, v5
	v_and_b32_e32 v5, 0xffff, v5
	v_lshrrev_b32_e32 v14, 16, v4
	v_and_b32_e32 v4, 0xffff, v4
	s_delay_alu instid0(VALU_DEP_3) | instskip(NEXT) | instid1(VALU_DEP_3)
	v_mul_u32_u24_e32 v5, 0x10001, v5
	v_mul_u32_u24_e32 v14, 0x10001, v14
	s_delay_alu instid0(VALU_DEP_3) | instskip(NEXT) | instid1(VALU_DEP_3)
	v_mul_u32_u24_e32 v4, 0x10001, v4
	v_pk_fma_f16 v5, v8, v5, v11
	v_lshrrev_b32_e32 v11, 16, v6
	v_mul_u32_u24_e32 v15, 0x10001, v15
	s_delay_alu instid0(VALU_DEP_4)
	v_pk_fma_f16 v4, v8, v4, v13
	v_pk_fma_f16 v10, v8, v14, v10
	v_and_b32_e32 v6, 0xffff, v6
	v_mul_u32_u24_e32 v11, 0x10001, v11
	v_pk_fma_f16 v8, v8, v15, v12
	v_lshrrev_b32_e32 v12, 16, v7
	v_and_b32_e32 v7, 0xffff, v7
	v_mul_u32_u24_e32 v6, 0x10001, v6
	v_pk_fma_f16 v10, v9, v11, v10
	s_delay_alu instid0(VALU_DEP_4) | instskip(NEXT) | instid1(VALU_DEP_4)
	v_mul_u32_u24_e32 v12, 0x10001, v12
	v_mul_u32_u24_e32 v7, 0x10001, v7
	s_delay_alu instid0(VALU_DEP_4) | instskip(NEXT) | instid1(VALU_DEP_3)
	v_pk_fma_f16 v13, v9, v6, v4
	v_pk_fma_f16 v12, v9, v12, v8
	s_delay_alu instid0(VALU_DEP_3)
	v_pk_fma_f16 v11, v9, v7, v5
	ds_load_2addr_b32 v[8:9], v93 offset0:64 offset1:96
	ds_load_b128 v[4:7], v85 offset:336
	s_wait_dscnt 0x0
	v_lshrrev_b32_e32 v15, 16, v5
	v_and_b32_e32 v5, 0xffff, v5
	v_lshrrev_b32_e32 v14, 16, v4
	v_and_b32_e32 v4, 0xffff, v4
	s_delay_alu instid0(VALU_DEP_3) | instskip(NEXT) | instid1(VALU_DEP_3)
	v_mul_u32_u24_e32 v5, 0x10001, v5
	v_mul_u32_u24_e32 v14, 0x10001, v14
	s_delay_alu instid0(VALU_DEP_3) | instskip(NEXT) | instid1(VALU_DEP_3)
	v_mul_u32_u24_e32 v4, 0x10001, v4
	v_pk_fma_f16 v5, v8, v5, v11
	v_lshrrev_b32_e32 v11, 16, v6
	v_mul_u32_u24_e32 v15, 0x10001, v15
	s_delay_alu instid0(VALU_DEP_4)
	v_pk_fma_f16 v4, v8, v4, v13
	v_pk_fma_f16 v10, v8, v14, v10
	v_and_b32_e32 v6, 0xffff, v6
	v_mul_u32_u24_e32 v11, 0x10001, v11
	v_pk_fma_f16 v8, v8, v15, v12
	v_lshrrev_b32_e32 v12, 16, v7
	v_and_b32_e32 v7, 0xffff, v7
	v_mul_u32_u24_e32 v6, 0x10001, v6
	v_pk_fma_f16 v10, v9, v11, v10
	s_delay_alu instid0(VALU_DEP_4) | instskip(NEXT) | instid1(VALU_DEP_4)
	v_mul_u32_u24_e32 v12, 0x10001, v12
	v_mul_u32_u24_e32 v7, 0x10001, v7
	s_delay_alu instid0(VALU_DEP_4) | instskip(NEXT) | instid1(VALU_DEP_3)
	v_pk_fma_f16 v13, v9, v6, v4
	v_pk_fma_f16 v12, v9, v12, v8
	s_delay_alu instid0(VALU_DEP_3)
	v_pk_fma_f16 v11, v9, v7, v5
	ds_load_2addr_b32 v[8:9], v93 offset0:128 offset1:160
	;; [unrolled: 33-line block ×3, first 2 shown]
	ds_load_b128 v[4:7], v85 offset:368
	s_wait_dscnt 0x0
	v_lshrrev_b32_e32 v15, 16, v5
	v_and_b32_e32 v5, 0xffff, v5
	v_lshrrev_b32_e32 v14, 16, v4
	v_and_b32_e32 v4, 0xffff, v4
	s_delay_alu instid0(VALU_DEP_3) | instskip(NEXT) | instid1(VALU_DEP_3)
	v_mul_u32_u24_e32 v5, 0x10001, v5
	v_mul_u32_u24_e32 v14, 0x10001, v14
	s_delay_alu instid0(VALU_DEP_3) | instskip(NEXT) | instid1(VALU_DEP_3)
	v_mul_u32_u24_e32 v4, 0x10001, v4
	v_pk_fma_f16 v5, v8, v5, v11
	v_lshrrev_b32_e32 v11, 16, v6
	v_mul_u32_u24_e32 v15, 0x10001, v15
	s_delay_alu instid0(VALU_DEP_4)
	v_pk_fma_f16 v4, v8, v4, v13
	v_pk_fma_f16 v10, v8, v14, v10
	v_and_b32_e32 v6, 0xffff, v6
	v_mul_u32_u24_e32 v11, 0x10001, v11
	v_pk_fma_f16 v8, v8, v15, v12
	v_lshrrev_b32_e32 v12, 16, v7
	v_and_b32_e32 v7, 0xffff, v7
	v_mul_u32_u24_e32 v6, 0x10001, v6
	v_pk_fma_f16 v10, v9, v11, v10
	s_delay_alu instid0(VALU_DEP_4) | instskip(NEXT) | instid1(VALU_DEP_4)
	v_mul_u32_u24_e32 v12, 0x10001, v12
	v_mul_u32_u24_e32 v7, 0x10001, v7
	s_delay_alu instid0(VALU_DEP_4) | instskip(NEXT) | instid1(VALU_DEP_3)
	v_pk_fma_f16 v13, v9, v6, v4
	v_pk_fma_f16 v12, v9, v12, v8
	s_delay_alu instid0(VALU_DEP_3)
	v_pk_fma_f16 v11, v9, v7, v5
	ds_load_2addr_b32 v[8:9], v94 offset1:32
	ds_load_b128 v[4:7], v85 offset:384
	s_wait_dscnt 0x0
	v_lshrrev_b32_e32 v15, 16, v5
	v_and_b32_e32 v5, 0xffff, v5
	v_lshrrev_b32_e32 v14, 16, v4
	v_and_b32_e32 v4, 0xffff, v4
	s_delay_alu instid0(VALU_DEP_3) | instskip(NEXT) | instid1(VALU_DEP_3)
	v_mul_u32_u24_e32 v5, 0x10001, v5
	v_mul_u32_u24_e32 v14, 0x10001, v14
	s_delay_alu instid0(VALU_DEP_3) | instskip(NEXT) | instid1(VALU_DEP_3)
	v_mul_u32_u24_e32 v4, 0x10001, v4
	v_pk_fma_f16 v5, v8, v5, v11
	v_lshrrev_b32_e32 v11, 16, v6
	v_mul_u32_u24_e32 v15, 0x10001, v15
	s_delay_alu instid0(VALU_DEP_4)
	v_pk_fma_f16 v4, v8, v4, v13
	v_pk_fma_f16 v10, v8, v14, v10
	v_and_b32_e32 v6, 0xffff, v6
	v_mul_u32_u24_e32 v11, 0x10001, v11
	v_pk_fma_f16 v8, v8, v15, v12
	v_lshrrev_b32_e32 v12, 16, v7
	v_and_b32_e32 v7, 0xffff, v7
	v_mul_u32_u24_e32 v6, 0x10001, v6
	v_pk_fma_f16 v10, v9, v11, v10
	s_delay_alu instid0(VALU_DEP_4) | instskip(NEXT) | instid1(VALU_DEP_4)
	v_mul_u32_u24_e32 v12, 0x10001, v12
	v_mul_u32_u24_e32 v7, 0x10001, v7
	s_delay_alu instid0(VALU_DEP_4) | instskip(NEXT) | instid1(VALU_DEP_3)
	v_pk_fma_f16 v13, v9, v6, v4
	v_pk_fma_f16 v12, v9, v12, v8
	s_delay_alu instid0(VALU_DEP_3)
	v_pk_fma_f16 v11, v9, v7, v5
	ds_load_2addr_b32 v[8:9], v94 offset0:64 offset1:96
	ds_load_b128 v[4:7], v85 offset:400
	s_wait_dscnt 0x0
	v_lshrrev_b32_e32 v15, 16, v5
	v_and_b32_e32 v5, 0xffff, v5
	v_lshrrev_b32_e32 v14, 16, v4
	v_and_b32_e32 v4, 0xffff, v4
	s_delay_alu instid0(VALU_DEP_3) | instskip(NEXT) | instid1(VALU_DEP_3)
	v_mul_u32_u24_e32 v5, 0x10001, v5
	v_mul_u32_u24_e32 v14, 0x10001, v14
	s_delay_alu instid0(VALU_DEP_3) | instskip(NEXT) | instid1(VALU_DEP_3)
	v_mul_u32_u24_e32 v4, 0x10001, v4
	v_pk_fma_f16 v5, v8, v5, v11
	v_lshrrev_b32_e32 v11, 16, v6
	v_mul_u32_u24_e32 v15, 0x10001, v15
	s_delay_alu instid0(VALU_DEP_4)
	v_pk_fma_f16 v4, v8, v4, v13
	v_pk_fma_f16 v10, v8, v14, v10
	v_and_b32_e32 v6, 0xffff, v6
	v_mul_u32_u24_e32 v11, 0x10001, v11
	v_pk_fma_f16 v8, v8, v15, v12
	v_lshrrev_b32_e32 v12, 16, v7
	v_and_b32_e32 v7, 0xffff, v7
	v_mul_u32_u24_e32 v6, 0x10001, v6
	v_pk_fma_f16 v10, v9, v11, v10
	s_delay_alu instid0(VALU_DEP_4) | instskip(NEXT) | instid1(VALU_DEP_4)
	v_mul_u32_u24_e32 v12, 0x10001, v12
	v_mul_u32_u24_e32 v7, 0x10001, v7
	s_delay_alu instid0(VALU_DEP_4) | instskip(NEXT) | instid1(VALU_DEP_3)
	v_pk_fma_f16 v13, v9, v6, v4
	v_pk_fma_f16 v12, v9, v12, v8
	s_delay_alu instid0(VALU_DEP_3)
	v_pk_fma_f16 v11, v9, v7, v5
	ds_load_2addr_b32 v[8:9], v94 offset0:128 offset1:160
	;; [unrolled: 33-line block ×3, first 2 shown]
	ds_load_b128 v[4:7], v85 offset:432
	s_wait_dscnt 0x0
	v_lshrrev_b32_e32 v15, 16, v5
	v_and_b32_e32 v5, 0xffff, v5
	v_lshrrev_b32_e32 v14, 16, v4
	v_and_b32_e32 v4, 0xffff, v4
	s_delay_alu instid0(VALU_DEP_3) | instskip(NEXT) | instid1(VALU_DEP_3)
	v_mul_u32_u24_e32 v5, 0x10001, v5
	v_mul_u32_u24_e32 v14, 0x10001, v14
	s_delay_alu instid0(VALU_DEP_3) | instskip(NEXT) | instid1(VALU_DEP_3)
	v_mul_u32_u24_e32 v4, 0x10001, v4
	v_pk_fma_f16 v5, v8, v5, v11
	v_lshrrev_b32_e32 v11, 16, v6
	v_mul_u32_u24_e32 v15, 0x10001, v15
	s_delay_alu instid0(VALU_DEP_4)
	v_pk_fma_f16 v4, v8, v4, v13
	v_pk_fma_f16 v10, v8, v14, v10
	v_and_b32_e32 v6, 0xffff, v6
	v_mul_u32_u24_e32 v11, 0x10001, v11
	v_pk_fma_f16 v8, v8, v15, v12
	v_lshrrev_b32_e32 v12, 16, v7
	v_and_b32_e32 v7, 0xffff, v7
	v_mul_u32_u24_e32 v6, 0x10001, v6
	v_pk_fma_f16 v10, v9, v11, v10
	s_delay_alu instid0(VALU_DEP_4) | instskip(NEXT) | instid1(VALU_DEP_4)
	v_mul_u32_u24_e32 v12, 0x10001, v12
	v_mul_u32_u24_e32 v7, 0x10001, v7
	s_delay_alu instid0(VALU_DEP_4) | instskip(NEXT) | instid1(VALU_DEP_3)
	v_pk_fma_f16 v13, v9, v6, v4
	v_pk_fma_f16 v12, v9, v12, v8
	s_delay_alu instid0(VALU_DEP_3)
	v_pk_fma_f16 v11, v9, v7, v5
	ds_load_2addr_b32 v[8:9], v95 offset1:32
	ds_load_b128 v[4:7], v85 offset:448
	s_wait_dscnt 0x0
	v_lshrrev_b32_e32 v15, 16, v5
	v_and_b32_e32 v5, 0xffff, v5
	v_lshrrev_b32_e32 v14, 16, v4
	v_and_b32_e32 v4, 0xffff, v4
	s_delay_alu instid0(VALU_DEP_3) | instskip(NEXT) | instid1(VALU_DEP_3)
	v_mul_u32_u24_e32 v5, 0x10001, v5
	v_mul_u32_u24_e32 v14, 0x10001, v14
	s_delay_alu instid0(VALU_DEP_3) | instskip(NEXT) | instid1(VALU_DEP_3)
	v_mul_u32_u24_e32 v4, 0x10001, v4
	v_pk_fma_f16 v5, v8, v5, v11
	v_lshrrev_b32_e32 v11, 16, v6
	v_mul_u32_u24_e32 v15, 0x10001, v15
	s_delay_alu instid0(VALU_DEP_4)
	v_pk_fma_f16 v4, v8, v4, v13
	v_pk_fma_f16 v10, v8, v14, v10
	v_and_b32_e32 v6, 0xffff, v6
	v_mul_u32_u24_e32 v11, 0x10001, v11
	v_pk_fma_f16 v8, v8, v15, v12
	v_lshrrev_b32_e32 v12, 16, v7
	v_and_b32_e32 v7, 0xffff, v7
	v_mul_u32_u24_e32 v6, 0x10001, v6
	v_pk_fma_f16 v10, v9, v11, v10
	s_delay_alu instid0(VALU_DEP_4) | instskip(NEXT) | instid1(VALU_DEP_4)
	v_mul_u32_u24_e32 v12, 0x10001, v12
	v_mul_u32_u24_e32 v7, 0x10001, v7
	s_delay_alu instid0(VALU_DEP_4) | instskip(NEXT) | instid1(VALU_DEP_3)
	v_pk_fma_f16 v13, v9, v6, v4
	v_pk_fma_f16 v12, v9, v12, v8
	s_delay_alu instid0(VALU_DEP_3)
	v_pk_fma_f16 v11, v9, v7, v5
	ds_load_2addr_b32 v[8:9], v95 offset0:64 offset1:96
	ds_load_b128 v[4:7], v85 offset:464
	s_wait_dscnt 0x0
	v_lshrrev_b32_e32 v15, 16, v5
	v_and_b32_e32 v5, 0xffff, v5
	v_lshrrev_b32_e32 v14, 16, v4
	v_and_b32_e32 v4, 0xffff, v4
	s_delay_alu instid0(VALU_DEP_3) | instskip(NEXT) | instid1(VALU_DEP_3)
	v_mul_u32_u24_e32 v5, 0x10001, v5
	v_mul_u32_u24_e32 v14, 0x10001, v14
	s_delay_alu instid0(VALU_DEP_3) | instskip(NEXT) | instid1(VALU_DEP_3)
	v_mul_u32_u24_e32 v4, 0x10001, v4
	v_pk_fma_f16 v5, v8, v5, v11
	v_lshrrev_b32_e32 v11, 16, v6
	v_mul_u32_u24_e32 v15, 0x10001, v15
	s_delay_alu instid0(VALU_DEP_4)
	v_pk_fma_f16 v4, v8, v4, v13
	v_pk_fma_f16 v10, v8, v14, v10
	v_and_b32_e32 v6, 0xffff, v6
	v_mul_u32_u24_e32 v11, 0x10001, v11
	v_pk_fma_f16 v8, v8, v15, v12
	v_lshrrev_b32_e32 v12, 16, v7
	v_and_b32_e32 v7, 0xffff, v7
	v_mul_u32_u24_e32 v6, 0x10001, v6
	v_pk_fma_f16 v10, v9, v11, v10
	s_delay_alu instid0(VALU_DEP_4) | instskip(NEXT) | instid1(VALU_DEP_4)
	v_mul_u32_u24_e32 v12, 0x10001, v12
	v_mul_u32_u24_e32 v7, 0x10001, v7
	s_delay_alu instid0(VALU_DEP_4) | instskip(NEXT) | instid1(VALU_DEP_3)
	v_pk_fma_f16 v13, v9, v6, v4
	v_pk_fma_f16 v12, v9, v12, v8
	s_delay_alu instid0(VALU_DEP_3)
	v_pk_fma_f16 v11, v9, v7, v5
	ds_load_2addr_b32 v[8:9], v95 offset0:128 offset1:160
	;; [unrolled: 33-line block ×3, first 2 shown]
	ds_load_b128 v[4:7], v85 offset:496
	s_wait_dscnt 0x0
	v_lshrrev_b32_e32 v15, 16, v5
	v_and_b32_e32 v5, 0xffff, v5
	v_lshrrev_b32_e32 v14, 16, v4
	v_and_b32_e32 v4, 0xffff, v4
	s_delay_alu instid0(VALU_DEP_3) | instskip(NEXT) | instid1(VALU_DEP_3)
	v_mul_u32_u24_e32 v5, 0x10001, v5
	v_mul_u32_u24_e32 v14, 0x10001, v14
	s_delay_alu instid0(VALU_DEP_3) | instskip(NEXT) | instid1(VALU_DEP_3)
	v_mul_u32_u24_e32 v4, 0x10001, v4
	v_pk_fma_f16 v5, v8, v5, v11
	v_lshrrev_b32_e32 v11, 16, v6
	v_mul_u32_u24_e32 v15, 0x10001, v15
	s_delay_alu instid0(VALU_DEP_4)
	v_pk_fma_f16 v4, v8, v4, v13
	v_pk_fma_f16 v10, v8, v14, v10
	v_and_b32_e32 v6, 0xffff, v6
	v_mul_u32_u24_e32 v11, 0x10001, v11
	v_pk_fma_f16 v8, v8, v15, v12
	v_lshrrev_b32_e32 v12, 16, v7
	v_and_b32_e32 v7, 0xffff, v7
	v_mul_u32_u24_e32 v6, 0x10001, v6
	v_pk_fma_f16 v10, v9, v11, v10
	s_delay_alu instid0(VALU_DEP_4) | instskip(NEXT) | instid1(VALU_DEP_4)
	v_mul_u32_u24_e32 v12, 0x10001, v12
	v_mul_u32_u24_e32 v7, 0x10001, v7
	s_delay_alu instid0(VALU_DEP_4) | instskip(NEXT) | instid1(VALU_DEP_3)
	v_pk_fma_f16 v13, v9, v6, v4
	v_pk_fma_f16 v12, v9, v12, v8
	s_delay_alu instid0(VALU_DEP_3)
	v_pk_fma_f16 v11, v9, v7, v5
	ds_load_2addr_b32 v[8:9], v96 offset1:32
	ds_load_b128 v[4:7], v85 offset:512
	s_wait_dscnt 0x0
	v_lshrrev_b32_e32 v15, 16, v5
	v_and_b32_e32 v5, 0xffff, v5
	v_lshrrev_b32_e32 v14, 16, v4
	v_and_b32_e32 v4, 0xffff, v4
	s_delay_alu instid0(VALU_DEP_3) | instskip(NEXT) | instid1(VALU_DEP_3)
	v_mul_u32_u24_e32 v5, 0x10001, v5
	v_mul_u32_u24_e32 v14, 0x10001, v14
	s_delay_alu instid0(VALU_DEP_3) | instskip(NEXT) | instid1(VALU_DEP_3)
	v_mul_u32_u24_e32 v4, 0x10001, v4
	v_pk_fma_f16 v5, v8, v5, v11
	v_lshrrev_b32_e32 v11, 16, v6
	v_mul_u32_u24_e32 v15, 0x10001, v15
	s_delay_alu instid0(VALU_DEP_4)
	v_pk_fma_f16 v4, v8, v4, v13
	v_pk_fma_f16 v10, v8, v14, v10
	v_and_b32_e32 v6, 0xffff, v6
	v_mul_u32_u24_e32 v11, 0x10001, v11
	v_pk_fma_f16 v8, v8, v15, v12
	v_lshrrev_b32_e32 v12, 16, v7
	v_and_b32_e32 v7, 0xffff, v7
	v_mul_u32_u24_e32 v6, 0x10001, v6
	v_pk_fma_f16 v10, v9, v11, v10
	s_delay_alu instid0(VALU_DEP_4) | instskip(NEXT) | instid1(VALU_DEP_4)
	v_mul_u32_u24_e32 v12, 0x10001, v12
	v_mul_u32_u24_e32 v7, 0x10001, v7
	s_delay_alu instid0(VALU_DEP_4) | instskip(NEXT) | instid1(VALU_DEP_3)
	v_pk_fma_f16 v13, v9, v6, v4
	v_pk_fma_f16 v12, v9, v12, v8
	s_delay_alu instid0(VALU_DEP_3)
	v_pk_fma_f16 v11, v9, v7, v5
	ds_load_2addr_b32 v[4:5], v96 offset0:64 offset1:96
	ds_load_b128 v[6:9], v85 offset:528
	s_wait_dscnt 0x0
	v_lshrrev_b32_e32 v15, 16, v7
	v_and_b32_e32 v7, 0xffff, v7
	v_lshrrev_b32_e32 v14, 16, v6
	v_and_b32_e32 v6, 0xffff, v6
	s_delay_alu instid0(VALU_DEP_3) | instskip(NEXT) | instid1(VALU_DEP_3)
	v_mul_u32_u24_e32 v7, 0x10001, v7
	v_mul_u32_u24_e32 v14, 0x10001, v14
	s_delay_alu instid0(VALU_DEP_3) | instskip(NEXT) | instid1(VALU_DEP_3)
	v_mul_u32_u24_e32 v6, 0x10001, v6
	v_pk_fma_f16 v7, v4, v7, v11
	v_lshrrev_b32_e32 v11, 16, v8
	v_mul_u32_u24_e32 v15, 0x10001, v15
	s_delay_alu instid0(VALU_DEP_4)
	v_pk_fma_f16 v6, v4, v6, v13
	v_pk_fma_f16 v10, v4, v14, v10
	v_and_b32_e32 v8, 0xffff, v8
	v_mul_u32_u24_e32 v11, 0x10001, v11
	v_pk_fma_f16 v4, v4, v15, v12
	v_lshrrev_b32_e32 v12, 16, v9
	v_and_b32_e32 v9, 0xffff, v9
	v_mul_u32_u24_e32 v8, 0x10001, v8
	v_pk_fma_f16 v10, v5, v11, v10
	s_delay_alu instid0(VALU_DEP_4) | instskip(NEXT) | instid1(VALU_DEP_4)
	v_mul_u32_u24_e32 v12, 0x10001, v12
	v_mul_u32_u24_e32 v9, 0x10001, v9
	s_delay_alu instid0(VALU_DEP_4) | instskip(NEXT) | instid1(VALU_DEP_3)
	v_pk_fma_f16 v13, v5, v8, v6
	v_pk_fma_f16 v12, v5, v12, v4
	s_delay_alu instid0(VALU_DEP_3)
	v_pk_fma_f16 v11, v5, v9, v7
	ds_load_2addr_b32 v[8:9], v96 offset0:128 offset1:160
	;; [unrolled: 33-line block ×3, first 2 shown]
	ds_load_b128 v[6:9], v85 offset:560
	s_wait_dscnt 0x0
	v_lshrrev_b32_e32 v15, 16, v7
	v_and_b32_e32 v7, 0xffff, v7
	v_lshrrev_b32_e32 v14, 16, v6
	v_and_b32_e32 v6, 0xffff, v6
	s_delay_alu instid0(VALU_DEP_3) | instskip(NEXT) | instid1(VALU_DEP_3)
	v_mul_u32_u24_e32 v7, 0x10001, v7
	v_mul_u32_u24_e32 v14, 0x10001, v14
	s_delay_alu instid0(VALU_DEP_3) | instskip(NEXT) | instid1(VALU_DEP_3)
	v_mul_u32_u24_e32 v6, 0x10001, v6
	v_pk_fma_f16 v7, v4, v7, v11
	v_lshrrev_b32_e32 v11, 16, v8
	v_mul_u32_u24_e32 v15, 0x10001, v15
	s_delay_alu instid0(VALU_DEP_4)
	v_pk_fma_f16 v6, v4, v6, v13
	v_pk_fma_f16 v10, v4, v14, v10
	v_and_b32_e32 v8, 0xffff, v8
	v_mul_u32_u24_e32 v11, 0x10001, v11
	v_pk_fma_f16 v4, v4, v15, v12
	v_lshrrev_b32_e32 v12, 16, v9
	v_and_b32_e32 v9, 0xffff, v9
	v_mul_u32_u24_e32 v8, 0x10001, v8
	v_pk_fma_f16 v10, v5, v11, v10
	s_delay_alu instid0(VALU_DEP_4) | instskip(NEXT) | instid1(VALU_DEP_4)
	v_mul_u32_u24_e32 v12, 0x10001, v12
	v_mul_u32_u24_e32 v9, 0x10001, v9
	s_delay_alu instid0(VALU_DEP_4) | instskip(NEXT) | instid1(VALU_DEP_3)
	v_pk_fma_f16 v13, v5, v8, v6
	v_pk_fma_f16 v12, v5, v12, v4
	s_delay_alu instid0(VALU_DEP_3)
	v_pk_fma_f16 v11, v5, v9, v7
	ds_load_2addr_b32 v[8:9], v97 offset1:32
	ds_load_b128 v[4:7], v85 offset:576
	s_wait_dscnt 0x0
	v_lshrrev_b32_e32 v15, 16, v5
	v_and_b32_e32 v5, 0xffff, v5
	v_lshrrev_b32_e32 v14, 16, v4
	v_and_b32_e32 v4, 0xffff, v4
	s_delay_alu instid0(VALU_DEP_3) | instskip(NEXT) | instid1(VALU_DEP_3)
	v_mul_u32_u24_e32 v5, 0x10001, v5
	v_mul_u32_u24_e32 v14, 0x10001, v14
	s_delay_alu instid0(VALU_DEP_3) | instskip(NEXT) | instid1(VALU_DEP_3)
	v_mul_u32_u24_e32 v4, 0x10001, v4
	v_pk_fma_f16 v5, v8, v5, v11
	v_lshrrev_b32_e32 v11, 16, v6
	v_mul_u32_u24_e32 v15, 0x10001, v15
	s_delay_alu instid0(VALU_DEP_4)
	v_pk_fma_f16 v4, v8, v4, v13
	v_pk_fma_f16 v10, v8, v14, v10
	v_and_b32_e32 v6, 0xffff, v6
	v_mul_u32_u24_e32 v11, 0x10001, v11
	v_pk_fma_f16 v8, v8, v15, v12
	v_lshrrev_b32_e32 v12, 16, v7
	v_and_b32_e32 v7, 0xffff, v7
	v_mul_u32_u24_e32 v6, 0x10001, v6
	v_pk_fma_f16 v10, v9, v11, v10
	s_delay_alu instid0(VALU_DEP_4) | instskip(NEXT) | instid1(VALU_DEP_4)
	v_mul_u32_u24_e32 v12, 0x10001, v12
	v_mul_u32_u24_e32 v7, 0x10001, v7
	s_delay_alu instid0(VALU_DEP_4) | instskip(NEXT) | instid1(VALU_DEP_3)
	v_pk_fma_f16 v13, v9, v6, v4
	v_pk_fma_f16 v12, v9, v12, v8
	s_delay_alu instid0(VALU_DEP_3)
	v_pk_fma_f16 v11, v9, v7, v5
	ds_load_2addr_b32 v[4:5], v97 offset0:64 offset1:96
	ds_load_b128 v[6:9], v85 offset:592
	s_wait_dscnt 0x0
	v_lshrrev_b32_e32 v15, 16, v7
	v_and_b32_e32 v7, 0xffff, v7
	v_lshrrev_b32_e32 v14, 16, v6
	v_and_b32_e32 v6, 0xffff, v6
	s_delay_alu instid0(VALU_DEP_3) | instskip(NEXT) | instid1(VALU_DEP_3)
	v_mul_u32_u24_e32 v7, 0x10001, v7
	v_mul_u32_u24_e32 v14, 0x10001, v14
	s_delay_alu instid0(VALU_DEP_3) | instskip(NEXT) | instid1(VALU_DEP_3)
	v_mul_u32_u24_e32 v6, 0x10001, v6
	v_pk_fma_f16 v7, v4, v7, v11
	v_lshrrev_b32_e32 v11, 16, v8
	v_mul_u32_u24_e32 v15, 0x10001, v15
	s_delay_alu instid0(VALU_DEP_4)
	v_pk_fma_f16 v6, v4, v6, v13
	v_pk_fma_f16 v10, v4, v14, v10
	v_and_b32_e32 v8, 0xffff, v8
	v_mul_u32_u24_e32 v11, 0x10001, v11
	v_pk_fma_f16 v4, v4, v15, v12
	v_lshrrev_b32_e32 v12, 16, v9
	v_and_b32_e32 v9, 0xffff, v9
	v_mul_u32_u24_e32 v8, 0x10001, v8
	v_pk_fma_f16 v10, v5, v11, v10
	s_delay_alu instid0(VALU_DEP_4) | instskip(NEXT) | instid1(VALU_DEP_4)
	v_mul_u32_u24_e32 v12, 0x10001, v12
	v_mul_u32_u24_e32 v9, 0x10001, v9
	s_delay_alu instid0(VALU_DEP_4) | instskip(NEXT) | instid1(VALU_DEP_3)
	v_pk_fma_f16 v13, v5, v8, v6
	v_pk_fma_f16 v12, v5, v12, v4
	s_delay_alu instid0(VALU_DEP_3)
	v_pk_fma_f16 v11, v5, v9, v7
	ds_load_2addr_b32 v[8:9], v97 offset0:128 offset1:160
	;; [unrolled: 33-line block ×3, first 2 shown]
	ds_load_b128 v[6:9], v85 offset:624
	s_wait_dscnt 0x0
	v_lshrrev_b32_e32 v15, 16, v7
	v_and_b32_e32 v7, 0xffff, v7
	v_lshrrev_b32_e32 v14, 16, v6
	v_and_b32_e32 v6, 0xffff, v6
	s_delay_alu instid0(VALU_DEP_3) | instskip(NEXT) | instid1(VALU_DEP_3)
	v_mul_u32_u24_e32 v7, 0x10001, v7
	v_mul_u32_u24_e32 v14, 0x10001, v14
	s_delay_alu instid0(VALU_DEP_3) | instskip(NEXT) | instid1(VALU_DEP_3)
	v_mul_u32_u24_e32 v6, 0x10001, v6
	v_pk_fma_f16 v7, v4, v7, v11
	v_lshrrev_b32_e32 v11, 16, v8
	v_mul_u32_u24_e32 v15, 0x10001, v15
	s_delay_alu instid0(VALU_DEP_4)
	v_pk_fma_f16 v6, v4, v6, v13
	v_pk_fma_f16 v10, v4, v14, v10
	v_and_b32_e32 v8, 0xffff, v8
	v_mul_u32_u24_e32 v11, 0x10001, v11
	v_pk_fma_f16 v4, v4, v15, v12
	v_lshrrev_b32_e32 v12, 16, v9
	v_and_b32_e32 v9, 0xffff, v9
	v_mul_u32_u24_e32 v8, 0x10001, v8
	v_pk_fma_f16 v10, v5, v11, v10
	s_delay_alu instid0(VALU_DEP_4) | instskip(NEXT) | instid1(VALU_DEP_4)
	v_mul_u32_u24_e32 v12, 0x10001, v12
	v_mul_u32_u24_e32 v9, 0x10001, v9
	s_delay_alu instid0(VALU_DEP_4) | instskip(NEXT) | instid1(VALU_DEP_3)
	v_pk_fma_f16 v13, v5, v8, v6
	v_pk_fma_f16 v12, v5, v12, v4
	s_delay_alu instid0(VALU_DEP_3)
	v_pk_fma_f16 v11, v5, v9, v7
	ds_load_2addr_b32 v[8:9], v98 offset1:32
	ds_load_b128 v[4:7], v85 offset:640
	s_wait_dscnt 0x0
	v_lshrrev_b32_e32 v15, 16, v5
	v_and_b32_e32 v5, 0xffff, v5
	v_lshrrev_b32_e32 v14, 16, v4
	v_and_b32_e32 v4, 0xffff, v4
	s_delay_alu instid0(VALU_DEP_3) | instskip(NEXT) | instid1(VALU_DEP_3)
	v_mul_u32_u24_e32 v5, 0x10001, v5
	v_mul_u32_u24_e32 v14, 0x10001, v14
	s_delay_alu instid0(VALU_DEP_3) | instskip(NEXT) | instid1(VALU_DEP_3)
	v_mul_u32_u24_e32 v4, 0x10001, v4
	v_pk_fma_f16 v5, v8, v5, v11
	v_lshrrev_b32_e32 v11, 16, v6
	v_mul_u32_u24_e32 v15, 0x10001, v15
	s_delay_alu instid0(VALU_DEP_4)
	v_pk_fma_f16 v4, v8, v4, v13
	v_pk_fma_f16 v10, v8, v14, v10
	v_and_b32_e32 v6, 0xffff, v6
	v_mul_u32_u24_e32 v11, 0x10001, v11
	v_pk_fma_f16 v8, v8, v15, v12
	v_lshrrev_b32_e32 v12, 16, v7
	v_and_b32_e32 v7, 0xffff, v7
	v_mul_u32_u24_e32 v6, 0x10001, v6
	v_pk_fma_f16 v10, v9, v11, v10
	s_delay_alu instid0(VALU_DEP_4) | instskip(NEXT) | instid1(VALU_DEP_4)
	v_mul_u32_u24_e32 v12, 0x10001, v12
	v_mul_u32_u24_e32 v7, 0x10001, v7
	s_delay_alu instid0(VALU_DEP_4) | instskip(NEXT) | instid1(VALU_DEP_3)
	v_pk_fma_f16 v13, v9, v6, v4
	v_pk_fma_f16 v12, v9, v12, v8
	s_delay_alu instid0(VALU_DEP_3)
	v_pk_fma_f16 v11, v9, v7, v5
	ds_load_2addr_b32 v[4:5], v98 offset0:64 offset1:96
	ds_load_b128 v[6:9], v85 offset:656
	s_wait_dscnt 0x0
	v_lshrrev_b32_e32 v15, 16, v7
	v_and_b32_e32 v7, 0xffff, v7
	v_lshrrev_b32_e32 v14, 16, v6
	v_and_b32_e32 v6, 0xffff, v6
	s_delay_alu instid0(VALU_DEP_3) | instskip(NEXT) | instid1(VALU_DEP_3)
	v_mul_u32_u24_e32 v7, 0x10001, v7
	v_mul_u32_u24_e32 v14, 0x10001, v14
	s_delay_alu instid0(VALU_DEP_3) | instskip(NEXT) | instid1(VALU_DEP_3)
	v_mul_u32_u24_e32 v6, 0x10001, v6
	v_pk_fma_f16 v7, v4, v7, v11
	v_lshrrev_b32_e32 v11, 16, v8
	v_mul_u32_u24_e32 v15, 0x10001, v15
	s_delay_alu instid0(VALU_DEP_4)
	v_pk_fma_f16 v6, v4, v6, v13
	v_pk_fma_f16 v10, v4, v14, v10
	v_and_b32_e32 v8, 0xffff, v8
	v_mul_u32_u24_e32 v11, 0x10001, v11
	v_pk_fma_f16 v4, v4, v15, v12
	v_lshrrev_b32_e32 v12, 16, v9
	v_and_b32_e32 v9, 0xffff, v9
	v_mul_u32_u24_e32 v8, 0x10001, v8
	v_pk_fma_f16 v10, v5, v11, v10
	s_delay_alu instid0(VALU_DEP_4) | instskip(NEXT) | instid1(VALU_DEP_4)
	v_mul_u32_u24_e32 v12, 0x10001, v12
	v_mul_u32_u24_e32 v9, 0x10001, v9
	s_delay_alu instid0(VALU_DEP_4) | instskip(NEXT) | instid1(VALU_DEP_3)
	v_pk_fma_f16 v13, v5, v8, v6
	v_pk_fma_f16 v12, v5, v12, v4
	s_delay_alu instid0(VALU_DEP_3)
	v_pk_fma_f16 v11, v5, v9, v7
	ds_load_2addr_b32 v[8:9], v98 offset0:128 offset1:160
	;; [unrolled: 33-line block ×3, first 2 shown]
	ds_load_b128 v[6:9], v85 offset:688
	s_wait_dscnt 0x0
	v_lshrrev_b32_e32 v15, 16, v7
	v_and_b32_e32 v7, 0xffff, v7
	v_lshrrev_b32_e32 v14, 16, v6
	v_and_b32_e32 v6, 0xffff, v6
	s_delay_alu instid0(VALU_DEP_3) | instskip(NEXT) | instid1(VALU_DEP_3)
	v_mul_u32_u24_e32 v7, 0x10001, v7
	v_mul_u32_u24_e32 v14, 0x10001, v14
	s_delay_alu instid0(VALU_DEP_3) | instskip(NEXT) | instid1(VALU_DEP_3)
	v_mul_u32_u24_e32 v6, 0x10001, v6
	v_pk_fma_f16 v7, v4, v7, v11
	v_lshrrev_b32_e32 v11, 16, v8
	v_mul_u32_u24_e32 v15, 0x10001, v15
	s_delay_alu instid0(VALU_DEP_4)
	v_pk_fma_f16 v6, v4, v6, v13
	v_pk_fma_f16 v10, v4, v14, v10
	v_and_b32_e32 v8, 0xffff, v8
	v_mul_u32_u24_e32 v11, 0x10001, v11
	v_pk_fma_f16 v4, v4, v15, v12
	v_lshrrev_b32_e32 v12, 16, v9
	v_and_b32_e32 v9, 0xffff, v9
	v_mul_u32_u24_e32 v8, 0x10001, v8
	v_pk_fma_f16 v10, v5, v11, v10
	s_delay_alu instid0(VALU_DEP_4) | instskip(NEXT) | instid1(VALU_DEP_4)
	v_mul_u32_u24_e32 v12, 0x10001, v12
	v_mul_u32_u24_e32 v9, 0x10001, v9
	s_delay_alu instid0(VALU_DEP_4) | instskip(NEXT) | instid1(VALU_DEP_3)
	v_pk_fma_f16 v13, v5, v8, v6
	v_pk_fma_f16 v12, v5, v12, v4
	s_delay_alu instid0(VALU_DEP_3)
	v_pk_fma_f16 v11, v5, v9, v7
	ds_load_2addr_b32 v[8:9], v99 offset1:32
	ds_load_b128 v[4:7], v85 offset:704
	s_wait_dscnt 0x0
	v_lshrrev_b32_e32 v15, 16, v5
	v_and_b32_e32 v5, 0xffff, v5
	v_lshrrev_b32_e32 v14, 16, v4
	v_and_b32_e32 v4, 0xffff, v4
	s_delay_alu instid0(VALU_DEP_3) | instskip(NEXT) | instid1(VALU_DEP_3)
	v_mul_u32_u24_e32 v5, 0x10001, v5
	v_mul_u32_u24_e32 v14, 0x10001, v14
	s_delay_alu instid0(VALU_DEP_3) | instskip(NEXT) | instid1(VALU_DEP_3)
	v_mul_u32_u24_e32 v4, 0x10001, v4
	v_pk_fma_f16 v5, v8, v5, v11
	v_lshrrev_b32_e32 v11, 16, v6
	v_mul_u32_u24_e32 v15, 0x10001, v15
	s_delay_alu instid0(VALU_DEP_4)
	v_pk_fma_f16 v4, v8, v4, v13
	v_pk_fma_f16 v10, v8, v14, v10
	v_and_b32_e32 v6, 0xffff, v6
	v_mul_u32_u24_e32 v11, 0x10001, v11
	v_pk_fma_f16 v8, v8, v15, v12
	v_lshrrev_b32_e32 v12, 16, v7
	v_and_b32_e32 v7, 0xffff, v7
	v_mul_u32_u24_e32 v6, 0x10001, v6
	v_pk_fma_f16 v10, v9, v11, v10
	s_delay_alu instid0(VALU_DEP_4) | instskip(NEXT) | instid1(VALU_DEP_4)
	v_mul_u32_u24_e32 v12, 0x10001, v12
	v_mul_u32_u24_e32 v7, 0x10001, v7
	s_delay_alu instid0(VALU_DEP_4) | instskip(NEXT) | instid1(VALU_DEP_3)
	v_pk_fma_f16 v13, v9, v6, v4
	v_pk_fma_f16 v12, v9, v12, v8
	s_delay_alu instid0(VALU_DEP_3)
	v_pk_fma_f16 v11, v9, v7, v5
	ds_load_2addr_b32 v[4:5], v99 offset0:64 offset1:96
	ds_load_b128 v[6:9], v85 offset:720
	s_wait_dscnt 0x0
	v_lshrrev_b32_e32 v15, 16, v7
	v_and_b32_e32 v7, 0xffff, v7
	v_lshrrev_b32_e32 v14, 16, v6
	v_and_b32_e32 v6, 0xffff, v6
	s_delay_alu instid0(VALU_DEP_3) | instskip(NEXT) | instid1(VALU_DEP_3)
	v_mul_u32_u24_e32 v7, 0x10001, v7
	v_mul_u32_u24_e32 v14, 0x10001, v14
	s_delay_alu instid0(VALU_DEP_3) | instskip(NEXT) | instid1(VALU_DEP_3)
	v_mul_u32_u24_e32 v6, 0x10001, v6
	v_pk_fma_f16 v7, v4, v7, v11
	v_lshrrev_b32_e32 v11, 16, v8
	v_mul_u32_u24_e32 v15, 0x10001, v15
	s_delay_alu instid0(VALU_DEP_4)
	v_pk_fma_f16 v6, v4, v6, v13
	v_pk_fma_f16 v10, v4, v14, v10
	v_and_b32_e32 v8, 0xffff, v8
	v_mul_u32_u24_e32 v11, 0x10001, v11
	v_pk_fma_f16 v4, v4, v15, v12
	v_lshrrev_b32_e32 v12, 16, v9
	v_and_b32_e32 v9, 0xffff, v9
	v_mul_u32_u24_e32 v8, 0x10001, v8
	v_pk_fma_f16 v10, v5, v11, v10
	s_delay_alu instid0(VALU_DEP_4) | instskip(NEXT) | instid1(VALU_DEP_4)
	v_mul_u32_u24_e32 v12, 0x10001, v12
	v_mul_u32_u24_e32 v9, 0x10001, v9
	s_delay_alu instid0(VALU_DEP_4) | instskip(NEXT) | instid1(VALU_DEP_3)
	v_pk_fma_f16 v13, v5, v8, v6
	v_pk_fma_f16 v12, v5, v12, v4
	s_delay_alu instid0(VALU_DEP_3)
	v_pk_fma_f16 v11, v5, v9, v7
	ds_load_2addr_b32 v[8:9], v99 offset0:128 offset1:160
	;; [unrolled: 33-line block ×3, first 2 shown]
	ds_load_b128 v[6:9], v85 offset:752
	s_wait_dscnt 0x0
	v_lshrrev_b32_e32 v15, 16, v7
	v_and_b32_e32 v7, 0xffff, v7
	v_lshrrev_b32_e32 v14, 16, v6
	v_and_b32_e32 v6, 0xffff, v6
	s_delay_alu instid0(VALU_DEP_3) | instskip(NEXT) | instid1(VALU_DEP_3)
	v_mul_u32_u24_e32 v7, 0x10001, v7
	v_mul_u32_u24_e32 v14, 0x10001, v14
	s_delay_alu instid0(VALU_DEP_3) | instskip(NEXT) | instid1(VALU_DEP_3)
	v_mul_u32_u24_e32 v6, 0x10001, v6
	v_pk_fma_f16 v7, v4, v7, v11
	v_lshrrev_b32_e32 v11, 16, v8
	v_mul_u32_u24_e32 v15, 0x10001, v15
	s_delay_alu instid0(VALU_DEP_4)
	v_pk_fma_f16 v6, v4, v6, v13
	v_pk_fma_f16 v10, v4, v14, v10
	v_and_b32_e32 v8, 0xffff, v8
	v_mul_u32_u24_e32 v11, 0x10001, v11
	v_pk_fma_f16 v4, v4, v15, v12
	v_lshrrev_b32_e32 v12, 16, v9
	v_and_b32_e32 v9, 0xffff, v9
	v_mul_u32_u24_e32 v8, 0x10001, v8
	v_pk_fma_f16 v10, v5, v11, v10
	s_delay_alu instid0(VALU_DEP_4) | instskip(NEXT) | instid1(VALU_DEP_4)
	v_mul_u32_u24_e32 v12, 0x10001, v12
	v_mul_u32_u24_e32 v9, 0x10001, v9
	s_delay_alu instid0(VALU_DEP_4) | instskip(NEXT) | instid1(VALU_DEP_3)
	v_pk_fma_f16 v13, v5, v8, v6
	v_pk_fma_f16 v12, v5, v12, v4
	s_delay_alu instid0(VALU_DEP_3)
	v_pk_fma_f16 v11, v5, v9, v7
	ds_load_2addr_b32 v[8:9], v100 offset1:32
	ds_load_b128 v[4:7], v85 offset:768
	s_wait_dscnt 0x0
	v_lshrrev_b32_e32 v15, 16, v5
	v_and_b32_e32 v5, 0xffff, v5
	v_lshrrev_b32_e32 v14, 16, v4
	v_and_b32_e32 v4, 0xffff, v4
	s_delay_alu instid0(VALU_DEP_3) | instskip(NEXT) | instid1(VALU_DEP_3)
	v_mul_u32_u24_e32 v5, 0x10001, v5
	v_mul_u32_u24_e32 v14, 0x10001, v14
	s_delay_alu instid0(VALU_DEP_3) | instskip(NEXT) | instid1(VALU_DEP_3)
	v_mul_u32_u24_e32 v4, 0x10001, v4
	v_pk_fma_f16 v5, v8, v5, v11
	v_lshrrev_b32_e32 v11, 16, v6
	v_mul_u32_u24_e32 v15, 0x10001, v15
	s_delay_alu instid0(VALU_DEP_4)
	v_pk_fma_f16 v4, v8, v4, v13
	v_pk_fma_f16 v10, v8, v14, v10
	v_and_b32_e32 v6, 0xffff, v6
	v_mul_u32_u24_e32 v11, 0x10001, v11
	v_pk_fma_f16 v8, v8, v15, v12
	v_lshrrev_b32_e32 v12, 16, v7
	v_and_b32_e32 v7, 0xffff, v7
	v_mul_u32_u24_e32 v6, 0x10001, v6
	v_pk_fma_f16 v10, v9, v11, v10
	s_delay_alu instid0(VALU_DEP_4) | instskip(NEXT) | instid1(VALU_DEP_4)
	v_mul_u32_u24_e32 v12, 0x10001, v12
	v_mul_u32_u24_e32 v7, 0x10001, v7
	s_delay_alu instid0(VALU_DEP_4) | instskip(NEXT) | instid1(VALU_DEP_3)
	v_pk_fma_f16 v13, v9, v6, v4
	v_pk_fma_f16 v12, v9, v12, v8
	s_delay_alu instid0(VALU_DEP_3)
	v_pk_fma_f16 v11, v9, v7, v5
	ds_load_2addr_b32 v[4:5], v100 offset0:64 offset1:96
	ds_load_b128 v[6:9], v85 offset:784
	s_wait_dscnt 0x0
	v_lshrrev_b32_e32 v15, 16, v7
	v_and_b32_e32 v7, 0xffff, v7
	v_lshrrev_b32_e32 v14, 16, v6
	v_and_b32_e32 v6, 0xffff, v6
	s_delay_alu instid0(VALU_DEP_3) | instskip(NEXT) | instid1(VALU_DEP_3)
	v_mul_u32_u24_e32 v7, 0x10001, v7
	v_mul_u32_u24_e32 v14, 0x10001, v14
	s_delay_alu instid0(VALU_DEP_3) | instskip(NEXT) | instid1(VALU_DEP_3)
	v_mul_u32_u24_e32 v6, 0x10001, v6
	v_pk_fma_f16 v7, v4, v7, v11
	v_lshrrev_b32_e32 v11, 16, v8
	v_mul_u32_u24_e32 v15, 0x10001, v15
	s_delay_alu instid0(VALU_DEP_4)
	v_pk_fma_f16 v6, v4, v6, v13
	v_pk_fma_f16 v10, v4, v14, v10
	v_and_b32_e32 v8, 0xffff, v8
	v_mul_u32_u24_e32 v11, 0x10001, v11
	v_pk_fma_f16 v4, v4, v15, v12
	v_lshrrev_b32_e32 v12, 16, v9
	v_and_b32_e32 v9, 0xffff, v9
	v_mul_u32_u24_e32 v8, 0x10001, v8
	v_pk_fma_f16 v10, v5, v11, v10
	s_delay_alu instid0(VALU_DEP_4) | instskip(NEXT) | instid1(VALU_DEP_4)
	v_mul_u32_u24_e32 v12, 0x10001, v12
	v_mul_u32_u24_e32 v9, 0x10001, v9
	s_delay_alu instid0(VALU_DEP_4) | instskip(NEXT) | instid1(VALU_DEP_3)
	v_pk_fma_f16 v13, v5, v8, v6
	v_pk_fma_f16 v12, v5, v12, v4
	s_delay_alu instid0(VALU_DEP_3)
	v_pk_fma_f16 v11, v5, v9, v7
	ds_load_2addr_b32 v[8:9], v100 offset0:128 offset1:160
	;; [unrolled: 33-line block ×3, first 2 shown]
	ds_load_b128 v[6:9], v85 offset:816
	s_wait_dscnt 0x0
	v_lshrrev_b32_e32 v15, 16, v7
	v_and_b32_e32 v7, 0xffff, v7
	v_lshrrev_b32_e32 v14, 16, v6
	v_and_b32_e32 v6, 0xffff, v6
	s_delay_alu instid0(VALU_DEP_3) | instskip(NEXT) | instid1(VALU_DEP_3)
	v_mul_u32_u24_e32 v7, 0x10001, v7
	v_mul_u32_u24_e32 v14, 0x10001, v14
	s_delay_alu instid0(VALU_DEP_3) | instskip(NEXT) | instid1(VALU_DEP_3)
	v_mul_u32_u24_e32 v6, 0x10001, v6
	v_pk_fma_f16 v7, v4, v7, v11
	v_lshrrev_b32_e32 v11, 16, v8
	v_mul_u32_u24_e32 v15, 0x10001, v15
	s_delay_alu instid0(VALU_DEP_4)
	v_pk_fma_f16 v6, v4, v6, v13
	v_pk_fma_f16 v10, v4, v14, v10
	v_and_b32_e32 v8, 0xffff, v8
	v_mul_u32_u24_e32 v11, 0x10001, v11
	v_pk_fma_f16 v4, v4, v15, v12
	v_lshrrev_b32_e32 v12, 16, v9
	v_and_b32_e32 v9, 0xffff, v9
	v_mul_u32_u24_e32 v8, 0x10001, v8
	v_pk_fma_f16 v10, v5, v11, v10
	s_delay_alu instid0(VALU_DEP_4) | instskip(NEXT) | instid1(VALU_DEP_4)
	v_mul_u32_u24_e32 v12, 0x10001, v12
	v_mul_u32_u24_e32 v9, 0x10001, v9
	s_delay_alu instid0(VALU_DEP_4) | instskip(NEXT) | instid1(VALU_DEP_3)
	v_pk_fma_f16 v13, v5, v8, v6
	v_pk_fma_f16 v12, v5, v12, v4
	s_delay_alu instid0(VALU_DEP_3)
	v_pk_fma_f16 v11, v5, v9, v7
	ds_load_2addr_b32 v[8:9], v101 offset1:32
	ds_load_b128 v[4:7], v85 offset:832
	s_wait_dscnt 0x0
	v_lshrrev_b32_e32 v15, 16, v5
	v_and_b32_e32 v5, 0xffff, v5
	v_lshrrev_b32_e32 v14, 16, v4
	v_and_b32_e32 v4, 0xffff, v4
	s_delay_alu instid0(VALU_DEP_3) | instskip(NEXT) | instid1(VALU_DEP_3)
	v_mul_u32_u24_e32 v5, 0x10001, v5
	v_mul_u32_u24_e32 v14, 0x10001, v14
	s_delay_alu instid0(VALU_DEP_3) | instskip(NEXT) | instid1(VALU_DEP_3)
	v_mul_u32_u24_e32 v4, 0x10001, v4
	v_pk_fma_f16 v5, v8, v5, v11
	v_lshrrev_b32_e32 v11, 16, v6
	v_mul_u32_u24_e32 v15, 0x10001, v15
	s_delay_alu instid0(VALU_DEP_4)
	v_pk_fma_f16 v4, v8, v4, v13
	v_pk_fma_f16 v10, v8, v14, v10
	v_and_b32_e32 v6, 0xffff, v6
	v_mul_u32_u24_e32 v11, 0x10001, v11
	v_pk_fma_f16 v8, v8, v15, v12
	v_lshrrev_b32_e32 v12, 16, v7
	v_and_b32_e32 v7, 0xffff, v7
	v_mul_u32_u24_e32 v6, 0x10001, v6
	v_pk_fma_f16 v10, v9, v11, v10
	s_delay_alu instid0(VALU_DEP_4) | instskip(NEXT) | instid1(VALU_DEP_4)
	v_mul_u32_u24_e32 v12, 0x10001, v12
	v_mul_u32_u24_e32 v7, 0x10001, v7
	s_delay_alu instid0(VALU_DEP_4) | instskip(NEXT) | instid1(VALU_DEP_3)
	v_pk_fma_f16 v13, v9, v6, v4
	v_pk_fma_f16 v12, v9, v12, v8
	s_delay_alu instid0(VALU_DEP_3)
	v_pk_fma_f16 v11, v9, v7, v5
	ds_load_2addr_b32 v[4:5], v101 offset0:64 offset1:96
	ds_load_b128 v[6:9], v85 offset:848
	s_wait_dscnt 0x0
	v_lshrrev_b32_e32 v15, 16, v7
	v_and_b32_e32 v7, 0xffff, v7
	v_lshrrev_b32_e32 v14, 16, v6
	v_and_b32_e32 v6, 0xffff, v6
	s_delay_alu instid0(VALU_DEP_3) | instskip(NEXT) | instid1(VALU_DEP_3)
	v_mul_u32_u24_e32 v7, 0x10001, v7
	v_mul_u32_u24_e32 v14, 0x10001, v14
	s_delay_alu instid0(VALU_DEP_3) | instskip(NEXT) | instid1(VALU_DEP_3)
	v_mul_u32_u24_e32 v6, 0x10001, v6
	v_pk_fma_f16 v7, v4, v7, v11
	v_lshrrev_b32_e32 v11, 16, v8
	v_mul_u32_u24_e32 v15, 0x10001, v15
	s_delay_alu instid0(VALU_DEP_4)
	v_pk_fma_f16 v6, v4, v6, v13
	v_pk_fma_f16 v10, v4, v14, v10
	v_and_b32_e32 v8, 0xffff, v8
	v_mul_u32_u24_e32 v11, 0x10001, v11
	v_pk_fma_f16 v4, v4, v15, v12
	v_lshrrev_b32_e32 v12, 16, v9
	v_and_b32_e32 v9, 0xffff, v9
	v_mul_u32_u24_e32 v8, 0x10001, v8
	v_pk_fma_f16 v10, v5, v11, v10
	s_delay_alu instid0(VALU_DEP_4) | instskip(NEXT) | instid1(VALU_DEP_4)
	v_mul_u32_u24_e32 v12, 0x10001, v12
	v_mul_u32_u24_e32 v9, 0x10001, v9
	s_delay_alu instid0(VALU_DEP_4) | instskip(NEXT) | instid1(VALU_DEP_3)
	v_pk_fma_f16 v13, v5, v8, v6
	v_pk_fma_f16 v12, v5, v12, v4
	s_delay_alu instid0(VALU_DEP_3)
	v_pk_fma_f16 v11, v5, v9, v7
	ds_load_2addr_b32 v[8:9], v101 offset0:128 offset1:160
	;; [unrolled: 33-line block ×3, first 2 shown]
	ds_load_b128 v[6:9], v85 offset:880
	s_wait_dscnt 0x0
	v_lshrrev_b32_e32 v15, 16, v7
	v_and_b32_e32 v7, 0xffff, v7
	v_lshrrev_b32_e32 v14, 16, v6
	v_and_b32_e32 v6, 0xffff, v6
	s_delay_alu instid0(VALU_DEP_3) | instskip(NEXT) | instid1(VALU_DEP_3)
	v_mul_u32_u24_e32 v7, 0x10001, v7
	v_mul_u32_u24_e32 v14, 0x10001, v14
	s_delay_alu instid0(VALU_DEP_3) | instskip(NEXT) | instid1(VALU_DEP_3)
	v_mul_u32_u24_e32 v6, 0x10001, v6
	v_pk_fma_f16 v7, v4, v7, v11
	v_lshrrev_b32_e32 v11, 16, v8
	v_mul_u32_u24_e32 v15, 0x10001, v15
	s_delay_alu instid0(VALU_DEP_4)
	v_pk_fma_f16 v6, v4, v6, v13
	v_pk_fma_f16 v10, v4, v14, v10
	v_and_b32_e32 v8, 0xffff, v8
	v_mul_u32_u24_e32 v11, 0x10001, v11
	v_pk_fma_f16 v4, v4, v15, v12
	v_lshrrev_b32_e32 v12, 16, v9
	v_and_b32_e32 v9, 0xffff, v9
	v_mul_u32_u24_e32 v8, 0x10001, v8
	v_pk_fma_f16 v10, v5, v11, v10
	s_delay_alu instid0(VALU_DEP_4) | instskip(NEXT) | instid1(VALU_DEP_4)
	v_mul_u32_u24_e32 v12, 0x10001, v12
	v_mul_u32_u24_e32 v9, 0x10001, v9
	s_delay_alu instid0(VALU_DEP_4) | instskip(NEXT) | instid1(VALU_DEP_3)
	v_pk_fma_f16 v13, v5, v8, v6
	v_pk_fma_f16 v12, v5, v12, v4
	s_delay_alu instid0(VALU_DEP_3)
	v_pk_fma_f16 v11, v5, v9, v7
	ds_load_2addr_b32 v[8:9], v102 offset1:32
	ds_load_b128 v[4:7], v85 offset:896
	s_wait_dscnt 0x0
	v_lshrrev_b32_e32 v15, 16, v5
	v_and_b32_e32 v5, 0xffff, v5
	v_lshrrev_b32_e32 v14, 16, v4
	v_and_b32_e32 v4, 0xffff, v4
	s_delay_alu instid0(VALU_DEP_3) | instskip(NEXT) | instid1(VALU_DEP_3)
	v_mul_u32_u24_e32 v5, 0x10001, v5
	v_mul_u32_u24_e32 v14, 0x10001, v14
	s_delay_alu instid0(VALU_DEP_3) | instskip(NEXT) | instid1(VALU_DEP_3)
	v_mul_u32_u24_e32 v4, 0x10001, v4
	v_pk_fma_f16 v5, v8, v5, v11
	v_lshrrev_b32_e32 v11, 16, v6
	v_mul_u32_u24_e32 v15, 0x10001, v15
	s_delay_alu instid0(VALU_DEP_4)
	v_pk_fma_f16 v4, v8, v4, v13
	v_pk_fma_f16 v10, v8, v14, v10
	v_and_b32_e32 v6, 0xffff, v6
	v_mul_u32_u24_e32 v11, 0x10001, v11
	v_pk_fma_f16 v8, v8, v15, v12
	v_lshrrev_b32_e32 v12, 16, v7
	v_and_b32_e32 v7, 0xffff, v7
	v_mul_u32_u24_e32 v6, 0x10001, v6
	v_pk_fma_f16 v10, v9, v11, v10
	s_delay_alu instid0(VALU_DEP_4) | instskip(NEXT) | instid1(VALU_DEP_4)
	v_mul_u32_u24_e32 v12, 0x10001, v12
	v_mul_u32_u24_e32 v7, 0x10001, v7
	s_delay_alu instid0(VALU_DEP_4) | instskip(NEXT) | instid1(VALU_DEP_3)
	v_pk_fma_f16 v13, v9, v6, v4
	v_pk_fma_f16 v12, v9, v12, v8
	s_delay_alu instid0(VALU_DEP_3)
	v_pk_fma_f16 v11, v9, v7, v5
	ds_load_2addr_b32 v[4:5], v102 offset0:64 offset1:96
	ds_load_b128 v[6:9], v85 offset:912
	s_wait_dscnt 0x0
	v_lshrrev_b32_e32 v15, 16, v7
	v_and_b32_e32 v7, 0xffff, v7
	v_lshrrev_b32_e32 v14, 16, v6
	v_and_b32_e32 v6, 0xffff, v6
	s_delay_alu instid0(VALU_DEP_3) | instskip(NEXT) | instid1(VALU_DEP_3)
	v_mul_u32_u24_e32 v7, 0x10001, v7
	v_mul_u32_u24_e32 v14, 0x10001, v14
	s_delay_alu instid0(VALU_DEP_3) | instskip(NEXT) | instid1(VALU_DEP_3)
	v_mul_u32_u24_e32 v6, 0x10001, v6
	v_pk_fma_f16 v7, v4, v7, v11
	v_lshrrev_b32_e32 v11, 16, v8
	v_mul_u32_u24_e32 v15, 0x10001, v15
	s_delay_alu instid0(VALU_DEP_4)
	v_pk_fma_f16 v6, v4, v6, v13
	v_pk_fma_f16 v10, v4, v14, v10
	v_and_b32_e32 v8, 0xffff, v8
	v_mul_u32_u24_e32 v11, 0x10001, v11
	v_pk_fma_f16 v4, v4, v15, v12
	v_lshrrev_b32_e32 v12, 16, v9
	v_and_b32_e32 v9, 0xffff, v9
	v_mul_u32_u24_e32 v8, 0x10001, v8
	v_pk_fma_f16 v10, v5, v11, v10
	s_delay_alu instid0(VALU_DEP_4) | instskip(NEXT) | instid1(VALU_DEP_4)
	v_mul_u32_u24_e32 v12, 0x10001, v12
	v_mul_u32_u24_e32 v9, 0x10001, v9
	s_delay_alu instid0(VALU_DEP_4) | instskip(NEXT) | instid1(VALU_DEP_3)
	v_pk_fma_f16 v13, v5, v8, v6
	v_pk_fma_f16 v12, v5, v12, v4
	s_delay_alu instid0(VALU_DEP_3)
	v_pk_fma_f16 v11, v5, v9, v7
	ds_load_2addr_b32 v[8:9], v102 offset0:128 offset1:160
	;; [unrolled: 33-line block ×3, first 2 shown]
	ds_load_b128 v[6:9], v85 offset:944
	s_wait_dscnt 0x0
	v_lshrrev_b32_e32 v15, 16, v7
	v_and_b32_e32 v7, 0xffff, v7
	v_lshrrev_b32_e32 v14, 16, v6
	v_and_b32_e32 v6, 0xffff, v6
	s_delay_alu instid0(VALU_DEP_3) | instskip(NEXT) | instid1(VALU_DEP_3)
	v_mul_u32_u24_e32 v7, 0x10001, v7
	v_mul_u32_u24_e32 v14, 0x10001, v14
	s_delay_alu instid0(VALU_DEP_3) | instskip(NEXT) | instid1(VALU_DEP_3)
	v_mul_u32_u24_e32 v6, 0x10001, v6
	v_pk_fma_f16 v7, v4, v7, v11
	v_lshrrev_b32_e32 v11, 16, v8
	v_mul_u32_u24_e32 v15, 0x10001, v15
	s_delay_alu instid0(VALU_DEP_4)
	v_pk_fma_f16 v6, v4, v6, v13
	v_pk_fma_f16 v10, v4, v14, v10
	v_and_b32_e32 v8, 0xffff, v8
	v_mul_u32_u24_e32 v11, 0x10001, v11
	v_pk_fma_f16 v4, v4, v15, v12
	v_lshrrev_b32_e32 v12, 16, v9
	v_and_b32_e32 v9, 0xffff, v9
	v_mul_u32_u24_e32 v8, 0x10001, v8
	v_pk_fma_f16 v10, v5, v11, v10
	s_delay_alu instid0(VALU_DEP_4) | instskip(NEXT) | instid1(VALU_DEP_4)
	v_mul_u32_u24_e32 v12, 0x10001, v12
	v_mul_u32_u24_e32 v9, 0x10001, v9
	s_delay_alu instid0(VALU_DEP_4) | instskip(NEXT) | instid1(VALU_DEP_3)
	v_pk_fma_f16 v13, v5, v8, v6
	v_pk_fma_f16 v12, v5, v12, v4
	s_delay_alu instid0(VALU_DEP_3)
	v_pk_fma_f16 v11, v5, v9, v7
	ds_load_2addr_b32 v[8:9], v103 offset1:32
	ds_load_b128 v[4:7], v85 offset:960
	s_wait_dscnt 0x0
	v_lshrrev_b32_e32 v15, 16, v5
	v_and_b32_e32 v5, 0xffff, v5
	v_lshrrev_b32_e32 v14, 16, v4
	v_and_b32_e32 v4, 0xffff, v4
	s_delay_alu instid0(VALU_DEP_3) | instskip(NEXT) | instid1(VALU_DEP_3)
	v_mul_u32_u24_e32 v5, 0x10001, v5
	v_mul_u32_u24_e32 v14, 0x10001, v14
	s_delay_alu instid0(VALU_DEP_3) | instskip(NEXT) | instid1(VALU_DEP_3)
	v_mul_u32_u24_e32 v4, 0x10001, v4
	v_pk_fma_f16 v5, v8, v5, v11
	v_lshrrev_b32_e32 v11, 16, v6
	v_mul_u32_u24_e32 v15, 0x10001, v15
	s_delay_alu instid0(VALU_DEP_4)
	v_pk_fma_f16 v4, v8, v4, v13
	v_pk_fma_f16 v10, v8, v14, v10
	v_and_b32_e32 v6, 0xffff, v6
	v_mul_u32_u24_e32 v11, 0x10001, v11
	v_pk_fma_f16 v8, v8, v15, v12
	v_lshrrev_b32_e32 v12, 16, v7
	v_and_b32_e32 v7, 0xffff, v7
	v_mul_u32_u24_e32 v6, 0x10001, v6
	v_pk_fma_f16 v10, v9, v11, v10
	s_delay_alu instid0(VALU_DEP_4) | instskip(NEXT) | instid1(VALU_DEP_4)
	v_mul_u32_u24_e32 v12, 0x10001, v12
	v_mul_u32_u24_e32 v7, 0x10001, v7
	s_delay_alu instid0(VALU_DEP_4) | instskip(NEXT) | instid1(VALU_DEP_3)
	v_pk_fma_f16 v13, v9, v6, v4
	v_pk_fma_f16 v12, v9, v12, v8
	s_delay_alu instid0(VALU_DEP_3)
	v_pk_fma_f16 v11, v9, v7, v5
	ds_load_2addr_b32 v[4:5], v103 offset0:64 offset1:96
	ds_load_b128 v[6:9], v85 offset:976
	s_wait_dscnt 0x0
	v_lshrrev_b32_e32 v15, 16, v7
	v_and_b32_e32 v7, 0xffff, v7
	v_lshrrev_b32_e32 v14, 16, v6
	v_and_b32_e32 v6, 0xffff, v6
	s_delay_alu instid0(VALU_DEP_3) | instskip(NEXT) | instid1(VALU_DEP_3)
	v_mul_u32_u24_e32 v7, 0x10001, v7
	v_mul_u32_u24_e32 v14, 0x10001, v14
	s_delay_alu instid0(VALU_DEP_3) | instskip(NEXT) | instid1(VALU_DEP_3)
	v_mul_u32_u24_e32 v6, 0x10001, v6
	v_pk_fma_f16 v7, v4, v7, v11
	v_lshrrev_b32_e32 v11, 16, v8
	v_mul_u32_u24_e32 v15, 0x10001, v15
	s_delay_alu instid0(VALU_DEP_4)
	v_pk_fma_f16 v6, v4, v6, v13
	v_pk_fma_f16 v10, v4, v14, v10
	v_and_b32_e32 v8, 0xffff, v8
	v_mul_u32_u24_e32 v11, 0x10001, v11
	v_pk_fma_f16 v4, v4, v15, v12
	v_lshrrev_b32_e32 v12, 16, v9
	v_and_b32_e32 v9, 0xffff, v9
	v_mul_u32_u24_e32 v8, 0x10001, v8
	v_pk_fma_f16 v10, v5, v11, v10
	s_delay_alu instid0(VALU_DEP_4) | instskip(NEXT) | instid1(VALU_DEP_4)
	v_mul_u32_u24_e32 v12, 0x10001, v12
	v_mul_u32_u24_e32 v9, 0x10001, v9
	s_delay_alu instid0(VALU_DEP_4) | instskip(NEXT) | instid1(VALU_DEP_3)
	v_pk_fma_f16 v13, v5, v8, v6
	v_pk_fma_f16 v12, v5, v12, v4
	s_delay_alu instid0(VALU_DEP_3)
	v_pk_fma_f16 v11, v5, v9, v7
	ds_load_2addr_b32 v[8:9], v103 offset0:128 offset1:160
	ds_load_b128 v[4:7], v85 offset:992
	s_wait_dscnt 0x0
	v_dual_lshrrev_b32 v14, 16, v4 :: v_dual_lshrrev_b32 v15, 16, v5
	v_and_b32_e32 v4, 0xffff, v4
	v_and_b32_e32 v5, 0xffff, v5
	s_delay_alu instid0(VALU_DEP_3) | instskip(NEXT) | instid1(VALU_DEP_3)
	v_mul_u32_u24_e32 v14, 0x10001, v14
	v_mul_u32_u24_e32 v4, 0x10001, v4
	s_delay_alu instid0(VALU_DEP_3) | instskip(NEXT) | instid1(VALU_DEP_2)
	v_mul_u32_u24_e32 v5, 0x10001, v5
	v_pk_fma_f16 v4, v8, v4, v13
	s_delay_alu instid0(VALU_DEP_4) | instskip(NEXT) | instid1(VALU_DEP_3)
	v_pk_fma_f16 v13, v8, v14, v10
	v_pk_fma_f16 v5, v8, v5, v11
	v_lshrrev_b32_e32 v10, 16, v6
	v_mul_u32_u24_e32 v15, 0x10001, v15
	v_lshrrev_b32_e32 v11, 16, v7
	v_and_b32_e32 v6, 0xffff, v6
	v_and_b32_e32 v7, 0xffff, v7
	s_delay_alu instid0(VALU_DEP_4) | instskip(SKIP_1) | instid1(VALU_DEP_4)
	v_pk_fma_f16 v8, v8, v15, v12
	v_mul_u32_u24_e32 v12, 0x10001, v10
	v_mul_u32_u24_e32 v6, 0x10001, v6
	s_delay_alu instid0(VALU_DEP_4) | instskip(SKIP_1) | instid1(VALU_DEP_4)
	v_mul_u32_u24_e32 v7, 0x10001, v7
	v_mul_u32_u24_e32 v14, 0x10001, v11
	v_pk_fma_f16 v11, v9, v12, v13
	s_delay_alu instid0(VALU_DEP_4) | instskip(NEXT) | instid1(VALU_DEP_4)
	v_pk_fma_f16 v10, v9, v6, v4
	v_pk_fma_f16 v12, v9, v7, v5
	s_delay_alu instid0(VALU_DEP_4)
	v_pk_fma_f16 v13, v9, v14, v8
	ds_load_2addr_b32 v[8:9], v103 offset0:192 offset1:224
	ds_load_b128 v[4:7], v85 offset:1008
	s_wait_dscnt 0x0
	s_barrier_signal -1
	s_barrier_wait -1
	s_load_b32 s3, s[20:21], 0x4
	v_dual_lshrrev_b32 v14, 16, v4 :: v_dual_lshrrev_b32 v15, 16, v5
	v_and_b32_e32 v4, 0xffff, v4
	v_and_b32_e32 v5, 0xffff, v5
	s_delay_alu instid0(VALU_DEP_3)
	v_mul_u32_u24_e32 v14, 0x10001, v14
	s_wait_kmcnt 0x0
	s_lshl_b32 s3, s3, 7
	v_mul_u32_u24_e32 v4, 0x10001, v4
	v_mul_u32_u24_e32 v5, 0x10001, v5
	s_add_co_i32 s4, s3, s4
	s_delay_alu instid0(SALU_CYCLE_1) | instskip(NEXT) | instid1(VALU_DEP_2)
	s_cmp_ge_i32 s4, s30
	v_pk_fma_f16 v4, v8, v4, v10
	v_pk_fma_f16 v10, v8, v14, v11
	;; [unrolled: 1-line block ×3, first 2 shown]
	v_lshrrev_b32_e32 v11, 16, v6
	v_mul_u32_u24_e32 v15, 0x10001, v15
	v_lshrrev_b32_e32 v12, 16, v7
	v_and_b32_e32 v6, 0xffff, v6
	v_and_b32_e32 v7, 0xffff, v7
	v_mul_u32_u24_e32 v11, 0x10001, v11
	v_pk_fma_f16 v8, v8, v15, v13
	v_mul_u32_u24_e32 v12, 0x10001, v12
	v_mul_u32_u24_e32 v6, 0x10001, v6
	;; [unrolled: 1-line block ×3, first 2 shown]
	v_pk_fma_f16 v105, v9, v11, v10
	s_delay_alu instid0(VALU_DEP_4) | instskip(NEXT) | instid1(VALU_DEP_4)
	v_pk_fma_f16 v107, v9, v12, v8
	v_pk_fma_f16 v106, v9, v6, v4
	s_delay_alu instid0(VALU_DEP_4)
	v_pk_fma_f16 v104, v9, v7, v5
	s_cbranch_scc0 .LBB24_9
; %bb.10:
	v_mov_b32_e32 v5, v73
.LBB24_11:
	v_lshlrev_b32_e32 v9, 1, v70
	v_cmp_lt_i32_e32 vcc_lo, v81, v75
	s_cmp_lg_u64 s[12:13], 0
	s_cselect_b32 s3, -1, 0
	s_cmp_eq_u32 s31, 0
	v_cndmask_b32_e32 v4, v5, v81, vcc_lo
	v_cmp_lt_i32_e32 vcc_lo, v79, v75
	s_cselect_b32 s4, -1, 0
	s_delay_alu instid0(SALU_CYCLE_1) | instskip(NEXT) | instid1(VALU_DEP_2)
	s_and_b32 s3, s4, s3
	v_lshlrev_b32_e32 v4, 2, v4
	ds_bpermute_b32 v6, v4, v52
	ds_bpermute_b32 v7, v4, v53
	ds_bpermute_b32 v10, v4, v46
	ds_bpermute_b32 v11, v4, v47
	v_cndmask_b32_e32 v4, v5, v79, vcc_lo
	v_cmp_lt_i32_e32 vcc_lo, v78, v75
	s_delay_alu instid0(VALU_DEP_2)
	v_lshlrev_b32_e32 v4, 2, v4
	s_wait_dscnt 0x2
	v_pk_add_f32 v[6:7], v[52:53], v[6:7]
	s_wait_dscnt 0x0
	v_pk_add_f32 v[10:11], v[46:47], v[10:11]
	ds_bpermute_b32 v12, v4, v6
	ds_bpermute_b32 v13, v4, v7
	ds_bpermute_b32 v14, v4, v10
	ds_bpermute_b32 v15, v4, v11
	v_cndmask_b32_e32 v4, v5, v78, vcc_lo
	v_cmp_lt_i32_e32 vcc_lo, v77, v75
	s_delay_alu instid0(VALU_DEP_2)
	v_lshlrev_b32_e32 v4, 2, v4
	s_wait_dscnt 0x2
	v_pk_add_f32 v[6:7], v[6:7], v[12:13]
	s_wait_dscnt 0x0
	v_pk_add_f32 v[10:11], v[10:11], v[14:15]
	;; [unrolled: 12-line block ×3, first 2 shown]
	ds_bpermute_b32 v12, v4, v6
	ds_bpermute_b32 v13, v4, v7
	;; [unrolled: 1-line block ×4, first 2 shown]
	v_cndmask_b32_e32 v4, v5, v76, vcc_lo
	s_and_b32 vcc_lo, exec_lo, s3
	s_delay_alu instid0(VALU_DEP_1)
	v_lshlrev_b32_e32 v8, 2, v4
	s_wait_dscnt 0x2
	v_pk_add_f32 v[4:5], v[6:7], v[12:13]
	s_wait_dscnt 0x0
	v_pk_add_f32 v[10:11], v[10:11], v[14:15]
	ds_bpermute_b32 v6, v8, v4
	ds_bpermute_b32 v7, v8, v5
	ds_bpermute_b32 v12, v8, v10
	ds_bpermute_b32 v13, v8, v11
	s_wait_dscnt 0x2
	v_pk_add_f32 v[6:7], v[4:5], v[6:7]
	s_wait_dscnt 0x0
	v_pk_add_f32 v[4:5], v[10:11], v[12:13]
	s_cbranch_vccz .LBB24_13
; %bb.12:
	s_ashr_i32 s29, s28, 31
	v_dual_mov_b32 v8, 0 :: v_dual_max_num_f32 v15, v1, v1
	s_lshl_b64 s[4:5], s[28:29], 2
	v_max_num_f32_e32 v16, v2, v2
	s_add_nc_u64 s[4:5], s[12:13], s[4:5]
	v_max_num_f32_e32 v17, v3, v3
	global_load_b128 v[10:13], v8, s[4:5]
	s_wait_loadcnt 0x0
	v_dual_max_num_f32 v8, v0, v0 :: v_dual_max_num_f32 v14, v10, v10
	v_dual_max_num_f32 v18, v11, v11 :: v_dual_max_num_f32 v19, v12, v12
	s_delay_alu instid0(VALU_DEP_2) | instskip(NEXT) | instid1(VALU_DEP_2)
	v_dual_max_num_f32 v20, v13, v13 :: v_dual_max_num_f32 v14, v8, v14
	v_dual_max_num_f32 v15, v15, v18 :: v_dual_max_num_f32 v16, v16, v19
	s_delay_alu instid0(VALU_DEP_2) | instskip(NEXT) | instid1(VALU_DEP_2)
	v_dual_max_num_f32 v17, v17, v20 :: v_dual_sub_f32 v0, v0, v14
	v_dual_sub_f32 v8, v10, v14 :: v_dual_sub_f32 v1, v1, v15
	s_delay_alu instid0(VALU_DEP_3) | instskip(NEXT) | instid1(VALU_DEP_3)
	v_dual_sub_f32 v10, v11, v15 :: v_dual_sub_f32 v11, v2, v16
	v_dual_sub_f32 v13, v13, v17 :: v_dual_mul_f32 v2, 0x3fb8aa3b, v0
	v_dual_sub_f32 v12, v12, v16 :: v_dual_sub_f32 v18, v3, v17
	s_delay_alu instid0(VALU_DEP_3) | instskip(NEXT) | instid1(VALU_DEP_3)
	v_dual_mul_f32 v3, 0x3fb8aa3b, v8 :: v_dual_mul_f32 v20, 0x3fb8aa3b, v10
	v_fma_f32 v25, 0x3fb8aa3b, v0, -v2
	v_rndne_f32_e32 v26, v2
	v_dual_mul_f32 v21, 0x3fb8aa3b, v11 :: v_dual_mul_f32 v24, 0x3fb8aa3b, v13
	s_delay_alu instid0(VALU_DEP_4) | instskip(NEXT) | instid1(VALU_DEP_3)
	v_fma_f32 v27, 0x3fb8aa3b, v8, -v3
	v_dual_fmac_f32 v25, 0x32a5705f, v0 :: v_dual_sub_f32 v2, v2, v26
	v_rndne_f32_e32 v28, v3
	v_rndne_f32_e32 v32, v20
	s_delay_alu instid0(VALU_DEP_4) | instskip(NEXT) | instid1(VALU_DEP_4)
	v_fmac_f32_e32 v27, 0x32a5705f, v8
	v_dual_mul_f32 v23, 0x3fb8aa3b, v18 :: v_dual_add_f32 v2, v2, v25
	v_fma_f32 v33, 0x3fb8aa3b, v11, -v21
	v_rndne_f32_e32 v34, v21
	v_cvt_i32_f32_e32 v26, v26
	v_fma_f32 v31, 0x3fb8aa3b, v10, -v20
	v_exp_f32_e32 v2, v2
	s_delay_alu instid0(VALU_DEP_3) | instskip(SKIP_4) | instid1(TRANS32_DEP_1)
	v_dual_sub_f32 v3, v3, v28 :: v_dual_sub_f32 v21, v21, v34
	v_sub_f32_e32 v20, v20, v32
	v_rndne_f32_e32 v38, v23
	v_cmp_ngt_f32_e32 vcc_lo, 0xc2ce8ed0, v0
	v_fma_f32 v37, 0x3fb8aa3b, v18, -v23
	v_ldexp_f32 v2, v2, v26
	v_fmac_f32_e32 v33, 0x32a5705f, v11
	v_cvt_i32_f32_e32 v34, v34
	v_dual_mul_f32 v19, 0x3fb8aa3b, v1 :: v_dual_mul_f32 v22, 0x3fb8aa3b, v12
	s_delay_alu instid0(VALU_DEP_4) | instskip(NEXT) | instid1(VALU_DEP_4)
	v_cndmask_b32_e32 v2, 0, v2, vcc_lo
	v_dual_sub_f32 v23, v23, v38 :: v_dual_add_f32 v21, v21, v33
	s_delay_alu instid0(VALU_DEP_3)
	v_fma_f32 v29, 0x3fb8aa3b, v1, -v19
	v_rndne_f32_e32 v30, v19
	v_fma_f32 v35, 0x3fb8aa3b, v12, -v22
	v_rndne_f32_e32 v36, v22
	v_exp_f32_e32 v21, v21
	v_rndne_f32_e32 v40, v24
	v_cvt_i32_f32_e32 v28, v28
	s_delay_alu instid0(VALU_DEP_3) | instskip(SKIP_2) | instid1(TRANS32_DEP_1)
	v_dual_fmac_f32 v29, 0x32a5705f, v1 :: v_dual_sub_f32 v22, v22, v36
	v_sub_f32_e32 v19, v19, v30
	v_fma_f32 v39, 0x3fb8aa3b, v13, -v24
	v_ldexp_f32 v21, v21, v34
	v_add_f32_e32 v3, v3, v27
	v_fmac_f32_e32 v35, 0x32a5705f, v12
	v_dual_fmac_f32 v31, 0x32a5705f, v10 :: v_dual_sub_f32 v24, v24, v40
	v_cmp_ngt_f32_e32 vcc_lo, 0xc2ce8ed0, v8
	s_delay_alu instid0(VALU_DEP_4) | instskip(NEXT) | instid1(VALU_DEP_3)
	v_exp_f32_e32 v3, v3
	v_add_f32_e32 v22, v22, v35
	s_delay_alu instid0(VALU_DEP_3)
	v_add_f32_e32 v20, v20, v31
	v_cvt_i32_f32_e32 v30, v30
	v_cvt_i32_f32_e32 v32, v32
	v_cvt_i32_f32_e32 v36, v36
	v_exp_f32_e32 v22, v22
	v_ldexp_f32 v3, v3, v28
	v_add_f32_e32 v19, v19, v29
	v_exp_f32_e32 v20, v20
	v_cvt_i32_f32_e32 v38, v38
	v_cvt_i32_f32_e32 v40, v40
	v_cndmask_b32_e32 v3, 0, v3, vcc_lo
	v_exp_f32_e32 v19, v19
	v_cmp_ngt_f32_e32 vcc_lo, 0xc2ce8ed0, v1
	v_ldexp_f32 v22, v22, v36
	v_ldexp_f32 v20, v20, v32
	s_delay_alu instid0(TRANS32_DEP_1) | instskip(NEXT) | instid1(VALU_DEP_1)
	v_ldexp_f32 v19, v19, v30
	v_cndmask_b32_e32 v19, 0, v19, vcc_lo
	v_cmp_ngt_f32_e32 vcc_lo, 0xc2ce8ed0, v10
	s_delay_alu instid0(VALU_DEP_4) | instskip(NEXT) | instid1(VALU_DEP_1)
	v_dual_fmac_f32 v39, 0x32a5705f, v13 :: v_dual_cndmask_b32 v20, 0, v20
	v_dual_fmac_f32 v37, 0x32a5705f, v18 :: v_dual_add_f32 v24, v24, v39
	v_cmp_ngt_f32_e32 vcc_lo, 0xc2ce8ed0, v11
	s_delay_alu instid0(VALU_DEP_2) | instskip(SKIP_3) | instid1(VALU_DEP_1)
	v_exp_f32_e32 v24, v24
	v_cndmask_b32_e32 v21, 0, v21, vcc_lo
	v_cmp_ngt_f32_e32 vcc_lo, 0xc2ce8ed0, v12
	v_dual_add_f32 v23, v23, v37 :: v_dual_cndmask_b32 v22, 0, v22
	v_exp_f32_e32 v23, v23
	v_cmp_ngt_f32_e32 vcc_lo, 0xc2ce8ed0, v18
	s_delay_alu instid0(TRANS32_DEP_2) | instskip(NEXT) | instid1(TRANS32_DEP_1)
	v_ldexp_f32 v24, v24, v40
	v_ldexp_f32 v23, v23, v38
	s_delay_alu instid0(VALU_DEP_1) | instskip(SKIP_1) | instid1(VALU_DEP_4)
	v_cndmask_b32_e32 v23, 0, v23, vcc_lo
	v_cmp_ngt_f32_e32 vcc_lo, 0xc2ce8ed0, v13
	v_cndmask_b32_e32 v24, 0, v24, vcc_lo
	v_cmp_nlt_f32_e32 vcc_lo, 0x42b17218, v0
	v_cndmask_b32_e32 v0, 0x7f800000, v2, vcc_lo
	v_cmp_nlt_f32_e32 vcc_lo, 0x42b17218, v8
	s_delay_alu instid0(VALU_DEP_2) | instskip(SKIP_2) | instid1(VALU_DEP_3)
	v_cvt_f16_f32_e32 v8, v0
	v_cndmask_b32_e32 v2, 0x7f800000, v3, vcc_lo
	v_cmp_nlt_f32_e32 vcc_lo, 0x42b17218, v1
	v_and_b32_e32 v8, 0xffff, v8
	v_cndmask_b32_e32 v1, 0x7f800000, v19, vcc_lo
	v_cmp_nlt_f32_e32 vcc_lo, 0x42b17218, v10
	v_cndmask_b32_e32 v3, 0x7f800000, v20, vcc_lo
	v_cmp_nlt_f32_e32 vcc_lo, 0x42b17218, v11
	s_delay_alu instid0(VALU_DEP_2) | instskip(SKIP_4) | instid1(VALU_DEP_4)
	v_pk_fma_f32 v[6:7], v[6:7], v[0:1], v[2:3]
	v_cndmask_b32_e32 v10, 0x7f800000, v21, vcc_lo
	v_cmp_nlt_f32_e32 vcc_lo, 0x42b17218, v18
	v_cvt_f16_f32_e32 v18, v1
	v_mul_u32_u24_e32 v0, 0x10001, v8
	v_cvt_f16_f32_e32 v19, v10
	v_cndmask_b32_e32 v11, 0x7f800000, v23, vcc_lo
	v_cmp_nlt_f32_e32 vcc_lo, 0x42b17218, v12
	v_and_b32_e32 v18, 0xffff, v18
	v_pk_mul_f16 v106, v106, v0
	v_and_b32_e32 v19, 0xffff, v19
	v_cvt_f16_f32_e32 v20, v11
	v_cndmask_b32_e32 v12, 0x7f800000, v22, vcc_lo
	v_cmp_nlt_f32_e32 vcc_lo, 0x42b17218, v13
	v_mul_u32_u24_e32 v1, 0x10001, v18
	v_mul_u32_u24_e32 v2, 0x10001, v19
	v_and_b32_e32 v20, 0xffff, v20
	v_cndmask_b32_e32 v13, 0x7f800000, v24, vcc_lo
	s_delay_alu instid0(VALU_DEP_4) | instskip(NEXT) | instid1(VALU_DEP_4)
	v_pk_mul_f16 v105, v105, v1
	v_pk_mul_f16 v104, v104, v2
	s_delay_alu instid0(VALU_DEP_4) | instskip(NEXT) | instid1(VALU_DEP_4)
	v_mul_u32_u24_e32 v3, 0x10001, v20
	v_pk_fma_f32 v[4:5], v[4:5], v[10:11], v[12:13]
	s_delay_alu instid0(VALU_DEP_2)
	v_pk_mul_f16 v107, v107, v3
	v_mov_b64_e32 v[0:1], v[14:15]
	v_mov_b64_e32 v[2:3], v[16:17]
.LBB24_13:
	s_mov_b32 s3, exec_lo
	v_cmpx_gt_i32_e64 s22, v71
	s_cbranch_execz .LBB24_30
; %bb.14:
	s_load_b32 s0, s[0:1], 0xd4
	v_mov_b32_e32 v8, 1.0
	s_wait_kmcnt 0x0
	s_cmp_lg_u32 s0, 1
	s_cselect_b32 s1, -1, 0
	s_cmp_eq_u32 s0, 1
	s_cselect_b32 s3, -1, 0
	s_and_b32 vcc_lo, exec_lo, s1
	s_cbranch_vccnz .LBB24_16
; %bb.15:
	v_div_scale_f32 v8, null, v6, v6, 1.0
	s_delay_alu instid0(VALU_DEP_1) | instskip(SKIP_1) | instid1(TRANS32_DEP_1)
	v_rcp_f32_e32 v10, v8
	v_nop
	v_fma_f32 v11, -v8, v10, 1.0
	s_delay_alu instid0(VALU_DEP_1) | instskip(SKIP_1) | instid1(VALU_DEP_1)
	v_fmac_f32_e32 v10, v11, v10
	v_div_scale_f32 v11, vcc_lo, 1.0, v6, 1.0
	v_mul_f32_e32 v12, v11, v10
	s_delay_alu instid0(VALU_DEP_1) | instskip(NEXT) | instid1(VALU_DEP_1)
	v_fma_f32 v13, -v8, v12, v11
	v_fmac_f32_e32 v12, v13, v10
	s_delay_alu instid0(VALU_DEP_1) | instskip(NEXT) | instid1(VALU_DEP_1)
	v_fma_f32 v8, -v8, v12, v11
	v_div_fmas_f32 v8, v8, v10, v12
	s_delay_alu instid0(VALU_DEP_1)
	v_div_fixup_f32 v8, v8, v6, 1.0
.LBB24_16:
	v_mad_u32 v10, s2, s22, v71
	v_dual_lshrrev_b32 v11, 16, v106 :: v_dual_mov_b32 v13, 0
	v_cvt_f32_f16_e32 v14, v106
	v_cmp_eq_u32_e32 vcc_lo, 0, v70
	s_delay_alu instid0(VALU_DEP_3) | instskip(SKIP_1) | instid1(VALU_DEP_1)
	v_cvt_f32_f16_e32 v15, v11
	s_and_b32 s1, vcc_lo, s1
	v_pk_mul_f32 v[14:15], v[8:9], v[14:15] op_sel_hi:[0,1]
	v_mad_u32 v10, v10, s23, s28
	s_delay_alu instid0(VALU_DEP_1) | instskip(NEXT) | instid1(VALU_DEP_1)
	v_mad_u32 v10, s0, v10, s31
	v_lshl_add_u32 v12, v10, 6, v9
	s_delay_alu instid0(VALU_DEP_1)
	v_lshl_add_u64 v[12:13], v[12:13], 2, s[16:17]
	global_store_b64 v[12:13], v[14:15], off
	s_wait_xcnt 0x0
	s_and_saveexec_b32 s2, s1
	s_cbranch_execz .LBB24_18
; %bb.17:
	v_dual_mov_b32 v12, v0 :: v_dual_mov_b32 v13, v6
	global_store_b64 v10, v[12:13], s[18:19] scale_offset
.LBB24_18:
	s_wait_xcnt 0x0
	s_or_b32 exec_lo, exec_lo, s2
	v_cndmask_b32_e64 v8, 0, 1, s3
	v_mov_b32_e32 v0, 1.0
	s_and_not1_b32 vcc_lo, exec_lo, s3
	s_cbranch_vccnz .LBB24_20
; %bb.19:
	v_div_scale_f32 v0, null, v7, v7, 1.0
	s_delay_alu instid0(VALU_DEP_1) | instskip(SKIP_1) | instid1(TRANS32_DEP_1)
	v_rcp_f32_e32 v6, v0
	v_nop
	v_fma_f32 v11, -v0, v6, 1.0
	s_delay_alu instid0(VALU_DEP_1) | instskip(SKIP_1) | instid1(VALU_DEP_1)
	v_fmac_f32_e32 v6, v11, v6
	v_div_scale_f32 v11, vcc_lo, 1.0, v7, 1.0
	v_mul_f32_e32 v12, v11, v6
	s_delay_alu instid0(VALU_DEP_1) | instskip(NEXT) | instid1(VALU_DEP_1)
	v_fma_f32 v13, -v0, v12, v11
	v_fmac_f32_e32 v12, v13, v6
	s_delay_alu instid0(VALU_DEP_1) | instskip(NEXT) | instid1(VALU_DEP_1)
	v_fma_f32 v0, -v0, v12, v11
	v_div_fmas_f32 v0, v0, v6, v12
	s_delay_alu instid0(VALU_DEP_1)
	v_div_fixup_f32 v0, v0, v7, 1.0
.LBB24_20:
	v_dual_add_nc_u32 v10, s0, v10 :: v_dual_lshrrev_b32 v6, 16, v105
	v_mov_b32_e32 v13, 0
	v_cvt_f32_f16_e32 v14, v105
	s_delay_alu instid0(VALU_DEP_3) | instskip(NEXT) | instid1(VALU_DEP_4)
	v_lshl_add_u32 v12, v10, 6, v9
	v_cvt_f32_f16_e32 v15, v6
	s_delay_alu instid0(VALU_DEP_2) | instskip(NEXT) | instid1(VALU_DEP_2)
	v_lshl_add_u64 v[12:13], v[12:13], 2, s[16:17]
	v_pk_mul_f32 v[14:15], v[0:1], v[14:15] op_sel_hi:[0,1]
	global_store_b64 v[12:13], v[14:15], off
	s_wait_xcnt 0x0
	s_and_saveexec_b32 s2, s1
	s_cbranch_execz .LBB24_22
; %bb.21:
	v_mov_b32_e32 v6, v1
	global_store_b64 v10, v[6:7], s[18:19] scale_offset
.LBB24_22:
	s_wait_xcnt 0x0
	s_or_b32 exec_lo, exec_lo, s2
	v_cmp_ne_u32_e32 vcc_lo, 1, v8
	v_mov_b32_e32 v0, 1.0
	s_cbranch_vccnz .LBB24_24
; %bb.23:
	v_div_scale_f32 v0, null, v4, v4, 1.0
	s_delay_alu instid0(VALU_DEP_1) | instskip(SKIP_1) | instid1(TRANS32_DEP_1)
	v_rcp_f32_e32 v1, v0
	v_nop
	v_fma_f32 v6, -v0, v1, 1.0
	s_delay_alu instid0(VALU_DEP_1) | instskip(SKIP_1) | instid1(VALU_DEP_1)
	v_fmac_f32_e32 v1, v6, v1
	v_div_scale_f32 v6, vcc_lo, 1.0, v4, 1.0
	v_mul_f32_e32 v7, v6, v1
	s_delay_alu instid0(VALU_DEP_1) | instskip(NEXT) | instid1(VALU_DEP_1)
	v_fma_f32 v11, -v0, v7, v6
	v_fmac_f32_e32 v7, v11, v1
	s_delay_alu instid0(VALU_DEP_1) | instskip(NEXT) | instid1(VALU_DEP_1)
	v_fma_f32 v0, -v0, v7, v6
	v_div_fmas_f32 v0, v0, v1, v7
	s_delay_alu instid0(VALU_DEP_1)
	v_div_fixup_f32 v0, v0, v4, 1.0
.LBB24_24:
	v_dual_add_nc_u32 v1, s0, v10 :: v_dual_lshrrev_b32 v11, 16, v104
	v_mov_b32_e32 v7, 0
	v_cvt_f32_f16_e32 v10, v104
	s_delay_alu instid0(VALU_DEP_3) | instskip(NEXT) | instid1(VALU_DEP_4)
	v_lshl_add_u32 v6, v1, 6, v9
	v_cvt_f32_f16_e32 v11, v11
	s_delay_alu instid0(VALU_DEP_2) | instskip(NEXT) | instid1(VALU_DEP_2)
	v_lshl_add_u64 v[6:7], v[6:7], 2, s[16:17]
	v_pk_mul_f32 v[10:11], v[0:1], v[10:11] op_sel_hi:[0,1]
	global_store_b64 v[6:7], v[10:11], off
	s_wait_xcnt 0x0
	s_and_saveexec_b32 s2, s1
	s_cbranch_execz .LBB24_26
; %bb.25:
	v_dual_mov_b32 v6, v2 :: v_dual_mov_b32 v7, v4
	global_store_b64 v1, v[6:7], s[18:19] scale_offset
.LBB24_26:
	s_wait_xcnt 0x0
	s_or_b32 exec_lo, exec_lo, s2
	v_cmp_ne_u32_e32 vcc_lo, 1, v8
	v_mov_b32_e32 v0, 1.0
	s_cbranch_vccnz .LBB24_28
; %bb.27:
	v_div_scale_f32 v0, null, v5, v5, 1.0
	s_delay_alu instid0(VALU_DEP_1) | instskip(SKIP_1) | instid1(TRANS32_DEP_1)
	v_rcp_f32_e32 v2, v0
	v_nop
	v_fma_f32 v4, -v0, v2, 1.0
	s_delay_alu instid0(VALU_DEP_1) | instskip(SKIP_1) | instid1(VALU_DEP_1)
	v_fmac_f32_e32 v2, v4, v2
	v_div_scale_f32 v4, vcc_lo, 1.0, v5, 1.0
	v_mul_f32_e32 v6, v4, v2
	s_delay_alu instid0(VALU_DEP_1) | instskip(NEXT) | instid1(VALU_DEP_1)
	v_fma_f32 v7, -v0, v6, v4
	v_fmac_f32_e32 v6, v7, v2
	s_delay_alu instid0(VALU_DEP_1) | instskip(NEXT) | instid1(VALU_DEP_1)
	v_fma_f32 v0, -v0, v6, v4
	v_div_fmas_f32 v0, v0, v2, v6
	s_delay_alu instid0(VALU_DEP_1)
	v_div_fixup_f32 v0, v0, v5, 1.0
.LBB24_28:
	v_dual_add_nc_u32 v1, s0, v1 :: v_dual_lshrrev_b32 v2, 16, v107
	v_mov_b32_e32 v7, 0
	v_cvt_f32_f16_e32 v8, v107
	s_delay_alu instid0(VALU_DEP_3) | instskip(NEXT) | instid1(VALU_DEP_4)
	v_lshl_add_u32 v6, v1, 6, v9
	v_cvt_f32_f16_e32 v9, v2
	s_delay_alu instid0(VALU_DEP_2) | instskip(NEXT) | instid1(VALU_DEP_2)
	v_lshl_add_u64 v[6:7], v[6:7], 2, s[16:17]
	v_pk_mul_f32 v[8:9], v[0:1], v[8:9] op_sel_hi:[0,1]
	global_store_b64 v[6:7], v[8:9], off
	s_wait_xcnt 0x0
	s_and_b32 exec_lo, exec_lo, s1
	s_cbranch_execz .LBB24_30
; %bb.29:
	v_mov_b32_e32 v4, v3
	global_store_b64 v1, v[4:5], s[18:19] scale_offset
.LBB24_30:
	s_sendmsg sendmsg(MSG_DEALLOC_VGPRS)
	s_endpgm
	.section	.rodata,"a",@progbits
	.p2align	6, 0x0
	.amdhsa_kernel _ZL15flash_attn_tileILi64ELi64ELi4ELi4ELb0EEvPKcS1_S1_S1_S1_PKiPfP15HIP_vector_typeIfLj2EEffffjfiS5_IjLj3EEiiiiiiiiiiiliiliiiiil
		.amdhsa_group_segment_fixed_size 24576
		.amdhsa_private_segment_fixed_size 0
		.amdhsa_kernarg_size 464
		.amdhsa_user_sgpr_count 2
		.amdhsa_user_sgpr_dispatch_ptr 0
		.amdhsa_user_sgpr_queue_ptr 0
		.amdhsa_user_sgpr_kernarg_segment_ptr 1
		.amdhsa_user_sgpr_dispatch_id 0
		.amdhsa_user_sgpr_kernarg_preload_length 0
		.amdhsa_user_sgpr_kernarg_preload_offset 0
		.amdhsa_user_sgpr_private_segment_size 0
		.amdhsa_wavefront_size32 1
		.amdhsa_uses_dynamic_stack 0
		.amdhsa_enable_private_segment 0
		.amdhsa_system_sgpr_workgroup_id_x 1
		.amdhsa_system_sgpr_workgroup_id_y 1
		.amdhsa_system_sgpr_workgroup_id_z 1
		.amdhsa_system_sgpr_workgroup_info 0
		.amdhsa_system_vgpr_workitem_id 1
		.amdhsa_next_free_vgpr 136
		.amdhsa_next_free_sgpr 43
		.amdhsa_named_barrier_count 0
		.amdhsa_reserve_vcc 1
		.amdhsa_float_round_mode_32 0
		.amdhsa_float_round_mode_16_64 0
		.amdhsa_float_denorm_mode_32 3
		.amdhsa_float_denorm_mode_16_64 3
		.amdhsa_fp16_overflow 0
		.amdhsa_memory_ordered 1
		.amdhsa_forward_progress 1
		.amdhsa_inst_pref_size 184
		.amdhsa_round_robin_scheduling 0
		.amdhsa_exception_fp_ieee_invalid_op 0
		.amdhsa_exception_fp_denorm_src 0
		.amdhsa_exception_fp_ieee_div_zero 0
		.amdhsa_exception_fp_ieee_overflow 0
		.amdhsa_exception_fp_ieee_underflow 0
		.amdhsa_exception_fp_ieee_inexact 0
		.amdhsa_exception_int_div_zero 0
	.end_amdhsa_kernel
	.section	.text._ZL15flash_attn_tileILi64ELi64ELi4ELi4ELb0EEvPKcS1_S1_S1_S1_PKiPfP15HIP_vector_typeIfLj2EEffffjfiS5_IjLj3EEiiiiiiiiiiiliiliiiiil,"axG",@progbits,_ZL15flash_attn_tileILi64ELi64ELi4ELi4ELb0EEvPKcS1_S1_S1_S1_PKiPfP15HIP_vector_typeIfLj2EEffffjfiS5_IjLj3EEiiiiiiiiiiiliiliiiiil,comdat
.Lfunc_end24:
	.size	_ZL15flash_attn_tileILi64ELi64ELi4ELi4ELb0EEvPKcS1_S1_S1_S1_PKiPfP15HIP_vector_typeIfLj2EEffffjfiS5_IjLj3EEiiiiiiiiiiiliiliiiiil, .Lfunc_end24-_ZL15flash_attn_tileILi64ELi64ELi4ELi4ELb0EEvPKcS1_S1_S1_S1_PKiPfP15HIP_vector_typeIfLj2EEffffjfiS5_IjLj3EEiiiiiiiiiiiliiliiiiil
                                        ; -- End function
	.set _ZL15flash_attn_tileILi64ELi64ELi4ELi4ELb0EEvPKcS1_S1_S1_S1_PKiPfP15HIP_vector_typeIfLj2EEffffjfiS5_IjLj3EEiiiiiiiiiiiliiliiiiil.num_vgpr, 136
	.set _ZL15flash_attn_tileILi64ELi64ELi4ELi4ELb0EEvPKcS1_S1_S1_S1_PKiPfP15HIP_vector_typeIfLj2EEffffjfiS5_IjLj3EEiiiiiiiiiiiliiliiiiil.num_agpr, 0
	.set _ZL15flash_attn_tileILi64ELi64ELi4ELi4ELb0EEvPKcS1_S1_S1_S1_PKiPfP15HIP_vector_typeIfLj2EEffffjfiS5_IjLj3EEiiiiiiiiiiiliiliiiiil.numbered_sgpr, 43
	.set _ZL15flash_attn_tileILi64ELi64ELi4ELi4ELb0EEvPKcS1_S1_S1_S1_PKiPfP15HIP_vector_typeIfLj2EEffffjfiS5_IjLj3EEiiiiiiiiiiiliiliiiiil.num_named_barrier, 0
	.set _ZL15flash_attn_tileILi64ELi64ELi4ELi4ELb0EEvPKcS1_S1_S1_S1_PKiPfP15HIP_vector_typeIfLj2EEffffjfiS5_IjLj3EEiiiiiiiiiiiliiliiiiil.private_seg_size, 0
	.set _ZL15flash_attn_tileILi64ELi64ELi4ELi4ELb0EEvPKcS1_S1_S1_S1_PKiPfP15HIP_vector_typeIfLj2EEffffjfiS5_IjLj3EEiiiiiiiiiiiliiliiiiil.uses_vcc, 1
	.set _ZL15flash_attn_tileILi64ELi64ELi4ELi4ELb0EEvPKcS1_S1_S1_S1_PKiPfP15HIP_vector_typeIfLj2EEffffjfiS5_IjLj3EEiiiiiiiiiiiliiliiiiil.uses_flat_scratch, 0
	.set _ZL15flash_attn_tileILi64ELi64ELi4ELi4ELb0EEvPKcS1_S1_S1_S1_PKiPfP15HIP_vector_typeIfLj2EEffffjfiS5_IjLj3EEiiiiiiiiiiiliiliiiiil.has_dyn_sized_stack, 0
	.set _ZL15flash_attn_tileILi64ELi64ELi4ELi4ELb0EEvPKcS1_S1_S1_S1_PKiPfP15HIP_vector_typeIfLj2EEffffjfiS5_IjLj3EEiiiiiiiiiiiliiliiiiil.has_recursion, 0
	.set _ZL15flash_attn_tileILi64ELi64ELi4ELi4ELb0EEvPKcS1_S1_S1_S1_PKiPfP15HIP_vector_typeIfLj2EEffffjfiS5_IjLj3EEiiiiiiiiiiiliiliiiiil.has_indirect_call, 0
	.section	.AMDGPU.csdata,"",@progbits
; Kernel info:
; codeLenInByte = 23456
; TotalNumSgprs: 45
; NumVgprs: 136
; ScratchSize: 0
; MemoryBound: 0
; FloatMode: 240
; IeeeMode: 1
; LDSByteSize: 24576 bytes/workgroup (compile time only)
; SGPRBlocks: 0
; VGPRBlocks: 8
; NumSGPRsForWavesPerEU: 45
; NumVGPRsForWavesPerEU: 136
; NamedBarCnt: 0
; Occupancy: 7
; WaveLimiterHint : 1
; COMPUTE_PGM_RSRC2:SCRATCH_EN: 0
; COMPUTE_PGM_RSRC2:USER_SGPR: 2
; COMPUTE_PGM_RSRC2:TRAP_HANDLER: 0
; COMPUTE_PGM_RSRC2:TGID_X_EN: 1
; COMPUTE_PGM_RSRC2:TGID_Y_EN: 1
; COMPUTE_PGM_RSRC2:TGID_Z_EN: 1
; COMPUTE_PGM_RSRC2:TIDIG_COMP_CNT: 1
	.section	.text._ZL33flash_attn_stream_k_fixup_uniformILi64ELi4ELi4EEvPfPK15HIP_vector_typeIfLj2EEiiiiiiS1_IjLj3EES5_S5_,"axG",@progbits,_ZL33flash_attn_stream_k_fixup_uniformILi64ELi4ELi4EEvPfPK15HIP_vector_typeIfLj2EEiiiiiiS1_IjLj3EES5_S5_,comdat
	.globl	_ZL33flash_attn_stream_k_fixup_uniformILi64ELi4ELi4EEvPfPK15HIP_vector_typeIfLj2EEiiiiiiS1_IjLj3EES5_S5_ ; -- Begin function _ZL33flash_attn_stream_k_fixup_uniformILi64ELi4ELi4EEvPfPK15HIP_vector_typeIfLj2EEiiiiiiS1_IjLj3EES5_S5_
	.p2align	8
	.type	_ZL33flash_attn_stream_k_fixup_uniformILi64ELi4ELi4EEvPfPK15HIP_vector_typeIfLj2EEiiiiiiS1_IjLj3EES5_S5_,@function
_ZL33flash_attn_stream_k_fixup_uniformILi64ELi4ELi4EEvPfPK15HIP_vector_typeIfLj2EEiiiiiiS1_IjLj3EES5_S5_: ; @_ZL33flash_attn_stream_k_fixup_uniformILi64ELi4ELi4EEvPfPK15HIP_vector_typeIfLj2EEiiiiiiS1_IjLj3EES5_S5_
; %bb.0:
	s_load_b256 s[4:11], s[0:1], 0x1c
	s_bfe_u32 s2, ttmp6, 0x40014
	s_lshr_b32 s3, ttmp7, 16
	s_add_co_i32 s2, s2, 1
	s_bfe_u32 s13, ttmp6, 0x40010
	s_mul_i32 s2, s3, s2
	s_bfe_u32 s12, ttmp6, 0x40008
	s_and_b32 s15, ttmp7, 0xffff
	s_add_co_i32 s13, s13, 1
	s_bfe_u32 s14, ttmp6, 0x4000c
	s_add_co_i32 s12, s12, s2
	s_mul_i32 s2, s15, s13
	s_bfe_u32 s13, ttmp6, 0x40004
	s_add_co_i32 s14, s14, 1
	s_add_co_i32 s13, s13, s2
	s_and_b32 s2, ttmp6, 15
	s_mul_i32 s14, ttmp9, s14
	s_getreg_b32 s20, hwreg(HW_REG_IB_STS2, 6, 4)
	s_add_co_i32 s2, s2, s14
	s_load_b128 s[16:19], s[0:1], 0x3c
	s_cmp_eq_u32 s20, 0
	s_cselect_b32 s14, ttmp9, s2
	s_cselect_b32 s13, s15, s13
	s_wait_kmcnt 0x0
	s_mul_hi_u32 s2, s7, s14
	s_cselect_b32 s12, s3, s12
	s_add_co_i32 s2, s14, s2
	s_delay_alu instid0(SALU_CYCLE_1) | instskip(NEXT) | instid1(SALU_CYCLE_1)
	s_lshr_b32 s7, s2, s8
	s_mul_i32 s2, s7, s9
	s_delay_alu instid0(SALU_CYCLE_1) | instskip(NEXT) | instid1(SALU_CYCLE_1)
	s_sub_co_i32 s8, s14, s2
	s_mul_hi_u32 s2, s8, s10
	s_delay_alu instid0(SALU_CYCLE_1) | instskip(SKIP_2) | instid1(SALU_CYCLE_1)
	s_add_co_i32 s9, s8, s2
	s_load_b64 s[2:3], s[0:1], 0x10
	s_lshr_b32 s15, s9, s11
	s_mul_i32 s9, s15, s16
	s_delay_alu instid0(SALU_CYCLE_1) | instskip(NEXT) | instid1(SALU_CYCLE_1)
	s_sub_co_i32 s8, s8, s9
	s_mul_hi_u32 s9, s8, s17
	s_delay_alu instid0(SALU_CYCLE_1) | instskip(NEXT) | instid1(SALU_CYCLE_1)
	s_add_co_i32 s9, s8, s9
	s_lshr_b32 s9, s9, s18
	s_delay_alu instid0(SALU_CYCLE_1) | instskip(SKIP_2) | instid1(SALU_CYCLE_1)
	s_mul_i32 s10, s9, s19
	s_lshl_b32 s17, s9, 2
	s_sub_co_i32 s16, s8, s10
	s_lshl_b32 s8, s16, 2
	s_delay_alu instid0(SALU_CYCLE_1) | instskip(SKIP_4) | instid1(SALU_CYCLE_1)
	s_add_co_i32 s8, s8, s13
	s_wait_kmcnt 0x0
	s_cmp_lt_i32 s8, s2
	s_cselect_b32 s8, -1, 0
	s_add_co_i32 s9, s17, s12
	s_cmp_lt_i32 s9, s5
	s_cselect_b32 s9, -1, 0
	s_delay_alu instid0(SALU_CYCLE_1) | instskip(NEXT) | instid1(SALU_CYCLE_1)
	s_and_b32 s8, s8, s9
	s_and_not1_b32 vcc_lo, exec_lo, s8
	s_cbranch_vccnz .LBB25_6
; %bb.1:
	s_mul_i32 s2, s7, s2
	s_load_b128 s[8:11], s[0:1], 0x0
	s_wait_xcnt 0x0
	s_add_co_i32 s0, s2, s13
	s_mul_i32 s15, s15, s5
	s_mul_i32 s0, s0, s3
	;; [unrolled: 1-line block ×3, first 2 shown]
	s_add_co_i32 s0, s0, s12
	s_lshl_b32 s1, s1, 8
	s_add_co_i32 s0, s0, s15
	s_mul_i32 s7, s6, s14
	s_add_co_i32 s0, s0, s17
	s_lshl_b32 s5, s13, 2
	s_lshl_b32 s0, s0, 6
	s_add_co_i32 s15, s7, s6
	s_add_co_i32 s1, s1, s0
	;; [unrolled: 1-line block ×3, first 2 shown]
	v_or_b32_e32 v4, s1, v0
	s_lshl_b32 s1, s15, 4
	s_add_co_i32 s2, s15, -2
	s_add_co_i32 s0, s0, s1
	s_delay_alu instid0(SALU_CYCLE_1)
	s_add_co_i32 s0, s0, -16
	s_wait_kmcnt 0x0
	global_load_b32 v3, v4, s[8:9] scale_offset
	s_ashr_i32 s1, s0, 31
	v_ashrrev_i32_e32 v5, 31, v4
	s_lshl_b64 s[0:1], s[0:1], 3
	s_cmp_lt_i32 s2, s7
	s_add_nc_u64 s[0:1], s[10:11], s[0:1]
	s_load_b32 s16, s[0:1], 0x4
	s_cbranch_scc1 .LBB25_4
; %bb.2:
	s_wait_xcnt 0x0
	s_load_b32 s0, s[0:1], 0x0
	s_add_co_i32 s14, s14, 1
	s_lshl_b32 s3, s13, 8
	s_wait_xcnt 0x0
	s_mul_i32 s1, s6, s14
	s_lshl_b32 s6, s12, 6
	s_lshl_b32 s13, s1, 10
	s_add_co_i32 s6, s6, s3
	s_lshl_b32 s1, s1, 4
	s_add_co_i32 s6, s6, s13
	s_lshl_b32 s2, s4, 6
	s_wait_kmcnt 0x0
	v_dual_mov_b32 v2, s16 :: v_dual_bitop2_b32 v0, s6, v0 bitop3:0x54
	s_add_co_i32 s1, s12, s1
	s_lshl_b32 s4, s4, 4
	s_ashr_i32 s3, s2, 31
	s_add_co_i32 s1, s1, s4
	v_add_nc_u32_e32 v0, 0xfffff800, v0
	s_lshl_b64 s[2:3], s[2:3], 2
	s_add_co_i32 s4, s1, s5
	s_add_nc_u64 s[2:3], s[10:11], s[2:3]
	s_add_co_i32 s1, s15, -1
	s_sub_co_i32 s4, s4, 32
.LBB25_3:                               ; =>This Inner Loop Header: Depth=1
	global_load_b32 v7, v0, s[2:3] scale_offset
	s_ashr_i32 s5, s4, 31
	v_max_num_f32_e64 v1, s0, s0
	s_lshl_b64 s[12:13], s[4:5], 3
	s_delay_alu instid0(SALU_CYCLE_1) | instskip(SKIP_1) | instid1(VALU_DEP_1)
	s_add_nc_u64 s[12:13], s[10:11], s[12:13]
	s_load_b64 s[12:13], s[12:13], 0x0
	v_readfirstlane_b32 s5, v1
	v_add_nc_u32_e32 v0, 0xfffffc00, v0
	s_wait_kmcnt 0x0
	v_max_num_f32_e64 v1, s12, s12
	s_delay_alu instid0(VALU_DEP_1) | instskip(SKIP_1) | instid1(SALU_CYCLE_3)
	v_readfirstlane_b32 s6, v1
	s_max_num_f32 s5, s5, s6
	s_sub_f32 s0, s0, s5
	s_sub_f32 s6, s12, s5
	s_delay_alu instid0(SALU_CYCLE_2) | instskip(NEXT) | instid1(SALU_CYCLE_2)
	s_mul_f32 s12, s0, 0x3fb8aa3b
	s_mul_f32 s14, s6, 0x3fb8aa3b
	s_delay_alu instid0(SALU_CYCLE_2)
	s_xor_b32 s15, s12, 0x80000000
	s_rndne_f32 s16, s12
	s_fmamk_f32 s15, s0, 0x3fb8aa3b, s15
	s_cmp_nlt_f32 s0, 0xc2ce8ed0
	s_rndne_f32 s17, s14
	s_sub_f32 s12, s12, s16
	s_fmamk_f32 s15, s0, 0x32a5705f, s15
	s_cselect_b32 vcc_lo, -1, 0
	s_cmp_ngt_f32 s0, 0x42b17218
	s_delay_alu instid0(SALU_CYCLE_1) | instskip(SKIP_2) | instid1(SALU_CYCLE_1)
	s_add_f32 s12, s12, s15
	s_cvt_i32_f32 s15, s16
	s_sub_f32 s16, s14, s17
	v_s_exp_f32 s12, s12
	v_nop
	s_delay_alu instid0(TRANS32_DEP_1) | instskip(SKIP_1) | instid1(VALU_DEP_1)
	v_ldexp_f32 v1, s12, s15
	s_cvt_i32_f32 s12, s17
	v_cndmask_b32_e32 v1, 0, v1, vcc_lo
	s_cselect_b32 vcc_lo, -1, 0
	s_cmp_ge_f32 s0, 0xc1a00000
	s_delay_alu instid0(VALU_DEP_1)
	v_cndmask_b32_e32 v1, 0x7f800000, v1, vcc_lo
	s_cselect_b32 vcc_lo, -1, 0
	s_xor_b32 s0, s14, 0x80000000
	s_cmp_nlt_f32 s6, 0xc2ce8ed0
	s_fmamk_f32 s0, s6, 0x3fb8aa3b, s0
	v_cndmask_b32_e32 v10, 0, v1, vcc_lo
	s_delay_alu instid0(SALU_CYCLE_2) | instskip(NEXT) | instid1(SALU_CYCLE_3)
	s_fmamk_f32 s0, s6, 0x32a5705f, s0
	s_add_f32 s0, s16, s0
	s_delay_alu instid0(SALU_CYCLE_3) | instskip(SKIP_1) | instid1(TRANS32_DEP_1)
	v_s_exp_f32 s0, s0
	v_nop
	v_ldexp_f32 v6, s0, s12
	s_cselect_b32 s0, -1, 0
	s_cmp_ngt_f32 s6, 0x42b17218
	s_delay_alu instid0(VALU_DEP_1) | instskip(SKIP_2) | instid1(VALU_DEP_1)
	v_cndmask_b32_e64 v6, 0, v6, s0
	s_cselect_b32 s0, -1, 0
	s_cmp_ge_f32 s6, 0xc1a00000
	v_cndmask_b32_e64 v8, 0x7f800000, v6, s0
	s_cselect_b32 s0, -1, 0
	v_mov_b32_e32 v6, s13
	s_add_co_i32 s1, s1, -1
	s_add_co_i32 s4, s4, -16
	v_cndmask_b32_e64 v8, 0, v8, s0
	s_cmp_le_i32 s1, s7
	s_mov_b32 s0, s5
	s_wait_loadcnt 0x0
	s_delay_alu instid0(VALU_DEP_1) | instskip(NEXT) | instid1(VALU_DEP_1)
	v_pk_mul_f32 v[6:7], v[6:7], v[8:9] op_sel_hi:[1,0]
	v_pk_fma_f32 v[2:3], v[2:3], v[10:11], v[6:7] op_sel_hi:[1,0,1]
	s_cbranch_scc0 .LBB25_3
	s_branch .LBB25_5
.LBB25_4:
	s_wait_kmcnt 0x0
	v_mov_b32_e32 v2, s16
.LBB25_5:
	v_lshl_add_u64 v[0:1], v[4:5], 2, s[8:9]
	s_wait_loadcnt 0x0
	s_delay_alu instid0(VALU_DEP_2) | instskip(NEXT) | instid1(VALU_DEP_1)
	v_div_scale_f32 v4, null, v2, v2, v3
	v_rcp_f32_e32 v5, v4
	v_nop
	s_delay_alu instid0(TRANS32_DEP_1) | instskip(NEXT) | instid1(VALU_DEP_1)
	v_fma_f32 v6, -v4, v5, 1.0
	v_fmac_f32_e32 v5, v6, v5
	v_div_scale_f32 v6, vcc_lo, v3, v2, v3
	s_delay_alu instid0(VALU_DEP_1) | instskip(NEXT) | instid1(VALU_DEP_1)
	v_mul_f32_e32 v7, v6, v5
	v_fma_f32 v8, -v4, v7, v6
	s_delay_alu instid0(VALU_DEP_1) | instskip(NEXT) | instid1(VALU_DEP_1)
	v_fmac_f32_e32 v7, v8, v5
	v_fma_f32 v4, -v4, v7, v6
	s_delay_alu instid0(VALU_DEP_1) | instskip(NEXT) | instid1(VALU_DEP_1)
	v_div_fmas_f32 v4, v4, v5, v7
	v_div_fixup_f32 v2, v4, v2, v3
	global_store_b32 v[0:1], v2, off
.LBB25_6:
	s_endpgm
	.section	.rodata,"a",@progbits
	.p2align	6, 0x0
	.amdhsa_kernel _ZL33flash_attn_stream_k_fixup_uniformILi64ELi4ELi4EEvPfPK15HIP_vector_typeIfLj2EEiiiiiiS1_IjLj3EES5_S5_
		.amdhsa_group_segment_fixed_size 0
		.amdhsa_private_segment_fixed_size 0
		.amdhsa_kernarg_size 76
		.amdhsa_user_sgpr_count 2
		.amdhsa_user_sgpr_dispatch_ptr 0
		.amdhsa_user_sgpr_queue_ptr 0
		.amdhsa_user_sgpr_kernarg_segment_ptr 1
		.amdhsa_user_sgpr_dispatch_id 0
		.amdhsa_user_sgpr_kernarg_preload_length 0
		.amdhsa_user_sgpr_kernarg_preload_offset 0
		.amdhsa_user_sgpr_private_segment_size 0
		.amdhsa_wavefront_size32 1
		.amdhsa_uses_dynamic_stack 0
		.amdhsa_enable_private_segment 0
		.amdhsa_system_sgpr_workgroup_id_x 1
		.amdhsa_system_sgpr_workgroup_id_y 1
		.amdhsa_system_sgpr_workgroup_id_z 1
		.amdhsa_system_sgpr_workgroup_info 0
		.amdhsa_system_vgpr_workitem_id 0
		.amdhsa_next_free_vgpr 12
		.amdhsa_next_free_sgpr 21
		.amdhsa_named_barrier_count 0
		.amdhsa_reserve_vcc 1
		.amdhsa_float_round_mode_32 0
		.amdhsa_float_round_mode_16_64 0
		.amdhsa_float_denorm_mode_32 3
		.amdhsa_float_denorm_mode_16_64 3
		.amdhsa_fp16_overflow 0
		.amdhsa_memory_ordered 1
		.amdhsa_forward_progress 1
		.amdhsa_inst_pref_size 9
		.amdhsa_round_robin_scheduling 0
		.amdhsa_exception_fp_ieee_invalid_op 0
		.amdhsa_exception_fp_denorm_src 0
		.amdhsa_exception_fp_ieee_div_zero 0
		.amdhsa_exception_fp_ieee_overflow 0
		.amdhsa_exception_fp_ieee_underflow 0
		.amdhsa_exception_fp_ieee_inexact 0
		.amdhsa_exception_int_div_zero 0
	.end_amdhsa_kernel
	.section	.text._ZL33flash_attn_stream_k_fixup_uniformILi64ELi4ELi4EEvPfPK15HIP_vector_typeIfLj2EEiiiiiiS1_IjLj3EES5_S5_,"axG",@progbits,_ZL33flash_attn_stream_k_fixup_uniformILi64ELi4ELi4EEvPfPK15HIP_vector_typeIfLj2EEiiiiiiS1_IjLj3EES5_S5_,comdat
.Lfunc_end25:
	.size	_ZL33flash_attn_stream_k_fixup_uniformILi64ELi4ELi4EEvPfPK15HIP_vector_typeIfLj2EEiiiiiiS1_IjLj3EES5_S5_, .Lfunc_end25-_ZL33flash_attn_stream_k_fixup_uniformILi64ELi4ELi4EEvPfPK15HIP_vector_typeIfLj2EEiiiiiiS1_IjLj3EES5_S5_
                                        ; -- End function
	.set _ZL33flash_attn_stream_k_fixup_uniformILi64ELi4ELi4EEvPfPK15HIP_vector_typeIfLj2EEiiiiiiS1_IjLj3EES5_S5_.num_vgpr, 12
	.set _ZL33flash_attn_stream_k_fixup_uniformILi64ELi4ELi4EEvPfPK15HIP_vector_typeIfLj2EEiiiiiiS1_IjLj3EES5_S5_.num_agpr, 0
	.set _ZL33flash_attn_stream_k_fixup_uniformILi64ELi4ELi4EEvPfPK15HIP_vector_typeIfLj2EEiiiiiiS1_IjLj3EES5_S5_.numbered_sgpr, 21
	.set _ZL33flash_attn_stream_k_fixup_uniformILi64ELi4ELi4EEvPfPK15HIP_vector_typeIfLj2EEiiiiiiS1_IjLj3EES5_S5_.num_named_barrier, 0
	.set _ZL33flash_attn_stream_k_fixup_uniformILi64ELi4ELi4EEvPfPK15HIP_vector_typeIfLj2EEiiiiiiS1_IjLj3EES5_S5_.private_seg_size, 0
	.set _ZL33flash_attn_stream_k_fixup_uniformILi64ELi4ELi4EEvPfPK15HIP_vector_typeIfLj2EEiiiiiiS1_IjLj3EES5_S5_.uses_vcc, 1
	.set _ZL33flash_attn_stream_k_fixup_uniformILi64ELi4ELi4EEvPfPK15HIP_vector_typeIfLj2EEiiiiiiS1_IjLj3EES5_S5_.uses_flat_scratch, 0
	.set _ZL33flash_attn_stream_k_fixup_uniformILi64ELi4ELi4EEvPfPK15HIP_vector_typeIfLj2EEiiiiiiS1_IjLj3EES5_S5_.has_dyn_sized_stack, 0
	.set _ZL33flash_attn_stream_k_fixup_uniformILi64ELi4ELi4EEvPfPK15HIP_vector_typeIfLj2EEiiiiiiS1_IjLj3EES5_S5_.has_recursion, 0
	.set _ZL33flash_attn_stream_k_fixup_uniformILi64ELi4ELi4EEvPfPK15HIP_vector_typeIfLj2EEiiiiiiS1_IjLj3EES5_S5_.has_indirect_call, 0
	.section	.AMDGPU.csdata,"",@progbits
; Kernel info:
; codeLenInByte = 1092
; TotalNumSgprs: 23
; NumVgprs: 12
; ScratchSize: 0
; MemoryBound: 0
; FloatMode: 240
; IeeeMode: 1
; LDSByteSize: 0 bytes/workgroup (compile time only)
; SGPRBlocks: 0
; VGPRBlocks: 0
; NumSGPRsForWavesPerEU: 23
; NumVGPRsForWavesPerEU: 12
; NamedBarCnt: 0
; Occupancy: 16
; WaveLimiterHint : 0
; COMPUTE_PGM_RSRC2:SCRATCH_EN: 0
; COMPUTE_PGM_RSRC2:USER_SGPR: 2
; COMPUTE_PGM_RSRC2:TRAP_HANDLER: 0
; COMPUTE_PGM_RSRC2:TGID_X_EN: 1
; COMPUTE_PGM_RSRC2:TGID_Y_EN: 1
; COMPUTE_PGM_RSRC2:TGID_Z_EN: 1
; COMPUTE_PGM_RSRC2:TIDIG_COMP_CNT: 0
	.section	.text._ZL33flash_attn_stream_k_fixup_generalILi64ELi4ELi4EEvPfPK15HIP_vector_typeIfLj2EEiiiiS1_IjLj3EES5_S5_S5_,"axG",@progbits,_ZL33flash_attn_stream_k_fixup_generalILi64ELi4ELi4EEvPfPK15HIP_vector_typeIfLj2EEiiiiS1_IjLj3EES5_S5_S5_,comdat
	.globl	_ZL33flash_attn_stream_k_fixup_generalILi64ELi4ELi4EEvPfPK15HIP_vector_typeIfLj2EEiiiiS1_IjLj3EES5_S5_S5_ ; -- Begin function _ZL33flash_attn_stream_k_fixup_generalILi64ELi4ELi4EEvPfPK15HIP_vector_typeIfLj2EEiiiiS1_IjLj3EES5_S5_S5_
	.p2align	8
	.type	_ZL33flash_attn_stream_k_fixup_generalILi64ELi4ELi4EEvPfPK15HIP_vector_typeIfLj2EEiiiiS1_IjLj3EES5_S5_S5_,@function
_ZL33flash_attn_stream_k_fixup_generalILi64ELi4ELi4EEvPfPK15HIP_vector_typeIfLj2EEiiiiS1_IjLj3EES5_S5_S5_: ; @_ZL33flash_attn_stream_k_fixup_generalILi64ELi4ELi4EEvPfPK15HIP_vector_typeIfLj2EEiiiiS1_IjLj3EES5_S5_S5_
; %bb.0:
	s_clause 0x1
	s_load_b128 s[4:7], s[0:1], 0x10
	s_load_b32 s16, s[0:1], 0x50
	s_bfe_u32 s2, ttmp6, 0x4000c
	s_and_b32 s3, ttmp6, 15
	s_add_co_i32 s2, s2, 1
	s_getreg_b32 s15, hwreg(HW_REG_IB_STS2, 6, 4)
	s_mul_i32 s2, ttmp9, s2
	s_mov_b32 s17, 0
	s_add_co_i32 s3, s3, s2
	s_cmp_eq_u32 s15, 0
	s_cselect_b32 s2, ttmp9, s3
	s_delay_alu instid0(SALU_CYCLE_1) | instskip(SKIP_3) | instid1(SALU_CYCLE_1)
	s_ashr_i32 s3, s2, 31
	s_wait_kmcnt 0x0
	s_ashr_i32 s19, s7, 31
	s_mov_b32 s18, s7
	s_mul_u64 s[8:9], s[18:19], s[2:3]
	s_delay_alu instid0(SALU_CYCLE_1) | instskip(NEXT) | instid1(SALU_CYCLE_1)
	s_and_b64 s[10:11], s[8:9], 0xffffffff00000000
	s_cmp_lg_u64 s[10:11], 0
	s_cbranch_scc0 .LBB26_21
; %bb.1:
	s_add_nc_u64 s[10:11], s[16:17], 0
	s_mov_b32 s23, s17
	s_xor_b64 s[10:11], s[10:11], 0
	s_mov_b32 s27, s17
	s_cvt_f32_u32 s3, s10
	s_cvt_f32_u32 s7, s11
	s_sub_nc_u64 s[20:21], 0, s[10:11]
	s_delay_alu instid0(SALU_CYCLE_2) | instskip(NEXT) | instid1(SALU_CYCLE_3)
	s_fmamk_f32 s3, s7, 0x4f800000, s3
	v_s_rcp_f32 s3, s3
	s_delay_alu instid0(TRANS32_DEP_1) | instskip(NEXT) | instid1(SALU_CYCLE_3)
	s_mul_f32 s3, s3, 0x5f7ffffc
	s_mul_f32 s7, s3, 0x2f800000
	s_delay_alu instid0(SALU_CYCLE_3) | instskip(NEXT) | instid1(SALU_CYCLE_3)
	s_trunc_f32 s7, s7
	s_fmamk_f32 s3, s7, 0xcf800000, s3
	s_cvt_u32_f32 s13, s7
	s_delay_alu instid0(SALU_CYCLE_2) | instskip(NEXT) | instid1(SALU_CYCLE_3)
	s_cvt_u32_f32 s12, s3
	s_mul_u64 s[24:25], s[20:21], s[12:13]
	s_delay_alu instid0(SALU_CYCLE_1)
	s_mul_hi_u32 s29, s12, s25
	s_mul_i32 s28, s12, s25
	s_mul_hi_u32 s22, s12, s24
	s_mul_i32 s7, s13, s24
	s_add_nc_u64 s[22:23], s[22:23], s[28:29]
	s_mul_hi_u32 s3, s13, s24
	s_mul_hi_u32 s14, s13, s25
	s_add_co_u32 s7, s22, s7
	s_add_co_ci_u32 s26, s23, s3
	s_mul_i32 s24, s13, s25
	s_add_co_ci_u32 s25, s14, 0
	s_delay_alu instid0(SALU_CYCLE_1) | instskip(SKIP_3) | instid1(SALU_CYCLE_1)
	s_add_nc_u64 s[22:23], s[26:27], s[24:25]
	s_mov_b32 s25, s17
	s_add_co_u32 s12, s12, s22
	s_cselect_b32 s3, -1, 0
	s_cmp_lg_u32 s3, 0
	s_add_co_ci_u32 s13, s13, s23
	s_mov_b32 s23, s17
	s_mul_u64 s[20:21], s[20:21], s[12:13]
	s_delay_alu instid0(SALU_CYCLE_1)
	s_mul_hi_u32 s27, s12, s21
	s_mul_i32 s26, s12, s21
	s_mul_hi_u32 s22, s12, s20
	s_mul_i32 s7, s13, s20
	s_add_nc_u64 s[22:23], s[22:23], s[26:27]
	s_mul_hi_u32 s3, s13, s20
	s_mul_hi_u32 s14, s13, s21
	s_add_co_u32 s7, s22, s7
	s_add_co_ci_u32 s24, s23, s3
	s_mul_i32 s20, s13, s21
	s_add_co_ci_u32 s21, s14, 0
	s_mov_b32 s23, s17
	s_add_nc_u64 s[20:21], s[24:25], s[20:21]
	s_delay_alu instid0(SALU_CYCLE_1) | instskip(SKIP_1) | instid1(SALU_CYCLE_1)
	s_add_co_u32 s3, s12, s20
	s_cselect_b32 s7, -1, 0
	s_cmp_lg_u32 s7, 0
	s_add_co_ci_u32 s7, s13, s21
	s_ashr_i32 s12, s9, 31
	s_delay_alu instid0(SALU_CYCLE_1) | instskip(NEXT) | instid1(SALU_CYCLE_1)
	s_mov_b32 s13, s12
	s_add_nc_u64 s[20:21], s[8:9], s[12:13]
	s_delay_alu instid0(SALU_CYCLE_1) | instskip(NEXT) | instid1(SALU_CYCLE_1)
	s_xor_b64 s[20:21], s[20:21], s[12:13]
	s_mul_hi_u32 s27, s20, s7
	s_mul_i32 s26, s20, s7
	s_mul_hi_u32 s22, s20, s3
	s_mul_hi_u32 s14, s21, s3
	s_mul_i32 s3, s21, s3
	s_add_nc_u64 s[22:23], s[22:23], s[26:27]
	s_mul_hi_u32 s9, s21, s7
	s_add_co_u32 s3, s22, s3
	s_add_co_ci_u32 s24, s23, s14
	s_mul_i32 s26, s21, s7
	s_add_co_ci_u32 s27, s9, 0
	s_delay_alu instid0(SALU_CYCLE_1) | instskip(NEXT) | instid1(SALU_CYCLE_1)
	s_add_nc_u64 s[22:23], s[24:25], s[26:27]
	s_and_b64 s[24:25], s[22:23], 0xffffffff00000000
	s_delay_alu instid0(SALU_CYCLE_1) | instskip(NEXT) | instid1(SALU_CYCLE_1)
	s_or_b32 s24, s24, s22
	s_mul_u64 s[22:23], s[10:11], s[24:25]
	s_add_nc_u64 s[26:27], s[24:25], 1
	s_sub_co_u32 s3, s20, s22
	s_cselect_b32 s7, -1, 0
	s_sub_co_i32 s9, s21, s23
	s_cmp_lg_u32 s7, 0
	s_add_nc_u64 s[28:29], s[24:25], 2
	s_sub_co_ci_u32 s9, s9, s11
	s_sub_co_u32 s14, s3, s10
	s_cselect_b32 s20, -1, 0
	s_delay_alu instid0(SALU_CYCLE_1) | instskip(SKIP_1) | instid1(SALU_CYCLE_1)
	s_cmp_lg_u32 s20, 0
	s_sub_co_ci_u32 s9, s9, 0
	s_cmp_ge_u32 s9, s11
	s_cselect_b32 s20, -1, 0
	s_cmp_ge_u32 s14, s10
	s_cselect_b32 s14, -1, 0
	s_cmp_eq_u32 s9, s11
	s_cselect_b32 s9, s14, s20
	s_delay_alu instid0(SALU_CYCLE_1) | instskip(SKIP_4) | instid1(SALU_CYCLE_1)
	s_cmp_lg_u32 s9, 0
	s_cselect_b32 s9, s28, s26
	s_cselect_b32 s14, s29, s27
	s_cmp_lg_u32 s7, 0
	s_sub_co_ci_u32 s7, s21, s23
	s_cmp_ge_u32 s7, s11
	s_cselect_b32 s20, -1, 0
	s_cmp_ge_u32 s3, s10
	s_cselect_b32 s3, -1, 0
	s_cmp_eq_u32 s7, s11
	s_cselect_b32 s3, s3, s20
	s_delay_alu instid0(SALU_CYCLE_1) | instskip(SKIP_4) | instid1(SALU_CYCLE_1)
	s_cmp_lg_u32 s3, 0
	s_mov_b32 s3, s17
	s_cselect_b32 s11, s14, s25
	s_cselect_b32 s10, s9, s24
	s_xor_b64 s[12:13], s[12:13], 0
	s_xor_b64 s[10:11], s[10:11], s[12:13]
	s_delay_alu instid0(SALU_CYCLE_1)
	s_sub_nc_u64 s[20:21], s[10:11], s[12:13]
	s_and_not1_b32 vcc_lo, exec_lo, s3
	s_cbranch_vccnz .LBB26_3
.LBB26_2:
	v_cvt_f32_u32_e32 v1, s16
	s_sub_co_i32 s7, 0, s16
	s_mov_b32 s21, 0
	s_delay_alu instid0(VALU_DEP_1) | instskip(SKIP_1) | instid1(TRANS32_DEP_1)
	v_rcp_iflag_f32_e32 v1, v1
	v_nop
	v_mul_f32_e32 v1, 0x4f7ffffe, v1
	s_delay_alu instid0(VALU_DEP_1) | instskip(NEXT) | instid1(VALU_DEP_1)
	v_cvt_u32_f32_e32 v1, v1
	v_readfirstlane_b32 s3, v1
	s_mul_i32 s7, s7, s3
	s_delay_alu instid0(SALU_CYCLE_1) | instskip(NEXT) | instid1(SALU_CYCLE_1)
	s_mul_hi_u32 s7, s3, s7
	s_add_co_i32 s3, s3, s7
	s_delay_alu instid0(SALU_CYCLE_1) | instskip(NEXT) | instid1(SALU_CYCLE_1)
	s_mul_hi_u32 s3, s8, s3
	s_mul_i32 s7, s3, s16
	s_delay_alu instid0(SALU_CYCLE_1)
	s_sub_co_i32 s7, s8, s7
	s_add_co_i32 s8, s3, 1
	s_sub_co_i32 s9, s7, s16
	s_cmp_ge_u32 s7, s16
	s_cselect_b32 s3, s8, s3
	s_cselect_b32 s7, s9, s7
	s_add_co_i32 s8, s3, 1
	s_cmp_ge_u32 s7, s16
	s_cselect_b32 s20, s8, s3
.LBB26_3:
	s_add_co_i32 s8, s2, 1
	s_delay_alu instid0(SALU_CYCLE_1) | instskip(NEXT) | instid1(SALU_CYCLE_1)
	s_ashr_i32 s9, s8, 31
	s_mul_u64 s[8:9], s[18:19], s[8:9]
	s_delay_alu instid0(SALU_CYCLE_1) | instskip(NEXT) | instid1(SALU_CYCLE_1)
	s_and_b64 s[10:11], s[8:9], 0xffffffff00000000
	s_cmp_lg_u64 s[10:11], 0
	s_cbranch_scc0 .LBB26_22
; %bb.4:
	s_add_nc_u64 s[10:11], s[16:17], 0
	s_delay_alu instid0(SALU_CYCLE_1) | instskip(SKIP_4) | instid1(SALU_CYCLE_2)
	s_xor_b64 s[12:13], s[10:11], 0
	s_mov_b32 s11, 0
	s_cvt_f32_u32 s3, s12
	s_cvt_f32_u32 s7, s13
	s_sub_nc_u64 s[24:25], 0, s[12:13]
	s_fmamk_f32 s3, s7, 0x4f800000, s3
	s_delay_alu instid0(SALU_CYCLE_3) | instskip(NEXT) | instid1(TRANS32_DEP_1)
	v_s_rcp_f32 s3, s3
	s_mul_f32 s3, s3, 0x5f7ffffc
	s_delay_alu instid0(SALU_CYCLE_3) | instskip(NEXT) | instid1(SALU_CYCLE_3)
	s_mul_f32 s7, s3, 0x2f800000
	s_trunc_f32 s7, s7
	s_delay_alu instid0(SALU_CYCLE_3) | instskip(SKIP_1) | instid1(SALU_CYCLE_2)
	s_fmamk_f32 s3, s7, 0xcf800000, s3
	s_cvt_u32_f32 s23, s7
	s_cvt_u32_f32 s22, s3
	s_delay_alu instid0(SALU_CYCLE_3) | instskip(NEXT) | instid1(SALU_CYCLE_1)
	s_mul_u64 s[26:27], s[24:25], s[22:23]
	s_mul_hi_u32 s29, s22, s27
	s_mul_i32 s28, s22, s27
	s_mul_hi_u32 s10, s22, s26
	s_mul_i32 s7, s23, s26
	s_add_nc_u64 s[28:29], s[10:11], s[28:29]
	s_mul_hi_u32 s3, s23, s26
	s_mul_hi_u32 s14, s23, s27
	s_add_co_u32 s7, s28, s7
	s_add_co_ci_u32 s10, s29, s3
	s_mul_i32 s26, s23, s27
	s_add_co_ci_u32 s27, s14, 0
	s_delay_alu instid0(SALU_CYCLE_1) | instskip(NEXT) | instid1(SALU_CYCLE_1)
	s_add_nc_u64 s[26:27], s[10:11], s[26:27]
	s_add_co_u32 s22, s22, s26
	s_cselect_b32 s3, -1, 0
	s_delay_alu instid0(SALU_CYCLE_1) | instskip(SKIP_1) | instid1(SALU_CYCLE_1)
	s_cmp_lg_u32 s3, 0
	s_add_co_ci_u32 s23, s23, s27
	s_mul_u64 s[24:25], s[24:25], s[22:23]
	s_delay_alu instid0(SALU_CYCLE_1)
	s_mul_hi_u32 s27, s22, s25
	s_mul_i32 s26, s22, s25
	s_mul_hi_u32 s10, s22, s24
	s_mul_i32 s7, s23, s24
	s_add_nc_u64 s[26:27], s[10:11], s[26:27]
	s_mul_hi_u32 s3, s23, s24
	s_mul_hi_u32 s14, s23, s25
	s_add_co_u32 s7, s26, s7
	s_add_co_ci_u32 s10, s27, s3
	s_mul_i32 s24, s23, s25
	s_add_co_ci_u32 s25, s14, 0
	s_delay_alu instid0(SALU_CYCLE_1) | instskip(NEXT) | instid1(SALU_CYCLE_1)
	s_add_nc_u64 s[24:25], s[10:11], s[24:25]
	s_add_co_u32 s3, s22, s24
	s_cselect_b32 s7, -1, 0
	s_delay_alu instid0(SALU_CYCLE_1) | instskip(SKIP_2) | instid1(SALU_CYCLE_1)
	s_cmp_lg_u32 s7, 0
	s_add_co_ci_u32 s7, s23, s25
	s_ashr_i32 s22, s9, 31
	s_mov_b32 s23, s22
	s_delay_alu instid0(SALU_CYCLE_1) | instskip(NEXT) | instid1(SALU_CYCLE_1)
	s_add_nc_u64 s[24:25], s[8:9], s[22:23]
	s_xor_b64 s[24:25], s[24:25], s[22:23]
	s_delay_alu instid0(SALU_CYCLE_1)
	s_mul_hi_u32 s27, s24, s7
	s_mul_i32 s26, s24, s7
	s_mul_hi_u32 s10, s24, s3
	s_mul_hi_u32 s14, s25, s3
	s_mul_i32 s3, s25, s3
	s_add_nc_u64 s[26:27], s[10:11], s[26:27]
	s_mul_hi_u32 s9, s25, s7
	s_add_co_u32 s3, s26, s3
	s_add_co_ci_u32 s10, s27, s14
	s_mul_i32 s28, s25, s7
	s_add_co_ci_u32 s29, s9, 0
	s_delay_alu instid0(SALU_CYCLE_1) | instskip(NEXT) | instid1(SALU_CYCLE_1)
	s_add_nc_u64 s[26:27], s[10:11], s[28:29]
	s_and_b64 s[28:29], s[26:27], 0xffffffff00000000
	s_delay_alu instid0(SALU_CYCLE_1) | instskip(NEXT) | instid1(SALU_CYCLE_1)
	s_or_b32 s28, s28, s26
	s_mul_u64 s[26:27], s[12:13], s[28:29]
	s_add_nc_u64 s[30:31], s[28:29], 1
	s_sub_co_u32 s3, s24, s26
	s_cselect_b32 s7, -1, 0
	s_sub_co_i32 s9, s25, s27
	s_cmp_lg_u32 s7, 0
	s_add_nc_u64 s[34:35], s[28:29], 2
	s_sub_co_ci_u32 s9, s9, s13
	s_sub_co_u32 s10, s3, s12
	s_cselect_b32 s14, -1, 0
	s_delay_alu instid0(SALU_CYCLE_1) | instskip(SKIP_1) | instid1(SALU_CYCLE_1)
	s_cmp_lg_u32 s14, 0
	s_sub_co_ci_u32 s9, s9, 0
	s_cmp_ge_u32 s9, s13
	s_cselect_b32 s14, -1, 0
	s_cmp_ge_u32 s10, s12
	s_cselect_b32 s10, -1, 0
	s_cmp_eq_u32 s9, s13
	s_cselect_b32 s9, s10, s14
	s_delay_alu instid0(SALU_CYCLE_1) | instskip(SKIP_4) | instid1(SALU_CYCLE_1)
	s_cmp_lg_u32 s9, 0
	s_cselect_b32 s9, s34, s30
	s_cselect_b32 s10, s35, s31
	s_cmp_lg_u32 s7, 0
	s_sub_co_ci_u32 s7, s25, s27
	s_cmp_ge_u32 s7, s13
	s_cselect_b32 s14, -1, 0
	s_cmp_ge_u32 s3, s12
	s_cselect_b32 s3, -1, 0
	s_cmp_eq_u32 s7, s13
	s_cselect_b32 s3, s3, s14
	s_delay_alu instid0(SALU_CYCLE_1) | instskip(SKIP_3) | instid1(SALU_CYCLE_1)
	s_cmp_lg_u32 s3, 0
	s_cselect_b32 s13, s10, s29
	s_cselect_b32 s12, s9, s28
	s_xor_b64 s[22:23], s[22:23], 0
	s_xor_b64 s[12:13], s[12:13], s[22:23]
	s_delay_alu instid0(SALU_CYCLE_1)
	s_sub_nc_u64 s[24:25], s[12:13], s[22:23]
	s_load_b96 s[12:14], s[0:1], 0x44
	s_cbranch_execnz .LBB26_6
.LBB26_5:
	v_cvt_f32_u32_e32 v1, s16
	s_sub_co_i32 s7, 0, s16
	s_delay_alu instid0(VALU_DEP_1) | instskip(SKIP_1) | instid1(TRANS32_DEP_1)
	v_rcp_iflag_f32_e32 v1, v1
	v_nop
	v_mul_f32_e32 v1, 0x4f7ffffe, v1
	s_delay_alu instid0(VALU_DEP_1) | instskip(NEXT) | instid1(VALU_DEP_1)
	v_cvt_u32_f32_e32 v1, v1
	v_readfirstlane_b32 s3, v1
	s_mul_i32 s7, s7, s3
	s_delay_alu instid0(SALU_CYCLE_1) | instskip(NEXT) | instid1(SALU_CYCLE_1)
	s_mul_hi_u32 s7, s3, s7
	s_add_co_i32 s3, s3, s7
	s_delay_alu instid0(SALU_CYCLE_1) | instskip(NEXT) | instid1(SALU_CYCLE_1)
	s_mul_hi_u32 s3, s8, s3
	s_mul_i32 s7, s3, s16
	s_delay_alu instid0(SALU_CYCLE_1)
	s_sub_co_i32 s7, s8, s7
	s_add_co_i32 s8, s3, 1
	s_sub_co_i32 s9, s7, s16
	s_cmp_ge_u32 s7, s16
	s_cselect_b32 s3, s8, s3
	s_cselect_b32 s7, s9, s7
	s_add_co_i32 s8, s3, 1
	s_cmp_ge_u32 s7, s16
	s_cselect_b32 s24, s8, s3
.LBB26_6:
	s_delay_alu instid0(SALU_CYCLE_1)
	s_cmp_eq_u32 s20, s24
	s_mov_b64 s[8:9], 0xffffffff
	s_cselect_b32 s3, -1, 0
	s_and_b64 s[8:9], s[20:21], s[8:9]
	s_mov_b32 s23, 0
	s_wait_kmcnt 0x0
	s_mov_b32 s22, s12
	s_mov_b32 s25, s23
	s_mul_u64 s[10:11], s[8:9], s[22:23]
	s_delay_alu instid0(SALU_CYCLE_1) | instskip(SKIP_2) | instid1(SALU_CYCLE_1)
	s_add_co_i32 s7, s11, s20
	s_mul_u64 s[10:11], s[24:25], s[22:23]
	s_lshr_b32 s12, s7, s13
	s_mul_i32 s7, s12, s14
	s_delay_alu instid0(SALU_CYCLE_1) | instskip(SKIP_2) | instid1(SALU_CYCLE_1)
	s_cmp_eq_u32 s7, s20
	s_cselect_b32 s7, -1, 0
	s_add_co_i32 s10, s11, s24
	s_lshr_b32 s10, s10, s13
	s_delay_alu instid0(SALU_CYCLE_1)
	s_cmp_eq_u32 s12, s10
	s_mul_i32 s10, s10, s14
	s_cselect_b32 s11, -1, 0
	s_cmp_lg_u32 s10, s24
	s_cselect_b32 s10, -1, 0
	s_or_b32 s3, s3, s7
	s_and_b32 s10, s11, s10
	s_delay_alu instid0(SALU_CYCLE_1) | instskip(NEXT) | instid1(SALU_CYCLE_1)
	s_or_b32 s3, s3, s10
	s_and_b32 vcc_lo, exec_lo, s3
	s_cbranch_vccnz .LBB26_24
; %bb.7:
	s_load_b256 s[24:31], s[0:1], 0x20
	s_bfe_u32 s7, ttmp6, 0x40014
	s_bfe_u32 s33, ttmp6, 0x40010
	s_lshr_b32 s3, ttmp7, 16
	s_add_co_i32 s7, s7, 1
	s_and_b32 s21, ttmp7, 0xffff
	s_add_co_i32 s33, s33, 1
	s_bfe_u32 s10, ttmp6, 0x40008
	s_mul_i32 s7, s3, s7
	s_bfe_u32 s34, ttmp6, 0x40004
	s_mul_i32 s33, s21, s33
	s_mov_b32 s11, s23
	s_add_co_i32 s35, s10, s7
	s_add_co_i32 s34, s34, s33
	s_cmp_eq_u32 s15, 0
	s_cselect_b32 s7, s21, s34
	s_cselect_b32 s3, s3, s35
	s_wait_kmcnt 0x0
	s_mov_b32 s10, s24
	s_delay_alu instid0(SALU_CYCLE_1) | instskip(NEXT) | instid1(SALU_CYCLE_1)
	s_mul_u64 s[8:9], s[8:9], s[10:11]
	s_add_co_i32 s8, s9, s20
	s_load_b32 s9, s[0:1], 0x40
	s_lshr_b32 s8, s8, s25
	s_delay_alu instid0(SALU_CYCLE_1) | instskip(NEXT) | instid1(SALU_CYCLE_1)
	s_mul_i32 s10, s8, s26
	s_sub_co_i32 s10, s20, s10
	s_delay_alu instid0(SALU_CYCLE_1) | instskip(NEXT) | instid1(SALU_CYCLE_1)
	s_mul_hi_u32 s11, s10, s27
	s_add_co_i32 s11, s10, s11
	s_delay_alu instid0(SALU_CYCLE_1) | instskip(NEXT) | instid1(SALU_CYCLE_1)
	s_lshr_b32 s15, s11, s28
	s_mul_i32 s11, s15, s29
	s_delay_alu instid0(SALU_CYCLE_1) | instskip(NEXT) | instid1(SALU_CYCLE_1)
	s_sub_co_i32 s10, s10, s11
	s_mul_hi_u32 s11, s10, s30
	s_delay_alu instid0(SALU_CYCLE_1) | instskip(NEXT) | instid1(SALU_CYCLE_1)
	s_add_co_i32 s11, s10, s11
	s_lshr_b32 s26, s11, s31
	s_mov_b32 s11, s23
	s_wait_kmcnt 0x0
	s_mul_i32 s9, s26, s9
	s_delay_alu instid0(SALU_CYCLE_1) | instskip(NEXT) | instid1(SALU_CYCLE_1)
	s_sub_co_i32 s10, s10, s9
	s_mul_u64 s[24:25], s[10:11], s[22:23]
	s_lshl_b32 s24, s26, 2
	s_add_co_i32 s9, s10, s25
	s_delay_alu instid0(SALU_CYCLE_1) | instskip(NEXT) | instid1(SALU_CYCLE_1)
	s_lshr_b32 s21, s9, s13
	s_lshl_b32 s9, s21, 2
	s_delay_alu instid0(SALU_CYCLE_1) | instskip(NEXT) | instid1(SALU_CYCLE_1)
	s_add_co_i32 s9, s9, s7
	s_cmp_lt_i32 s9, s4
	s_cselect_b32 s9, -1, 0
	s_add_co_i32 s10, s24, s3
	s_delay_alu instid0(SALU_CYCLE_1) | instskip(SKIP_1) | instid1(SALU_CYCLE_1)
	s_cmp_lt_i32 s10, s6
	s_cselect_b32 s10, -1, 0
	s_and_b32 s9, s9, s10
	s_delay_alu instid0(SALU_CYCLE_1)
	s_and_not1_b32 vcc_lo, exec_lo, s9
	s_cbranch_vccnz .LBB26_24
; %bb.8:
	s_mul_i32 s4, s8, s4
	s_load_b128 s[8:11], s[0:1], 0x0
	s_wait_xcnt 0x0
	s_add_co_i32 s0, s4, s7
	s_mul_i32 s15, s15, s6
	s_mul_i32 s0, s0, s5
	;; [unrolled: 1-line block ×3, first 2 shown]
	s_add_co_i32 s0, s0, s3
	s_lshl_b32 s1, s1, 8
	s_add_co_i32 s0, s0, s15
	s_lshl_b32 s15, s7, 2
	s_add_co_i32 s0, s0, s24
	s_add_co_i32 s15, s15, s3
	s_lshl_b32 s0, s0, 6
	v_lshl_or_b32 v6, s15, 6, v0
	s_add_co_i32 s1, s1, s0
	v_cvt_f32_u32_e32 v4, s16
	v_or_b32_e32 v2, s1, v0
	s_add_nc_u64 s[0:1], s[16:17], 0
	s_lshl_b32 s24, s16, 6
	s_xor_b64 s[6:7], s[0:1], 0
	s_lshl_b32 s0, s2, 4
	s_cvt_f32_u32 s3, s6
	s_add_co_i32 s0, s15, s0
	s_cvt_f32_u32 s4, s7
	s_ashr_i32 s1, s0, 31
	v_rcp_iflag_f32_e32 v4, v4
	s_lshl_b64 s[0:1], s[0:1], 3
	s_fmamk_f32 s3, s4, 0x4f800000, s3
	s_wait_kmcnt 0x0
	s_add_nc_u64 s[0:1], s[10:11], s[0:1]
	s_mov_b32 s25, 0
	s_load_b64 s[28:29], s[0:1], 0x0
	v_s_rcp_f32 s3, s3
	s_wait_xcnt 0x0
	s_lshl_b64 s[0:1], s[24:25], 2
	s_add_co_i32 s36, s2, -1
	s_add_nc_u64 s[26:27], s[10:11], s[0:1]
	s_sub_nc_u64 s[34:35], 0, s[6:7]
	v_mul_f32_e32 v4, 0x4f7ffffe, v4
	s_delay_alu instid0(TRANS32_DEP_1) | instskip(NEXT) | instid1(VALU_DEP_1)
	s_mul_f32 s3, s3, 0x5f7ffffc
	v_cvt_u32_f32_e32 v7, v4
	s_delay_alu instid0(SALU_CYCLE_2) | instskip(NEXT) | instid1(SALU_CYCLE_3)
	s_mul_f32 s4, s3, 0x2f800000
	s_trunc_f32 s4, s4
	s_wait_kmcnt 0x0
	v_mov_b32_e32 v0, s29
	global_load_b32 v1, v2, s[8:9] scale_offset
	v_ashrrev_i32_e32 v3, 31, v2
	s_fmamk_f32 s0, s4, 0xcf800000, s3
	s_cvt_u32_f32 s31, s4
	s_wait_xcnt 0x0
	s_delay_alu instid0(VALU_DEP_1)
	v_lshl_add_u64 v[2:3], v[2:3], 2, s[8:9]
	s_cvt_u32_f32 s30, s0
	s_mov_b64 s[8:9], 0xffffffff
.LBB26_9:                               ; =>This Inner Loop Header: Depth=1
	s_ashr_i32 s37, s36, 31
                                        ; implicit-def: $sgpr40_sgpr41
	s_delay_alu instid0(SALU_CYCLE_1) | instskip(NEXT) | instid1(SALU_CYCLE_1)
	s_mul_u64 s[0:1], s[36:37], s[18:19]
	s_and_b64 s[2:3], s[0:1], 0xffffffff00000000
	s_delay_alu instid0(SALU_CYCLE_1)
	s_cmp_lg_u64 s[2:3], 0
	s_mov_b32 s2, -1
	s_cbranch_scc0 .LBB26_11
; %bb.10:                               ;   in Loop: Header=BB26_9 Depth=1
	s_mul_u64 s[2:3], s[34:35], s[30:31]
	s_delay_alu instid0(SALU_CYCLE_1)
	s_mul_hi_u32 s5, s30, s3
	s_mul_i32 s4, s30, s3
	s_mul_hi_u32 s24, s30, s2
	s_mul_hi_u32 s17, s31, s2
	s_add_nc_u64 s[4:5], s[24:25], s[4:5]
	s_mul_i32 s2, s31, s2
	s_mul_hi_u32 s21, s31, s3
	s_add_co_u32 s2, s4, s2
	s_add_co_ci_u32 s24, s5, s17
	s_add_co_ci_u32 s5, s21, 0
	s_mul_i32 s4, s31, s3
	s_delay_alu instid0(SALU_CYCLE_1) | instskip(NEXT) | instid1(SALU_CYCLE_1)
	s_add_nc_u64 s[2:3], s[24:25], s[4:5]
	s_add_co_u32 s2, s30, s2
	s_cselect_b32 s4, -1, 0
	s_delay_alu instid0(SALU_CYCLE_1) | instskip(SKIP_1) | instid1(SALU_CYCLE_1)
	s_cmp_lg_u32 s4, 0
	s_add_co_ci_u32 s3, s31, s3
	s_mul_u64 s[4:5], s[34:35], s[2:3]
	s_delay_alu instid0(SALU_CYCLE_1)
	s_mul_hi_u32 s39, s2, s5
	s_mul_i32 s38, s2, s5
	s_mul_hi_u32 s24, s2, s4
	s_mul_hi_u32 s17, s3, s4
	s_mul_i32 s4, s3, s4
	s_add_nc_u64 s[38:39], s[24:25], s[38:39]
	s_mul_hi_u32 s21, s3, s5
	s_add_co_u32 s4, s38, s4
	s_add_co_ci_u32 s24, s39, s17
	s_mul_i32 s4, s3, s5
	s_add_co_ci_u32 s5, s21, 0
	s_delay_alu instid0(SALU_CYCLE_1) | instskip(NEXT) | instid1(SALU_CYCLE_1)
	s_add_nc_u64 s[4:5], s[24:25], s[4:5]
	s_add_co_u32 s17, s2, s4
	s_cselect_b32 s2, -1, 0
	s_delay_alu instid0(SALU_CYCLE_1) | instskip(SKIP_2) | instid1(SALU_CYCLE_1)
	s_cmp_lg_u32 s2, 0
	s_add_co_ci_u32 s21, s3, s5
	s_ashr_i32 s2, s1, 31
	s_mov_b32 s3, s2
	s_delay_alu instid0(SALU_CYCLE_1) | instskip(NEXT) | instid1(SALU_CYCLE_1)
	s_add_nc_u64 s[4:5], s[0:1], s[2:3]
	s_xor_b64 s[4:5], s[4:5], s[2:3]
	s_delay_alu instid0(SALU_CYCLE_1)
	s_mul_hi_u32 s39, s4, s21
	s_mul_i32 s38, s4, s21
	s_mul_hi_u32 s24, s4, s17
	s_mul_hi_u32 s29, s5, s17
	s_mul_i32 s17, s5, s17
	s_add_nc_u64 s[38:39], s[24:25], s[38:39]
	s_mul_hi_u32 s1, s5, s21
	s_add_co_u32 s17, s38, s17
	s_add_co_ci_u32 s24, s39, s29
	s_mul_i32 s40, s5, s21
	s_add_co_ci_u32 s41, s1, 0
	s_delay_alu instid0(SALU_CYCLE_1) | instskip(NEXT) | instid1(SALU_CYCLE_1)
	s_add_nc_u64 s[38:39], s[24:25], s[40:41]
	s_and_b64 s[40:41], s[38:39], 0xffffffff00000000
	s_delay_alu instid0(SALU_CYCLE_1) | instskip(NEXT) | instid1(SALU_CYCLE_1)
	s_or_b32 s40, s40, s38
	s_mul_u64 s[38:39], s[6:7], s[40:41]
	s_add_nc_u64 s[42:43], s[40:41], 1
	s_sub_co_u32 s1, s4, s38
	s_cselect_b32 s4, -1, 0
	s_sub_co_i32 s17, s5, s39
	s_cmp_lg_u32 s4, 0
	s_add_nc_u64 s[44:45], s[40:41], 2
	s_sub_co_ci_u32 s17, s17, s7
	s_sub_co_u32 s21, s1, s6
	s_cselect_b32 s24, -1, 0
	s_delay_alu instid0(SALU_CYCLE_1) | instskip(SKIP_1) | instid1(SALU_CYCLE_1)
	s_cmp_lg_u32 s24, 0
	s_sub_co_ci_u32 s17, s17, 0
	s_cmp_ge_u32 s17, s7
	s_cselect_b32 s24, -1, 0
	s_cmp_ge_u32 s21, s6
	s_cselect_b32 s21, -1, 0
	s_cmp_eq_u32 s17, s7
	s_cselect_b32 s17, s21, s24
	s_delay_alu instid0(SALU_CYCLE_1) | instskip(SKIP_4) | instid1(SALU_CYCLE_1)
	s_cmp_lg_u32 s17, 0
	s_cselect_b32 s17, s44, s42
	s_cselect_b32 s21, s45, s43
	s_cmp_lg_u32 s4, 0
	s_sub_co_ci_u32 s4, s5, s39
	s_cmp_ge_u32 s4, s7
	s_cselect_b32 s5, -1, 0
	s_cmp_ge_u32 s1, s6
	s_cselect_b32 s1, -1, 0
	s_cmp_eq_u32 s4, s7
	s_cselect_b32 s1, s1, s5
	s_delay_alu instid0(SALU_CYCLE_1) | instskip(SKIP_3) | instid1(SALU_CYCLE_1)
	s_cmp_lg_u32 s1, 0
	s_cselect_b32 s5, s21, s41
	s_cselect_b32 s4, s17, s40
	s_xor_b64 s[2:3], s[2:3], 0
	s_xor_b64 s[4:5], s[4:5], s[2:3]
	s_delay_alu instid0(SALU_CYCLE_1)
	s_sub_nc_u64 s[40:41], s[4:5], s[2:3]
	s_mov_b32 s2, 0
.LBB26_11:                              ;   in Loop: Header=BB26_9 Depth=1
	s_delay_alu instid0(SALU_CYCLE_1)
	s_and_not1_b32 vcc_lo, exec_lo, s2
	s_cbranch_vccnz .LBB26_13
; %bb.12:                               ;   in Loop: Header=BB26_9 Depth=1
	v_readfirstlane_b32 s1, v7
	s_sub_co_i32 s2, 0, s16
	s_delay_alu instid0(SALU_CYCLE_1) | instskip(NEXT) | instid1(SALU_CYCLE_1)
	s_mul_i32 s2, s2, s1
	s_mul_hi_u32 s2, s1, s2
	s_delay_alu instid0(SALU_CYCLE_1) | instskip(NEXT) | instid1(SALU_CYCLE_1)
	s_add_co_i32 s1, s1, s2
	s_mul_hi_u32 s1, s0, s1
	s_delay_alu instid0(SALU_CYCLE_1) | instskip(NEXT) | instid1(SALU_CYCLE_1)
	s_mul_i32 s2, s1, s16
	s_sub_co_i32 s0, s0, s2
	s_add_co_i32 s2, s1, 1
	s_sub_co_i32 s3, s0, s16
	s_cmp_ge_u32 s0, s16
	s_cselect_b32 s1, s2, s1
	s_cselect_b32 s0, s3, s0
	s_add_co_i32 s2, s1, 1
	s_cmp_ge_u32 s0, s16
	s_cselect_b32 s24, s2, s1
	s_delay_alu instid0(SALU_CYCLE_1)
	s_mov_b64 s[40:41], s[24:25]
.LBB26_13:                              ;   in Loop: Header=BB26_9 Depth=1
	s_delay_alu instid0(SALU_CYCLE_1)
	s_cmp_lg_u32 s20, s40
	s_mov_b32 s0, -1
                                        ; implicit-def: $vgpr4_vgpr5
                                        ; implicit-def: $sgpr24
                                        ; implicit-def: $sgpr17
                                        ; implicit-def: $sgpr21
                                        ; implicit-def: $sgpr29
	s_cbranch_scc0 .LBB26_18
; %bb.14:                               ;   in Loop: Header=BB26_9 Depth=1
	s_add_co_i32 s0, s36, s16
	v_max_num_f32_e64 v4, s28, s28
	s_lshl_b32 s0, s0, 4
	s_mov_b32 s29, s20
	s_add_co_i32 s0, s0, s15
	s_load_b64 s[38:39], s[10:11], s0 offset:0x0 scale_offset
	s_wait_xcnt 0x0
	v_readfirstlane_b32 s0, v4
	s_wait_kmcnt 0x0
	v_max_num_f32_e64 v5, s38, s38
	s_delay_alu instid0(VALU_DEP_1) | instskip(SKIP_1) | instid1(SALU_CYCLE_3)
	v_readfirstlane_b32 s1, v5
	s_max_num_f32 s17, s0, s1
	s_sub_f32 s33, s28, s17
	s_sub_f32 s37, s38, s17
	s_delay_alu instid0(SALU_CYCLE_2)
	s_cmp_nlt_f32 s33, 0xc2ce8ed0
	s_cselect_b32 s1, -1, 0
	s_cmp_ngt_f32 s33, 0x42b17218
	s_cselect_b32 s2, -1, 0
	s_cmp_ge_f32 s33, 0xc1a00000
	s_cselect_b32 s0, -1, 0
	s_cmp_nlt_f32 s37, 0xc2ce8ed0
	s_cselect_b32 s3, -1, 0
	s_cmp_ngt_f32 s37, 0x42b17218
	s_cselect_b32 s4, -1, 0
	s_cmp_ge_f32 s37, 0xc1a00000
	s_cselect_b32 s5, -1, 0
	s_and_b64 s[42:43], s[40:41], s[8:9]
	s_delay_alu instid0(SALU_CYCLE_1) | instskip(NEXT) | instid1(SALU_CYCLE_1)
	s_mul_u64 s[42:43], s[42:43], s[22:23]
	s_add_co_i32 s21, s43, s40
	s_delay_alu instid0(SALU_CYCLE_1) | instskip(NEXT) | instid1(SALU_CYCLE_1)
	s_lshr_b32 s21, s21, s13
	s_mul_i32 s24, s21, s14
	s_delay_alu instid0(SALU_CYCLE_1) | instskip(SKIP_3) | instid1(SALU_CYCLE_1)
	s_cmp_eq_u32 s24, s40
	s_cselect_b32 s24, -1, 0
	s_cmp_lt_u32 s21, s12
	s_cselect_b32 s21, -1, 0
	s_or_b32 s21, s21, s24
	s_mov_b32 s24, -1
	s_and_b32 vcc_lo, exec_lo, s21
	s_mov_b32 s21, s36
	s_cbranch_vccnz .LBB26_16
; %bb.15:                               ;   in Loop: Header=BB26_9 Depth=1
	s_add_co_i32 s21, s36, -1
	s_mov_b32 s24, 0
	s_mov_b32 s29, s40
.LBB26_16:                              ;   in Loop: Header=BB26_9 Depth=1
	v_lshl_add_u32 v4, s36, 10, v6
	s_mul_f32 s40, s33, 0x3fb8aa3b
	s_mul_f32 s38, s37, 0x3fb8aa3b
	s_delay_alu instid0(SALU_CYCLE_2)
	s_xor_b32 s42, s40, 0x80000000
	global_load_b32 v5, v4, s[26:27] scale_offset
	s_fmamk_f32 s42, s33, 0x3fb8aa3b, s42
	s_rndne_f32 s44, s40
	s_xor_b32 s41, s38, 0x80000000
	s_rndne_f32 s43, s38
	s_fmamk_f32 s33, s33, 0x32a5705f, s42
	s_sub_f32 s40, s40, s44
	s_fmamk_f32 s41, s37, 0x3fb8aa3b, s41
	s_sub_f32 s38, s38, s43
	s_delay_alu instid0(SALU_CYCLE_1) | instskip(NEXT) | instid1(SALU_CYCLE_1)
	s_add_f32 s33, s40, s33
	s_fmamk_f32 s37, s37, 0x32a5705f, s41
	s_cvt_i32_f32 s40, s44
	s_delay_alu instid0(SALU_CYCLE_1) | instskip(NEXT) | instid1(SALU_CYCLE_1)
	v_s_exp_f32 s33, s33
	s_add_f32 s37, s38, s37
	s_cvt_i32_f32 s38, s43
	s_delay_alu instid0(SALU_CYCLE_2) | instskip(NEXT) | instid1(TRANS32_DEP_2)
	v_s_exp_f32 s37, s37
	v_ldexp_f32 v8, s33, s40
	s_wait_xcnt 0x0
	s_delay_alu instid0(TRANS32_DEP_1) | instskip(NEXT) | instid1(VALU_DEP_2)
	v_ldexp_f32 v4, s37, s38
	v_cndmask_b32_e64 v8, 0, v8, s1
	s_delay_alu instid0(VALU_DEP_1) | instskip(NEXT) | instid1(VALU_DEP_1)
	v_cndmask_b32_e64 v9, 0x7f800000, v8, s2
	v_dual_cndmask_b32 v4, 0, v4, s3 :: v_dual_cndmask_b32 v10, 0, v9, s0
	s_delay_alu instid0(VALU_DEP_1) | instskip(NEXT) | instid1(VALU_DEP_1)
	v_cndmask_b32_e64 v4, 0x7f800000, v4, s4
	v_dual_cndmask_b32 v8, 0, v4, s5 :: v_dual_mov_b32 v4, s39
	s_wait_loadcnt 0x0
	s_delay_alu instid0(VALU_DEP_1) | instskip(NEXT) | instid1(VALU_DEP_1)
	v_pk_mul_f32 v[4:5], v[4:5], v[8:9] op_sel_hi:[1,0]
	v_pk_fma_f32 v[4:5], v[0:1], v[10:11], v[4:5] op_sel_hi:[1,0,1]
	s_cbranch_execz .LBB26_19
.LBB26_17:                              ;   in Loop: Header=BB26_9 Depth=1
	s_and_not1_b32 vcc_lo, exec_lo, s24
	s_cbranch_vccnz .LBB26_20
	s_branch .LBB26_23
.LBB26_18:                              ;   in Loop: Header=BB26_9 Depth=1
	s_and_not1_b32 vcc_lo, exec_lo, s0
	s_cbranch_vccnz .LBB26_17
.LBB26_19:                              ;   in Loop: Header=BB26_9 Depth=1
	s_wait_loadcnt 0x0
	v_mov_b64_e32 v[4:5], v[0:1]
	s_add_co_i32 s21, s36, -1
	s_mov_b32 s29, s20
	s_mov_b32 s17, s28
	s_cbranch_execz .LBB26_23
.LBB26_20:                              ;   in Loop: Header=BB26_9 Depth=1
	s_wait_loadcnt 0x0
	s_delay_alu instid0(VALU_DEP_1)
	v_mov_b64_e32 v[0:1], v[4:5]
	s_mov_b32 s20, s29
	s_mov_b32 s36, s21
	;; [unrolled: 1-line block ×3, first 2 shown]
	s_branch .LBB26_9
.LBB26_21:
                                        ; implicit-def: $sgpr20_sgpr21
	s_branch .LBB26_2
.LBB26_22:
                                        ; implicit-def: $sgpr24_sgpr25
	s_load_b96 s[12:14], s[0:1], 0x44
	s_branch .LBB26_5
.LBB26_23:
	s_delay_alu instid0(VALU_DEP_1) | instskip(SKIP_1) | instid1(VALU_DEP_1)
	v_div_scale_f32 v0, null, v4, v4, v5
	s_wait_loadcnt 0x0
	v_rcp_f32_e32 v1, v0
	v_nop
	s_delay_alu instid0(TRANS32_DEP_1) | instskip(NEXT) | instid1(VALU_DEP_1)
	v_fma_f32 v6, -v0, v1, 1.0
	v_fmac_f32_e32 v1, v6, v1
	v_div_scale_f32 v6, vcc_lo, v5, v4, v5
	s_delay_alu instid0(VALU_DEP_1) | instskip(NEXT) | instid1(VALU_DEP_1)
	v_mul_f32_e32 v7, v6, v1
	v_fma_f32 v8, -v0, v7, v6
	s_delay_alu instid0(VALU_DEP_1) | instskip(NEXT) | instid1(VALU_DEP_1)
	v_fmac_f32_e32 v7, v8, v1
	v_fma_f32 v0, -v0, v7, v6
	s_delay_alu instid0(VALU_DEP_1) | instskip(NEXT) | instid1(VALU_DEP_1)
	v_div_fmas_f32 v0, v0, v1, v7
	v_div_fixup_f32 v0, v0, v4, v5
	global_store_b32 v[2:3], v0, off
.LBB26_24:
	s_endpgm
	.section	.rodata,"a",@progbits
	.p2align	6, 0x0
	.amdhsa_kernel _ZL33flash_attn_stream_k_fixup_generalILi64ELi4ELi4EEvPfPK15HIP_vector_typeIfLj2EEiiiiS1_IjLj3EES5_S5_S5_
		.amdhsa_group_segment_fixed_size 0
		.amdhsa_private_segment_fixed_size 0
		.amdhsa_kernarg_size 336
		.amdhsa_user_sgpr_count 2
		.amdhsa_user_sgpr_dispatch_ptr 0
		.amdhsa_user_sgpr_queue_ptr 0
		.amdhsa_user_sgpr_kernarg_segment_ptr 1
		.amdhsa_user_sgpr_dispatch_id 0
		.amdhsa_user_sgpr_kernarg_preload_length 0
		.amdhsa_user_sgpr_kernarg_preload_offset 0
		.amdhsa_user_sgpr_private_segment_size 0
		.amdhsa_wavefront_size32 1
		.amdhsa_uses_dynamic_stack 0
		.amdhsa_enable_private_segment 0
		.amdhsa_system_sgpr_workgroup_id_x 1
		.amdhsa_system_sgpr_workgroup_id_y 1
		.amdhsa_system_sgpr_workgroup_id_z 1
		.amdhsa_system_sgpr_workgroup_info 0
		.amdhsa_system_vgpr_workitem_id 0
		.amdhsa_next_free_vgpr 12
		.amdhsa_next_free_sgpr 46
		.amdhsa_named_barrier_count 0
		.amdhsa_reserve_vcc 1
		.amdhsa_float_round_mode_32 0
		.amdhsa_float_round_mode_16_64 0
		.amdhsa_float_denorm_mode_32 3
		.amdhsa_float_denorm_mode_16_64 3
		.amdhsa_fp16_overflow 0
		.amdhsa_memory_ordered 1
		.amdhsa_forward_progress 1
		.amdhsa_inst_pref_size 27
		.amdhsa_round_robin_scheduling 0
		.amdhsa_exception_fp_ieee_invalid_op 0
		.amdhsa_exception_fp_denorm_src 0
		.amdhsa_exception_fp_ieee_div_zero 0
		.amdhsa_exception_fp_ieee_overflow 0
		.amdhsa_exception_fp_ieee_underflow 0
		.amdhsa_exception_fp_ieee_inexact 0
		.amdhsa_exception_int_div_zero 0
	.end_amdhsa_kernel
	.section	.text._ZL33flash_attn_stream_k_fixup_generalILi64ELi4ELi4EEvPfPK15HIP_vector_typeIfLj2EEiiiiS1_IjLj3EES5_S5_S5_,"axG",@progbits,_ZL33flash_attn_stream_k_fixup_generalILi64ELi4ELi4EEvPfPK15HIP_vector_typeIfLj2EEiiiiS1_IjLj3EES5_S5_S5_,comdat
.Lfunc_end26:
	.size	_ZL33flash_attn_stream_k_fixup_generalILi64ELi4ELi4EEvPfPK15HIP_vector_typeIfLj2EEiiiiS1_IjLj3EES5_S5_S5_, .Lfunc_end26-_ZL33flash_attn_stream_k_fixup_generalILi64ELi4ELi4EEvPfPK15HIP_vector_typeIfLj2EEiiiiS1_IjLj3EES5_S5_S5_
                                        ; -- End function
	.set _ZL33flash_attn_stream_k_fixup_generalILi64ELi4ELi4EEvPfPK15HIP_vector_typeIfLj2EEiiiiS1_IjLj3EES5_S5_S5_.num_vgpr, 12
	.set _ZL33flash_attn_stream_k_fixup_generalILi64ELi4ELi4EEvPfPK15HIP_vector_typeIfLj2EEiiiiS1_IjLj3EES5_S5_S5_.num_agpr, 0
	.set _ZL33flash_attn_stream_k_fixup_generalILi64ELi4ELi4EEvPfPK15HIP_vector_typeIfLj2EEiiiiS1_IjLj3EES5_S5_S5_.numbered_sgpr, 46
	.set _ZL33flash_attn_stream_k_fixup_generalILi64ELi4ELi4EEvPfPK15HIP_vector_typeIfLj2EEiiiiS1_IjLj3EES5_S5_S5_.num_named_barrier, 0
	.set _ZL33flash_attn_stream_k_fixup_generalILi64ELi4ELi4EEvPfPK15HIP_vector_typeIfLj2EEiiiiS1_IjLj3EES5_S5_S5_.private_seg_size, 0
	.set _ZL33flash_attn_stream_k_fixup_generalILi64ELi4ELi4EEvPfPK15HIP_vector_typeIfLj2EEiiiiS1_IjLj3EES5_S5_S5_.uses_vcc, 1
	.set _ZL33flash_attn_stream_k_fixup_generalILi64ELi4ELi4EEvPfPK15HIP_vector_typeIfLj2EEiiiiS1_IjLj3EES5_S5_S5_.uses_flat_scratch, 0
	.set _ZL33flash_attn_stream_k_fixup_generalILi64ELi4ELi4EEvPfPK15HIP_vector_typeIfLj2EEiiiiS1_IjLj3EES5_S5_S5_.has_dyn_sized_stack, 0
	.set _ZL33flash_attn_stream_k_fixup_generalILi64ELi4ELi4EEvPfPK15HIP_vector_typeIfLj2EEiiiiS1_IjLj3EES5_S5_S5_.has_recursion, 0
	.set _ZL33flash_attn_stream_k_fixup_generalILi64ELi4ELi4EEvPfPK15HIP_vector_typeIfLj2EEiiiiS1_IjLj3EES5_S5_S5_.has_indirect_call, 0
	.section	.AMDGPU.csdata,"",@progbits
; Kernel info:
; codeLenInByte = 3360
; TotalNumSgprs: 48
; NumVgprs: 12
; ScratchSize: 0
; MemoryBound: 0
; FloatMode: 240
; IeeeMode: 1
; LDSByteSize: 0 bytes/workgroup (compile time only)
; SGPRBlocks: 0
; VGPRBlocks: 0
; NumSGPRsForWavesPerEU: 48
; NumVGPRsForWavesPerEU: 12
; NamedBarCnt: 0
; Occupancy: 16
; WaveLimiterHint : 0
; COMPUTE_PGM_RSRC2:SCRATCH_EN: 0
; COMPUTE_PGM_RSRC2:USER_SGPR: 2
; COMPUTE_PGM_RSRC2:TRAP_HANDLER: 0
; COMPUTE_PGM_RSRC2:TGID_X_EN: 1
; COMPUTE_PGM_RSRC2:TGID_Y_EN: 1
; COMPUTE_PGM_RSRC2:TGID_Z_EN: 1
; COMPUTE_PGM_RSRC2:TIDIG_COMP_CNT: 0
	.section	.text._ZL15flash_attn_tileILi64ELi64ELi2ELi4ELb0EEvPKcS1_S1_S1_S1_PKiPfP15HIP_vector_typeIfLj2EEffffjfiS5_IjLj3EEiiiiiiiiiiiliiliiiiil,"axG",@progbits,_ZL15flash_attn_tileILi64ELi64ELi2ELi4ELb0EEvPKcS1_S1_S1_S1_PKiPfP15HIP_vector_typeIfLj2EEffffjfiS5_IjLj3EEiiiiiiiiiiiliiliiiiil,comdat
	.globl	_ZL15flash_attn_tileILi64ELi64ELi2ELi4ELb0EEvPKcS1_S1_S1_S1_PKiPfP15HIP_vector_typeIfLj2EEffffjfiS5_IjLj3EEiiiiiiiiiiiliiliiiiil ; -- Begin function _ZL15flash_attn_tileILi64ELi64ELi2ELi4ELb0EEvPKcS1_S1_S1_S1_PKiPfP15HIP_vector_typeIfLj2EEffffjfiS5_IjLj3EEiiiiiiiiiiiliiliiiiil
	.p2align	8
	.type	_ZL15flash_attn_tileILi64ELi64ELi2ELi4ELb0EEvPKcS1_S1_S1_S1_PKiPfP15HIP_vector_typeIfLj2EEffffjfiS5_IjLj3EEiiiiiiiiiiiliiliiiiil,@function
_ZL15flash_attn_tileILi64ELi64ELi2ELi4ELb0EEvPKcS1_S1_S1_S1_PKiPfP15HIP_vector_typeIfLj2EEffffjfiS5_IjLj3EEiiiiiiiiiiiliiliiiiil: ; @_ZL15flash_attn_tileILi64ELi64ELi2ELi4ELb0EEvPKcS1_S1_S1_S1_PKiPfP15HIP_vector_typeIfLj2EEffffjfiS5_IjLj3EEiiiiiiiiiiiliiliiiiil
; %bb.0:
	s_clause 0x1
	s_load_b128 s[20:23], s[0:1], 0x5c
	s_load_b64 s[28:29], s[0:1], 0x80
	s_bfe_u32 s5, ttmp6, 0x40014
	s_lshr_b32 s4, ttmp7, 16
	s_add_co_i32 s5, s5, 1
	s_bfe_u32 s6, ttmp6, 0x40008
	s_mul_i32 s5, s4, s5
	s_getreg_b32 s24, hwreg(HW_REG_IB_STS2, 6, 4)
	s_add_co_i32 s6, s6, s5
	s_load_b64 s[36:37], s[0:1], 0xb8
	s_mov_b32 s35, 0
	s_mov_b64 s[30:31], 0
	s_wait_kmcnt 0x0
	s_ashr_i32 s2, s23, 31
	s_delay_alu instid0(SALU_CYCLE_1) | instskip(NEXT) | instid1(SALU_CYCLE_1)
	s_lshr_b32 s2, s2, 30
	s_add_co_i32 s2, s23, s2
	s_delay_alu instid0(SALU_CYCLE_1) | instskip(NEXT) | instid1(SALU_CYCLE_1)
	s_ashr_i32 s2, s2, 2
	s_cvt_f32_u32 s3, s2
	s_sub_co_i32 s7, 0, s2
	s_delay_alu instid0(SALU_CYCLE_2) | instskip(SKIP_1) | instid1(TRANS32_DEP_1)
	v_rcp_iflag_f32_e32 v1, s3
	v_nop
	v_readfirstlane_b32 s3, v1
	s_mul_f32 s3, s3, 0x4f7ffffe
	s_delay_alu instid0(SALU_CYCLE_3) | instskip(NEXT) | instid1(SALU_CYCLE_3)
	s_cvt_u32_f32 s3, s3
	s_mul_i32 s7, s7, s3
	s_delay_alu instid0(SALU_CYCLE_1) | instskip(NEXT) | instid1(SALU_CYCLE_1)
	s_mul_hi_u32 s7, s3, s7
	s_add_co_i32 s3, s3, s7
	s_cmp_eq_u32 s24, 0
	s_cselect_b32 s4, s4, s6
	s_delay_alu instid0(SALU_CYCLE_1) | instskip(NEXT) | instid1(SALU_CYCLE_1)
	s_mul_hi_u32 s3, s4, s3
	s_mul_i32 s5, s3, s2
	s_add_co_i32 s6, s3, 1
	s_sub_co_i32 s5, s4, s5
	s_delay_alu instid0(SALU_CYCLE_1)
	s_sub_co_i32 s7, s5, s2
	s_cmp_ge_u32 s5, s2
	s_cselect_b32 s3, s6, s3
	s_cselect_b32 s5, s7, s5
	s_add_co_i32 s6, s3, 1
	s_cmp_ge_u32 s5, s2
	s_cselect_b32 s2, s6, s3
	s_abs_i32 s3, s29
	s_lshl_b32 s4, s4, 2
	s_cvt_f32_u32 s5, s3
	s_sub_co_i32 s6, 0, s3
	s_mul_i32 s7, s2, s23
	s_abs_i32 s8, s23
	v_rcp_iflag_f32_e32 v1, s5
	s_sub_co_i32 s33, s4, s7
	v_nop
	s_delay_alu instid0(TRANS32_DEP_1) | instskip(SKIP_1) | instid1(SALU_CYCLE_3)
	v_readfirstlane_b32 s5, v1
	s_mul_f32 s5, s5, 0x4f7ffffe
	s_cvt_u32_f32 s5, s5
	s_delay_alu instid0(SALU_CYCLE_3) | instskip(NEXT) | instid1(SALU_CYCLE_1)
	s_mul_i32 s6, s6, s5
	s_mul_hi_u32 s6, s5, s6
	s_delay_alu instid0(SALU_CYCLE_1) | instskip(NEXT) | instid1(SALU_CYCLE_1)
	s_add_co_i32 s5, s5, s6
	s_mul_hi_u32 s4, s8, s5
	s_xor_b32 s5, s23, s29
	s_mul_i32 s6, s4, s3
	s_ashr_i32 s25, s5, 31
	s_sub_co_i32 s5, s8, s6
	s_add_co_i32 s6, s4, 1
	s_sub_co_i32 s7, s5, s3
	s_cmp_ge_u32 s5, s3
	s_cselect_b32 s4, s6, s4
	s_cselect_b32 s5, s7, s5
	s_add_co_i32 s6, s4, 1
	s_cmp_ge_u32 s5, s3
	s_cselect_b32 s3, s6, s4
	s_load_b512 s[4:19], s[0:1], 0x0
	s_xor_b32 s3, s3, s25
	s_delay_alu instid0(SALU_CYCLE_1) | instskip(NEXT) | instid1(SALU_CYCLE_1)
	s_sub_co_i32 s3, s3, s25
	s_abs_i32 s38, s3
	s_delay_alu instid0(SALU_CYCLE_1) | instskip(NEXT) | instid1(SALU_CYCLE_3)
	s_cvt_f32_u32 s25, s38
	v_rcp_iflag_f32_e32 v1, s25
	v_nop
	s_delay_alu instid0(TRANS32_DEP_1)
	v_readfirstlane_b32 s34, v1
	s_wait_kmcnt 0x0
	s_cmp_eq_u64 s[10:11], 0
	s_cbranch_scc1 .LBB27_2
; %bb.1:
	s_abs_i32 s25, s36
	s_abs_i32 s29, s2
	s_cvt_f32_u32 s26, s25
	s_sub_co_i32 s27, 0, s25
	s_delay_alu instid0(SALU_CYCLE_2) | instskip(SKIP_1) | instid1(TRANS32_DEP_1)
	v_rcp_iflag_f32_e32 v1, s26
	v_nop
	v_readfirstlane_b32 s26, v1
	s_mul_f32 s26, s26, 0x4f7ffffe
	s_delay_alu instid0(SALU_CYCLE_3) | instskip(NEXT) | instid1(SALU_CYCLE_3)
	s_cvt_u32_f32 s26, s26
	s_mul_i32 s27, s27, s26
	s_delay_alu instid0(SALU_CYCLE_1) | instskip(NEXT) | instid1(SALU_CYCLE_1)
	s_mul_hi_u32 s27, s26, s27
	s_add_co_i32 s26, s26, s27
	s_delay_alu instid0(SALU_CYCLE_1) | instskip(SKIP_2) | instid1(SALU_CYCLE_1)
	s_mul_hi_u32 s30, s29, s26
	s_load_b64 s[26:27], s[0:1], 0xc8
	s_mul_i32 s30, s30, s25
	s_sub_co_i32 s29, s29, s30
	s_ashr_i32 s30, s2, 31
	s_sub_co_i32 s31, s29, s25
	s_cmp_ge_u32 s29, s25
	s_cselect_b32 s29, s31, s29
	s_delay_alu instid0(SALU_CYCLE_1) | instskip(SKIP_2) | instid1(SALU_CYCLE_1)
	s_sub_co_i32 s31, s29, s25
	s_cmp_ge_u32 s29, s25
	s_cselect_b32 s25, s31, s29
	s_xor_b32 s25, s25, s30
	s_delay_alu instid0(SALU_CYCLE_1) | instskip(NEXT) | instid1(SALU_CYCLE_1)
	s_sub_co_i32 s30, s25, s30
	s_ashr_i32 s31, s30, 31
	s_wait_kmcnt 0x0
	s_mul_u64 s[26:27], s[26:27], s[30:31]
	s_delay_alu instid0(SALU_CYCLE_1)
	s_add_nc_u64 s[30:31], s[10:11], s[26:27]
.LBB27_2:
	s_bfe_u32 s10, ttmp6, 0x4000c
	v_dual_lshrrev_b32 v1, 10, v0 :: v_dual_mov_b32 v3, 0
	s_add_co_i32 s10, s10, 1
	s_and_b32 s11, ttmp6, 15
	s_mul_i32 s10, ttmp9, s10
	s_delay_alu instid0(VALU_DEP_1)
	v_bfe_u32 v1, v1, 1, 9
	s_add_co_i32 s11, s11, s10
	s_cmp_eq_u32 s24, 0
	s_load_b96 s[40:42], s[0:1], 0x70
	s_cselect_b32 s10, ttmp9, s11
	v_mov_b32_e32 v25, v3
	v_lshl_add_u32 v62, s10, 1, v1
	s_delay_alu instid0(VALU_DEP_1) | instskip(NEXT) | instid1(VALU_DEP_1)
	v_mul_hi_u32 v1, s20, v62
	v_add_nc_u32_e32 v1, v62, v1
	s_wait_kmcnt 0x0
	s_mul_i32 s20, s33, s41
	s_ashr_i32 s27, s41, 31
	s_mov_b32 s26, s41
	s_ashr_i32 s41, s40, 31
	v_lshrrev_b32_e32 v1, s21, v1
	s_lshr_b64 s[40:41], s[40:41], 2
	s_lshr_b64 s[26:27], s[26:27], 2
	s_ashr_i32 s21, s20, 31
	s_delay_alu instid0(VALU_DEP_1) | instskip(NEXT) | instid1(VALU_DEP_1)
	v_mul_lo_u32 v1, v1, s22
	v_sub_nc_u32_e32 v2, v62, v1
	v_bfe_u32 v1, v0, 10, 10
	s_delay_alu instid0(VALU_DEP_1) | instskip(NEXT) | instid1(VALU_DEP_3)
	v_dual_mov_b32 v11, v3 :: v_dual_lshlrev_b32 v12, 1, v1
	v_mul_u64_e32 v[4:5], s[40:41], v[2:3]
	s_delay_alu instid0(VALU_DEP_2) | instskip(SKIP_1) | instid1(VALU_DEP_2)
	v_and_b32_e32 v24, 2, v12
	v_bitop3_b32 v6, v12, 3, 1 bitop3:0xc8
	v_mul_u64_e32 v[8:9], s[26:27], v[24:25]
	v_and_b32_e32 v25, 0x3ff, v0
	v_dual_mov_b32 v7, v3 :: v_dual_lshlrev_b32 v0, 8, v1
	s_delay_alu instid0(VALU_DEP_2) | instskip(NEXT) | instid1(VALU_DEP_2)
	v_lshlrev_b32_e32 v10, 3, v25
	v_mul_u64_e32 v[6:7], s[26:27], v[6:7]
	s_mul_i32 s26, s2, s42
	v_lshl_or_b32 v3, v25, 2, 0x5000
	s_ashr_i32 s27, s26, 31
	s_cmp_eq_u64 s[14:15], 0
	s_add_nc_u64 s[4:5], s[4:5], s[26:27]
	s_delay_alu instid0(SALU_CYCLE_1) | instskip(NEXT) | instid1(SALU_CYCLE_1)
	s_add_nc_u64 s[4:5], s[4:5], s[20:21]
	v_lshl_add_u64 v[4:5], v[4:5], 2, s[4:5]
	s_load_b32 s4, s[0:1], 0x40
	s_delay_alu instid0(VALU_DEP_1) | instskip(NEXT) | instid1(VALU_DEP_1)
	v_add_nc_u64_e32 v[4:5], v[4:5], v[10:11]
	v_lshl_add_u64 v[8:9], v[8:9], 2, v[4:5]
	v_lshl_add_u64 v[4:5], v[6:7], 2, v[4:5]
	s_clause 0x1
	global_load_b64 v[6:7], v[8:9], off
	global_load_b64 v[10:11], v[4:5], off
	s_wait_loadcnt 0x1
	s_wait_kmcnt 0x0
	v_fma_mixlo_f16 v4, s4, v7, 0
	v_fma_mixlo_f16 v5, s4, v6, 0
	s_wait_loadcnt 0x0
	v_fma_mixlo_f16 v6, s4, v11, 0
	v_fma_mixlo_f16 v7, s4, v10, 0
	v_or_b32_e32 v8, 1, v12
	v_and_b32_e32 v5, 0xffff, v5
	s_delay_alu instid0(VALU_DEP_4) | instskip(NEXT) | instid1(VALU_DEP_4)
	v_lshlrev_b32_e32 v6, 16, v6
	v_and_b32_e32 v7, 0xffff, v7
	v_lshlrev_b32_e32 v4, 16, v4
	v_add_nc_u32_e32 v9, v3, v0
	v_lshl_add_u32 v3, v8, 7, v3
	s_delay_alu instid0(VALU_DEP_3)
	v_or_b32_e32 v4, v4, v5
	v_or_b32_e32 v5, v6, v7
	ds_store_b32 v9, v4
	ds_store_b32 v3, v5
	s_wait_dscnt 0x0
	s_barrier_signal -1
	s_barrier_wait -1
	s_cbranch_scc1 .LBB27_4
; %bb.3:
	s_load_b32 s4, s[0:1], 0xd0
	s_wait_kmcnt 0x0
	s_mul_i32 s4, s4, s2
	s_delay_alu instid0(SALU_CYCLE_1)
	s_add_co_i32 s4, s4, s10
	s_load_b32 s28, s[14:15], s4 offset:0x0 scale_offset
.LBB27_4:
	s_wait_xcnt 0x0
	s_bfe_u32 s4, ttmp6, 0x40010
	s_and_b32 s5, ttmp7, 0xffff
	s_add_co_i32 s4, s4, 1
	s_bfe_u32 s10, ttmp6, 0x40004
	s_mul_i32 s4, s5, s4
	v_mbcnt_lo_u32_b32 v63, -1, 0
	s_add_co_i32 s10, s10, s4
	s_cmp_eq_u32 s24, 0
	s_cselect_b32 s29, s5, s10
	s_mov_b32 s5, 0
	s_lshl_b32 s4, s29, 7
	s_wait_kmcnt 0x0
	s_cmp_lt_i32 s4, s28
	s_cbranch_scc1 .LBB27_7
; %bb.5:
	v_mbcnt_lo_u32_b32 v3, -1, 0
	s_delay_alu instid0(VALU_DEP_1)
	v_dual_mov_b32 v65, 32 :: v_dual_bitop2_b32 v71, 16, v3 bitop3:0x14
	v_xor_b32_e32 v70, 8, v3
	v_xor_b32_e32 v69, 4, v3
	;; [unrolled: 1-line block ×4, first 2 shown]
	s_and_not1_b32 vcc_lo, exec_lo, s5
	s_cbranch_vccz .LBB27_8
; %bb.6:
	v_dual_mov_b32 v53, 0 :: v_dual_mov_b32 v101, 0
	v_mov_b32_e32 v5, 0xfeffffff
	v_dual_mov_b32 v100, 0 :: v_dual_lshlrev_b32 v7, 1, v25
	s_delay_alu instid0(VALU_DEP_2)
	v_dual_mov_b32 v52, v53 :: v_dual_mov_b32 v4, v5
	s_branch .LBB27_11
.LBB27_7:
                                        ; implicit-def: $vgpr3
                                        ; implicit-def: $vgpr65
                                        ; implicit-def: $vgpr71
                                        ; implicit-def: $vgpr70
                                        ; implicit-def: $vgpr69
                                        ; implicit-def: $vgpr68
                                        ; implicit-def: $vgpr67
.LBB27_8:
	s_clause 0x1
	s_load_b128 s[24:27], s[0:1], 0x98
	s_load_b64 s[14:15], s[0:1], 0x8c
	s_mul_f32 s5, s34, 0x4f7ffffe
	s_sub_co_i32 s10, 0, s38
	s_abs_i32 s34, s33
	s_mov_b32 s11, s35
	s_cvt_u32_f32 s39, s5
	s_ashr_i32 s36, s33, 31
	s_ashr_i32 s40, s3, 31
	;; [unrolled: 1-line block ×3, first 2 shown]
	s_mul_i32 s10, s10, s39
	s_ashr_i32 s3, s2, 31
	s_mul_hi_u32 s10, s39, s10
	s_xor_b32 s36, s36, s40
	s_add_co_i32 s10, s39, s10
	s_load_b64 s[20:21], s[0:1], 0xa8
	s_mul_u64 s[10:11], s[34:35], s[10:11]
	v_mad_u32 v75, v2, s5, v25
	s_mul_i32 s35, s11, s38
	v_lshl_add_u32 v76, v1, 9, 0x4800
	s_wait_kmcnt 0x0
	s_ashr_i32 s10, s26, 2
	s_sub_co_i32 s26, s34, s35
	s_ashr_i32 s14, s14, 2
	s_add_co_i32 s34, s11, 1
	s_sub_co_i32 s35, s26, s38
	s_cmp_ge_u32 s26, s38
	s_mul_u64 s[24:25], s[24:25], s[2:3]
	s_cselect_b32 s11, s34, s11
	s_cselect_b32 s26, s35, s26
	s_add_co_i32 s34, s11, 1
	s_cmp_ge_u32 s26, s38
	s_add_nc_u64 s[6:7], s[6:7], s[24:25]
	s_cselect_b32 s11, s34, s11
	s_lshl_b32 s26, s14, 4
	v_lshrrev_b32_e32 v3, 3, v25
	s_mul_u64 s[20:21], s[20:21], s[2:3]
	s_lshl_b32 s3, s10, 4
	s_xor_b32 s11, s11, s36
	s_add_nc_u64 s[8:9], s[8:9], s[20:21]
	v_lshl_add_u32 v3, v1, 2, v3
	s_sub_co_i32 s11, s11, s36
	v_mul_u32_u24_e32 v73, 0x90, v25
	s_mul_i32 s24, s11, s15
	s_mul_i32 s20, s11, s27
	v_mul_lo_u32 v26, s14, v3
	v_mul_lo_u32 v34, s10, v3
	v_xor_b32_e32 v69, 4, v63
	v_xor_b32_e32 v68, 2, v63
	;; [unrolled: 1-line block ×3, first 2 shown]
	s_ashr_i32 s25, s24, 31
	s_ashr_i32 s21, s20, 31
	s_add_nc_u64 s[6:7], s[6:7], s[24:25]
	s_add_nc_u64 s[8:9], s[8:9], s[20:21]
	s_ashr_i32 s15, s14, 31
	s_ashr_i32 s11, s10, 31
	v_dual_add_nc_u32 v28, s26, v26 :: v_dual_lshlrev_b32 v64, 2, v25
	v_ashrrev_i32_e32 v27, 31, v26
	s_add_nc_u64 s[20:21], s[0:1], 0xd0
	s_delay_alu instid0(VALU_DEP_2) | instskip(NEXT) | instid1(VALU_DEP_3)
	v_dual_add_nc_u32 v30, s26, v28 :: v_dual_bitop2_b32 v71, 16, v63 bitop3:0x14
	v_and_b32_e32 v6, 28, v64
	v_dual_ashrrev_i32 v29, 31, v28 :: v_dual_bitop2_b32 v70, 8, v63 bitop3:0x14
	s_delay_alu instid0(VALU_DEP_3) | instskip(NEXT) | instid1(VALU_DEP_3)
	v_dual_add_nc_u32 v84, v76, v64 :: v_dual_add_nc_u32 v32, s26, v30
	v_lshlrev_b32_e32 v4, 2, v6
	v_add_nc_u32_e32 v42, s3, v34
	v_lshlrev_b32_e32 v40, 2, v6
	v_add_nc_u32_e32 v85, 0x400, v64
	v_dual_mov_b32 v41, 0 :: v_dual_add_nc_u32 v36, s26, v32
	v_ashrrev_i32_e32 v33, 31, v32
	v_mad_u32_u24 v66, 0x90, v3, v4
	v_lshl_or_b32 v74, v3, 7, v4
	s_delay_alu instid0(VALU_DEP_4) | instskip(SKIP_2) | instid1(VALU_DEP_3)
	v_dual_add_nc_u32 v38, s26, v36 :: v_dual_ashrrev_i32 v37, 31, v36
	v_dual_mov_b32 v4, 0xfeffffff :: v_dual_ashrrev_i32 v43, 31, v42
	v_add_nc_u32_e32 v72, 0x5000, v0
	v_add_nc_u32_e32 v44, s26, v38
	;; [unrolled: 1-line block ×3, first 2 shown]
	v_ashrrev_i32_e32 v31, 31, v30
	v_dual_mov_b32 v52, v41 :: v_dual_add_nc_u32 v77, 0x800, v74
	s_delay_alu instid0(VALU_DEP_3) | instskip(SKIP_3) | instid1(VALU_DEP_3)
	v_dual_ashrrev_i32 v45, 31, v44 :: v_dual_add_nc_u32 v50, s3, v46
	v_dual_ashrrev_i32 v47, 31, v46 :: v_dual_add_nc_u32 v48, s26, v44
	v_ashrrev_i32_e32 v39, 31, v38
	v_dual_mov_b32 v53, v41 :: v_dual_add_nc_u32 v78, 0x1000, v74
	v_dual_add_nc_u32 v54, s3, v50 :: v_dual_ashrrev_i32 v49, 31, v48
	v_dual_mov_b32 v100, v41 :: v_dual_add_nc_u32 v79, 0x1800, v74
	v_dual_mov_b32 v65, 32 :: v_dual_add_nc_u32 v80, 0x2000, v74
	s_delay_alu instid0(VALU_DEP_3) | instskip(SKIP_2) | instid1(VALU_DEP_3)
	v_add_nc_u32_e32 v56, s3, v54
	v_add_nc_u32_e32 v81, 0x2800, v74
	v_dual_mov_b32 v101, v41 :: v_dual_add_nc_u32 v82, 0x3000, v74
	v_dual_mov_b32 v5, v4 :: v_dual_add_nc_u32 v58, s3, v56
	v_ashrrev_i32_e32 v55, 31, v54
	v_dual_ashrrev_i32 v35, 31, v34 :: v_dual_ashrrev_i32 v57, 31, v56
	v_add_nc_u32_e32 v83, 0x3800, v74
	s_delay_alu instid0(VALU_DEP_4) | instskip(SKIP_3) | instid1(VALU_DEP_4)
	v_dual_add_nc_u32 v60, s3, v58 :: v_dual_ashrrev_i32 v59, 31, v58
	v_ashrrev_i32_e32 v51, 31, v50
	v_add_nc_u32_e32 v86, 0x800, v64
	v_add_nc_u32_e32 v87, 0xc00, v64
	v_ashrrev_i32_e32 v61, 31, v60
	v_add_nc_u32_e32 v88, 0x1000, v64
	v_add_nc_u32_e32 v89, 0x1400, v64
	;; [unrolled: 1-line block ×12, first 2 shown]
.LBB27_9:                               ; =>This Inner Loop Header: Depth=1
	s_ashr_i32 s5, s4, 31
	v_dual_mov_b32 v102, v5 :: v_dual_mov_b32 v103, v4
	s_mul_u64 s[24:25], s[4:5], s[14:15]
	v_dual_mov_b32 v105, 0 :: v_dual_add_nc_u32 v4, 0x900, v66
	s_lshl_b64 s[24:25], s[24:25], 2
	v_cmp_gt_i32_e32 vcc_lo, 32, v71
	s_add_nc_u64 s[24:25], s[6:7], s[24:25]
	v_mov_b32_e32 v104, 0
	v_lshl_add_u64 v[0:1], v[26:27], 2, s[24:25]
	s_delay_alu instid0(VALU_DEP_1) | instskip(SKIP_4) | instid1(VALU_DEP_1)
	v_add_nc_u64_e32 v[0:1], v[0:1], v[40:41]
	global_load_b128 v[0:3], v[0:1], off
	s_wait_loadcnt 0x0
	ds_store_b128 v66, v[0:3]
	v_lshl_add_u64 v[0:1], v[28:29], 2, s[24:25]
	v_add_nc_u64_e32 v[0:1], v[0:1], v[40:41]
	global_load_b128 v[0:3], v[0:1], off
	s_wait_loadcnt 0x0
	ds_store_b128 v4, v[0:3]
	v_lshl_add_u64 v[0:1], v[30:31], 2, s[24:25]
	v_add_nc_u32_e32 v4, 0x1200, v66
	s_delay_alu instid0(VALU_DEP_2)
	v_add_nc_u64_e32 v[0:1], v[0:1], v[40:41]
	global_load_b128 v[0:3], v[0:1], off
	s_wait_loadcnt 0x0
	ds_store_b128 v4, v[0:3]
	v_lshl_add_u64 v[0:1], v[32:33], 2, s[24:25]
	v_add_nc_u32_e32 v4, 0x1b00, v66
	s_delay_alu instid0(VALU_DEP_2)
	;; [unrolled: 7-line block ×5, first 2 shown]
	v_add_nc_u64_e32 v[0:1], v[0:1], v[40:41]
	global_load_b128 v[0:3], v[0:1], off
	s_wait_loadcnt 0x0
	ds_store_b128 v4, v[0:3]
	v_lshl_add_u64 v[0:1], v[48:49], 2, s[24:25]
	v_add_nc_u32_e32 v4, 0x3f00, v66
	s_mul_u64 s[24:25], s[4:5], s[10:11]
	s_delay_alu instid0(SALU_CYCLE_1) | instskip(NEXT) | instid1(VALU_DEP_2)
	s_lshl_b64 s[24:25], s[24:25], 2
	v_add_nc_u64_e32 v[0:1], v[0:1], v[40:41]
	s_add_nc_u64 s[24:25], s[8:9], s[24:25]
	global_load_b128 v[0:3], v[0:1], off
	s_wait_loadcnt 0x0
	ds_store_b128 v4, v[0:3]
	s_wait_dscnt 0x0
	s_barrier_signal -1
	s_barrier_wait -1
	ds_load_b128 v[20:23], v73
	ds_load_b128 v[16:19], v73 offset:4608
	ds_load_b128 v[12:15], v73 offset:9216
	;; [unrolled: 1-line block ×3, first 2 shown]
	ds_load_b128 v[8:11], v72
	ds_load_b128 v[4:7], v72 offset:128
	s_wait_dscnt 0x1
	;;#ASMSTART
	v_dot2_f32_f16 v104, v20, v8, v104
	;;#ASMEND
	;;#ASMSTART
	v_dot2_f32_f16 v104, v21, v9, v104
	;;#ASMEND
	;;#ASMSTART
	v_dot2_f32_f16 v104, v22, v10, v104
	;;#ASMEND
	;;#ASMSTART
	v_dot2_f32_f16 v104, v23, v11, v104
	;;#ASMEND
	s_wait_dscnt 0x0
	;;#ASMSTART
	v_dot2_f32_f16 v105, v20, v4, v105
	;;#ASMEND
	;;#ASMSTART
	v_dot2_f32_f16 v105, v21, v5, v105
	;;#ASMEND
	;;#ASMSTART
	v_dot2_f32_f16 v105, v22, v6, v105
	;;#ASMEND
	v_mov_b32_e32 v21, 0
	;;#ASMSTART
	v_dot2_f32_f16 v105, v23, v7, v105
	;;#ASMEND
	;;#ASMSTART
	v_dot2_f32_f16 v21, v16, v8, v21
	;;#ASMEND
	;;#ASMSTART
	v_dot2_f32_f16 v21, v17, v9, v21
	;;#ASMEND
	;;#ASMSTART
	v_dot2_f32_f16 v21, v18, v10, v21
	;;#ASMEND
	v_mov_b32_e32 v20, 0
	;;#ASMSTART
	v_dot2_f32_f16 v21, v19, v11, v21
	;;#ASMEND
	;; [unrolled: 13-line block ×6, first 2 shown]
	;;#ASMSTART
	v_dot2_f32_f16 v8, v0, v4, v8
	;;#ASMEND
	;;#ASMSTART
	v_dot2_f32_f16 v8, v1, v5, v8
	;;#ASMEND
	;; [unrolled: 3-line block ×4, first 2 shown]
	ds_load_b128 v[0:3], v73 offset:16
	ds_load_b128 v[4:7], v73 offset:4624
	;; [unrolled: 1-line block ×6, first 2 shown]
	s_wait_dscnt 0x1
	;;#ASMSTART
	v_dot2_f32_f16 v104, v0, v114, v104
	;;#ASMEND
	;;#ASMSTART
	v_dot2_f32_f16 v104, v1, v115, v104
	;;#ASMEND
	;; [unrolled: 3-line block ×4, first 2 shown]
	s_wait_dscnt 0x0
	;;#ASMSTART
	v_dot2_f32_f16 v105, v0, v118, v105
	;;#ASMEND
	;;#ASMSTART
	v_dot2_f32_f16 v105, v1, v119, v105
	;;#ASMEND
	;; [unrolled: 3-line block ×28, first 2 shown]
	ds_load_b128 v[0:3], v73 offset:32
	ds_load_b128 v[4:7], v73 offset:4640
	;; [unrolled: 1-line block ×6, first 2 shown]
	s_wait_dscnt 0x1
	;;#ASMSTART
	v_dot2_f32_f16 v104, v0, v114, v104
	;;#ASMEND
	;;#ASMSTART
	v_dot2_f32_f16 v104, v1, v115, v104
	;;#ASMEND
	;; [unrolled: 3-line block ×4, first 2 shown]
	s_wait_dscnt 0x0
	;;#ASMSTART
	v_dot2_f32_f16 v105, v0, v118, v105
	;;#ASMEND
	;;#ASMSTART
	v_dot2_f32_f16 v105, v1, v119, v105
	;;#ASMEND
	;; [unrolled: 3-line block ×28, first 2 shown]
	ds_load_b128 v[0:3], v73 offset:48
	ds_load_b128 v[4:7], v73 offset:4656
	;; [unrolled: 1-line block ×6, first 2 shown]
	s_wait_dscnt 0x1
	;;#ASMSTART
	v_dot2_f32_f16 v104, v0, v114, v104
	;;#ASMEND
	;;#ASMSTART
	v_dot2_f32_f16 v104, v1, v115, v104
	;;#ASMEND
	;; [unrolled: 3-line block ×4, first 2 shown]
	s_wait_dscnt 0x0
	;;#ASMSTART
	v_dot2_f32_f16 v105, v0, v118, v105
	;;#ASMEND
	;;#ASMSTART
	v_dot2_f32_f16 v105, v1, v119, v105
	;;#ASMEND
	;; [unrolled: 3-line block ×28, first 2 shown]
	ds_load_b128 v[0:3], v73 offset:64
	ds_load_b128 v[4:7], v73 offset:4672
	ds_load_b128 v[106:109], v73 offset:9280
	ds_load_b128 v[110:113], v73 offset:13888
	ds_load_b128 v[114:117], v72 offset:64
	ds_load_b128 v[118:121], v72 offset:192
	s_wait_dscnt 0x1
	;;#ASMSTART
	v_dot2_f32_f16 v104, v0, v114, v104
	;;#ASMEND
	;;#ASMSTART
	v_dot2_f32_f16 v104, v1, v115, v104
	;;#ASMEND
	;; [unrolled: 3-line block ×4, first 2 shown]
	s_wait_dscnt 0x0
	;;#ASMSTART
	v_dot2_f32_f16 v105, v0, v118, v105
	;;#ASMEND
	;;#ASMSTART
	v_dot2_f32_f16 v105, v1, v119, v105
	;;#ASMEND
	;; [unrolled: 3-line block ×28, first 2 shown]
	ds_load_b128 v[0:3], v73 offset:80
	ds_load_b128 v[4:7], v73 offset:4688
	;; [unrolled: 1-line block ×6, first 2 shown]
	s_wait_dscnt 0x1
	;;#ASMSTART
	v_dot2_f32_f16 v104, v0, v114, v104
	;;#ASMEND
	;;#ASMSTART
	v_dot2_f32_f16 v104, v1, v115, v104
	;;#ASMEND
	;; [unrolled: 3-line block ×4, first 2 shown]
	s_wait_dscnt 0x0
	;;#ASMSTART
	v_dot2_f32_f16 v105, v0, v118, v105
	;;#ASMEND
	;;#ASMSTART
	v_dot2_f32_f16 v105, v1, v119, v105
	;;#ASMEND
	;; [unrolled: 3-line block ×28, first 2 shown]
	ds_load_b128 v[0:3], v73 offset:96
	ds_load_b128 v[4:7], v73 offset:4704
	;; [unrolled: 1-line block ×6, first 2 shown]
	s_wait_dscnt 0x1
	;;#ASMSTART
	v_dot2_f32_f16 v104, v0, v114, v104
	;;#ASMEND
	;;#ASMSTART
	v_dot2_f32_f16 v104, v1, v115, v104
	;;#ASMEND
	;; [unrolled: 3-line block ×4, first 2 shown]
	s_wait_dscnt 0x0
	;;#ASMSTART
	v_dot2_f32_f16 v105, v0, v118, v105
	;;#ASMEND
	;;#ASMSTART
	v_dot2_f32_f16 v105, v1, v119, v105
	;;#ASMEND
	;; [unrolled: 3-line block ×28, first 2 shown]
	ds_load_b128 v[0:3], v73 offset:112
	ds_load_b128 v[4:7], v73 offset:4720
	;; [unrolled: 1-line block ×6, first 2 shown]
	s_wait_dscnt 0x1
	;;#ASMSTART
	v_dot2_f32_f16 v104, v0, v114, v104
	;;#ASMEND
	;;#ASMSTART
	v_dot2_f32_f16 v104, v1, v115, v104
	;;#ASMEND
	;;#ASMSTART
	v_dot2_f32_f16 v104, v2, v116, v104
	;;#ASMEND
	;;#ASMSTART
	v_dot2_f32_f16 v104, v3, v117, v104
	;;#ASMEND
	s_wait_dscnt 0x0
	;;#ASMSTART
	v_dot2_f32_f16 v105, v0, v118, v105
	;;#ASMEND
	;;#ASMSTART
	v_dot2_f32_f16 v105, v1, v119, v105
	;;#ASMEND
	v_cndmask_b32_e32 v1, v63, v71, vcc_lo
	v_cmp_gt_i32_e32 vcc_lo, 32, v70
	;;#ASMSTART
	v_dot2_f32_f16 v105, v2, v120, v105
	;;#ASMEND
	;;#ASMSTART
	v_dot2_f32_f16 v105, v3, v121, v105
	;;#ASMEND
	;;#ASMSTART
	v_dot2_f32_f16 v21, v4, v114, v21
	;;#ASMEND
	v_dual_cndmask_b32 v2, v63, v70 :: v_dual_lshlrev_b32 v1, 2, v1
	v_cmp_gt_i32_e32 vcc_lo, 32, v69
	;;#ASMSTART
	v_dot2_f32_f16 v21, v5, v115, v21
	;;#ASMEND
	;;#ASMSTART
	v_dot2_f32_f16 v21, v6, v116, v21
	;;#ASMEND
	;; [unrolled: 3-line block ×4, first 2 shown]
	v_cndmask_b32_e32 v3, v63, v69, vcc_lo
	v_cmp_gt_i32_e32 vcc_lo, 32, v68
	;;#ASMSTART
	v_dot2_f32_f16 v20, v5, v119, v20
	;;#ASMEND
	;;#ASMSTART
	v_dot2_f32_f16 v20, v6, v120, v20
	;;#ASMEND
	;; [unrolled: 3-line block ×6, first 2 shown]
	v_cndmask_b32_e32 v4, v63, v68, vcc_lo
	v_cmp_gt_i32_e32 vcc_lo, 32, v67
	;;#ASMSTART
	v_dot2_f32_f16 v17, v109, v117, v17
	;;#ASMEND
	;;#ASMSTART
	v_dot2_f32_f16 v16, v106, v118, v16
	;;#ASMEND
	;; [unrolled: 3-line block ×7, first 2 shown]
	v_dual_add_nc_u32 v0, s4, v75 :: v_dual_lshlrev_b32 v5, 2, v4
	v_cndmask_b32_e32 v4, v63, v67, vcc_lo
	;;#ASMSTART
	v_dot2_f32_f16 v12, v112, v116, v12
	;;#ASMEND
	;;#ASMSTART
	v_dot2_f32_f16 v12, v113, v117, v12
	;;#ASMEND
	;; [unrolled: 3-line block ×6, first 2 shown]
	v_lshlrev_b32_e32 v6, 2, v4
	s_clause 0x1
	global_load_u16 v4, v0, s[30:31] scale_offset
	global_load_u16 v10, v0, s[30:31] offset:64 scale_offset
	v_dual_lshlrev_b32 v2, 2, v2 :: v_dual_lshlrev_b32 v3, 2, v3
	s_wait_loadcnt 0x1
	v_cvt_f32_f16_e32 v7, v4
	s_wait_loadcnt 0x0
	v_cvt_f32_f16_e32 v10, v10
	s_delay_alu instid0(VALU_DEP_1) | instskip(NEXT) | instid1(VALU_DEP_1)
	v_dual_add_f32 v9, v104, v7 :: v_dual_add_f32 v11, v21, v10
	v_dual_add_f32 v4, 0x40051340, v9 :: v_dual_add_f32 v13, 0x40051340, v11
	s_delay_alu instid0(VALU_DEP_1)
	v_max3_num_f32 v4, v103, v4, v13
	s_clause 0x1
	global_load_u16 v13, v0, s[30:31] offset:128 scale_offset
	global_load_u16 v0, v0, s[30:31] offset:192 scale_offset
	s_wait_loadcnt 0x0
	s_barrier_signal -1
	s_barrier_wait -1
	v_cvt_f32_f16_e32 v13, v13
	s_wait_xcnt 0x0
	v_cvt_f32_f16_e32 v0, v0
	s_delay_alu instid0(VALU_DEP_1) | instskip(SKIP_1) | instid1(VALU_DEP_2)
	v_dual_add_f32 v14, v17, v13 :: v_dual_add_f32 v12, v12, v0
	v_add_f32_e32 v13, v16, v13
	v_dual_add_f32 v16, v8, v0 :: v_dual_add_f32 v15, 0x40051340, v14
	s_delay_alu instid0(VALU_DEP_3) | instskip(NEXT) | instid1(VALU_DEP_2)
	v_add_f32_e32 v17, 0x40051340, v12
	v_add_f32_e32 v0, 0x40051340, v16
	s_delay_alu instid0(VALU_DEP_2) | instskip(SKIP_4) | instid1(VALU_DEP_1)
	v_max3_num_f32 v4, v4, v15, v17
	v_dual_add_f32 v17, v20, v10 :: v_dual_add_f32 v7, v105, v7
	ds_bpermute_b32 v15, v1, v4
	s_wait_dscnt 0x0
	v_dual_add_f32 v10, 0x40051340, v17 :: v_dual_max_num_f32 v15, v15, v15
	v_max_num_f32_e32 v4, v4, v15
	ds_bpermute_b32 v15, v2, v4
	s_wait_dscnt 0x0
	v_max_num_f32_e32 v15, v15, v15
	s_delay_alu instid0(VALU_DEP_1) | instskip(SKIP_3) | instid1(VALU_DEP_1)
	v_max_num_f32_e32 v4, v4, v15
	ds_bpermute_b32 v15, v3, v4
	s_wait_dscnt 0x0
	v_max_num_f32_e32 v15, v15, v15
	v_max_num_f32_e32 v4, v4, v15
	ds_bpermute_b32 v15, v5, v4
	s_wait_dscnt 0x0
	v_max_num_f32_e32 v15, v15, v15
	s_delay_alu instid0(VALU_DEP_1) | instskip(SKIP_3) | instid1(VALU_DEP_1)
	v_max_num_f32_e32 v4, v4, v15
	ds_bpermute_b32 v15, v6, v4
	s_wait_dscnt 0x0
	v_max_num_f32_e32 v15, v15, v15
	v_max_num_f32_e32 v4, v4, v15
	v_add_f32_e32 v15, 0x40051340, v7
	s_delay_alu instid0(VALU_DEP_1) | instskip(SKIP_1) | instid1(VALU_DEP_1)
	v_max3_num_f32 v10, v102, v15, v10
	v_add_f32_e32 v15, 0x40051340, v13
	v_max3_num_f32 v0, v10, v15, v0
	ds_bpermute_b32 v1, v1, v0
	s_wait_dscnt 0x0
	v_max_num_f32_e32 v1, v1, v1
	s_delay_alu instid0(VALU_DEP_1) | instskip(SKIP_3) | instid1(VALU_DEP_1)
	v_max_num_f32_e32 v0, v0, v1
	ds_bpermute_b32 v1, v2, v0
	s_wait_dscnt 0x0
	v_max_num_f32_e32 v1, v1, v1
	v_max_num_f32_e32 v0, v0, v1
	ds_bpermute_b32 v1, v3, v0
	s_wait_dscnt 0x0
	v_max_num_f32_e32 v1, v1, v1
	s_delay_alu instid0(VALU_DEP_1) | instskip(SKIP_3) | instid1(VALU_DEP_1)
	v_max_num_f32_e32 v0, v0, v1
	ds_bpermute_b32 v1, v5, v0
	s_wait_dscnt 0x0
	v_max_num_f32_e32 v1, v1, v1
	v_max_num_f32_e32 v0, v0, v1
	ds_bpermute_b32 v1, v6, v0
	s_wait_dscnt 0x0
	v_max_num_f32_e32 v1, v1, v1
	s_delay_alu instid0(VALU_DEP_1) | instskip(SKIP_1) | instid1(VALU_DEP_1)
	v_dual_max_num_f32 v5, v0, v1 :: v_dual_sub_f32 v1, v103, v4
	v_sub_f32_e32 v0, v9, v4
	v_mul_f32_e32 v2, 0x3fb8aa3b, v0
	s_delay_alu instid0(VALU_DEP_1) | instskip(SKIP_1) | instid1(VALU_DEP_1)
	v_fma_f32 v3, 0x3fb8aa3b, v0, -v2
	v_rndne_f32_e32 v6, v2
	v_sub_f32_e32 v2, v2, v6
	v_cmp_ngt_f32_e32 vcc_lo, 0xc2ce8ed0, v0
	s_delay_alu instid0(VALU_DEP_4) | instskip(NEXT) | instid1(VALU_DEP_1)
	v_fmac_f32_e32 v3, 0x32a5705f, v0
	v_add_f32_e32 v2, v2, v3
	v_cvt_i32_f32_e32 v3, v6
	s_delay_alu instid0(VALU_DEP_2) | instskip(SKIP_1) | instid1(TRANS32_DEP_1)
	v_exp_f32_e32 v2, v2
	v_nop
	v_ldexp_f32 v2, v2, v3
	s_delay_alu instid0(VALU_DEP_1) | instskip(SKIP_1) | instid1(VALU_DEP_2)
	v_cndmask_b32_e32 v2, 0, v2, vcc_lo
	v_cmp_nlt_f32_e32 vcc_lo, 0x42b17218, v0
	v_cndmask_b32_e32 v0, 0x7f800000, v2, vcc_lo
	v_dual_sub_f32 v2, v11, v4 :: v_dual_sub_f32 v11, v102, v5
	s_delay_alu instid0(VALU_DEP_1) | instskip(SKIP_1) | instid1(VALU_DEP_2)
	v_mul_f32_e32 v3, 0x3fb8aa3b, v2
	v_cmp_ngt_f32_e32 vcc_lo, 0xc2ce8ed0, v2
	v_fma_f32 v6, 0x3fb8aa3b, v2, -v3
	v_rndne_f32_e32 v8, v3
	s_delay_alu instid0(VALU_DEP_1) | instskip(NEXT) | instid1(VALU_DEP_1)
	v_dual_fmac_f32 v6, 0x32a5705f, v2 :: v_dual_sub_f32 v3, v3, v8
	v_add_f32_e32 v3, v3, v6
	v_cvt_i32_f32_e32 v6, v8
	s_delay_alu instid0(VALU_DEP_2) | instskip(SKIP_1) | instid1(TRANS32_DEP_1)
	v_exp_f32_e32 v3, v3
	v_nop
	v_ldexp_f32 v3, v3, v6
	s_delay_alu instid0(VALU_DEP_1) | instskip(SKIP_1) | instid1(VALU_DEP_2)
	v_cndmask_b32_e32 v3, 0, v3, vcc_lo
	v_cmp_nlt_f32_e32 vcc_lo, 0x42b17218, v2
	v_dual_cndmask_b32 v2, 0x7f800000, v3 :: v_dual_sub_f32 v3, v14, v4
	s_delay_alu instid0(VALU_DEP_1) | instskip(SKIP_1) | instid1(VALU_DEP_2)
	v_mul_f32_e32 v6, 0x3fb8aa3b, v3
	v_cmp_ngt_f32_e32 vcc_lo, 0xc2ce8ed0, v3
	v_fma_f32 v8, 0x3fb8aa3b, v3, -v6
	v_rndne_f32_e32 v9, v6
	s_delay_alu instid0(VALU_DEP_2) | instskip(NEXT) | instid1(VALU_DEP_2)
	v_fmac_f32_e32 v8, 0x32a5705f, v3
	v_sub_f32_e32 v6, v6, v9
	s_delay_alu instid0(VALU_DEP_1) | instskip(SKIP_1) | instid1(VALU_DEP_2)
	v_add_f32_e32 v6, v6, v8
	v_cvt_i32_f32_e32 v8, v9
	v_exp_f32_e32 v6, v6
	v_nop
	s_delay_alu instid0(TRANS32_DEP_1) | instskip(NEXT) | instid1(VALU_DEP_1)
	v_ldexp_f32 v6, v6, v8
	v_cndmask_b32_e32 v6, 0, v6, vcc_lo
	v_cmp_nlt_f32_e32 vcc_lo, 0x42b17218, v3
	v_sub_f32_e32 v3, v12, v4
	s_delay_alu instid0(VALU_DEP_1) | instskip(NEXT) | instid1(VALU_DEP_1)
	v_mul_f32_e32 v8, 0x3fb8aa3b, v3
	v_fma_f32 v9, 0x3fb8aa3b, v3, -v8
	v_rndne_f32_e32 v10, v8
	s_delay_alu instid0(VALU_DEP_1) | instskip(NEXT) | instid1(VALU_DEP_1)
	v_dual_fmac_f32 v9, 0x32a5705f, v3 :: v_dual_sub_f32 v8, v8, v10
	v_add_f32_e32 v8, v8, v9
	v_cvt_i32_f32_e32 v9, v10
	v_cndmask_b32_e32 v6, 0x7f800000, v6, vcc_lo
	v_cmp_ngt_f32_e32 vcc_lo, 0xc2ce8ed0, v3
	s_delay_alu instid0(VALU_DEP_4) | instskip(SKIP_1) | instid1(TRANS32_DEP_1)
	v_exp_f32_e32 v8, v8
	v_nop
	v_ldexp_f32 v8, v8, v9
	s_delay_alu instid0(VALU_DEP_1) | instskip(SKIP_2) | instid1(VALU_DEP_3)
	v_cndmask_b32_e32 v8, 0, v8, vcc_lo
	v_cmp_nlt_f32_e32 vcc_lo, 0x42b17218, v3
	v_mul_f32_e32 v3, 0x3fb8aa3b, v1
	v_cndmask_b32_e32 v8, 0x7f800000, v8, vcc_lo
	s_delay_alu instid0(VALU_DEP_2) | instskip(SKIP_2) | instid1(VALU_DEP_3)
	v_fma_f32 v9, 0x3fb8aa3b, v1, -v3
	v_rndne_f32_e32 v10, v3
	v_cmp_ngt_f32_e32 vcc_lo, 0xc2ce8ed0, v1
	v_fmac_f32_e32 v9, 0x32a5705f, v1
	s_delay_alu instid0(VALU_DEP_3) | instskip(NEXT) | instid1(VALU_DEP_1)
	v_sub_f32_e32 v3, v3, v10
	v_add_f32_e32 v3, v3, v9
	v_cvt_i32_f32_e32 v9, v10
	s_delay_alu instid0(VALU_DEP_2) | instskip(SKIP_1) | instid1(TRANS32_DEP_1)
	v_exp_f32_e32 v3, v3
	v_nop
	v_ldexp_f32 v3, v3, v9
	s_delay_alu instid0(VALU_DEP_1) | instskip(SKIP_1) | instid1(VALU_DEP_2)
	v_cndmask_b32_e32 v3, 0, v3, vcc_lo
	v_cmp_nlt_f32_e32 vcc_lo, 0x42b17218, v1
	v_cndmask_b32_e32 v10, 0x7f800000, v3, vcc_lo
	s_delay_alu instid0(VALU_DEP_1) | instskip(NEXT) | instid1(VALU_DEP_1)
	v_cvt_f16_f32_e32 v1, v10
	v_and_b32_e32 v1, 0xffff, v1
	s_delay_alu instid0(VALU_DEP_1) | instskip(SKIP_1) | instid1(VALU_DEP_1)
	v_mul_u32_u24_e32 v18, 0x10001, v1
	v_sub_f32_e32 v1, v7, v5
	v_mul_f32_e32 v3, 0x3fb8aa3b, v1
	v_cmp_ngt_f32_e32 vcc_lo, 0xc2ce8ed0, v1
	s_delay_alu instid0(VALU_DEP_2) | instskip(SKIP_1) | instid1(VALU_DEP_2)
	v_fma_f32 v7, 0x3fb8aa3b, v1, -v3
	v_rndne_f32_e32 v9, v3
	v_fmac_f32_e32 v7, 0x32a5705f, v1
	s_delay_alu instid0(VALU_DEP_2) | instskip(NEXT) | instid1(VALU_DEP_1)
	v_sub_f32_e32 v3, v3, v9
	v_add_f32_e32 v3, v3, v7
	v_cvt_i32_f32_e32 v7, v9
	s_delay_alu instid0(VALU_DEP_2) | instskip(SKIP_1) | instid1(TRANS32_DEP_1)
	v_exp_f32_e32 v3, v3
	v_nop
	v_ldexp_f32 v3, v3, v7
	s_delay_alu instid0(VALU_DEP_1) | instskip(SKIP_1) | instid1(VALU_DEP_2)
	v_cndmask_b32_e32 v3, 0, v3, vcc_lo
	v_cmp_nlt_f32_e32 vcc_lo, 0x42b17218, v1
	v_cndmask_b32_e32 v1, 0x7f800000, v3, vcc_lo
	v_sub_f32_e32 v3, v17, v5
	s_delay_alu instid0(VALU_DEP_1) | instskip(SKIP_1) | instid1(VALU_DEP_2)
	v_mul_f32_e32 v7, 0x3fb8aa3b, v3
	v_cmp_ngt_f32_e32 vcc_lo, 0xc2ce8ed0, v3
	v_fma_f32 v9, 0x3fb8aa3b, v3, -v7
	v_rndne_f32_e32 v12, v7
	s_delay_alu instid0(VALU_DEP_2) | instskip(NEXT) | instid1(VALU_DEP_2)
	v_fmac_f32_e32 v9, 0x32a5705f, v3
	v_sub_f32_e32 v7, v7, v12
	s_delay_alu instid0(VALU_DEP_1) | instskip(SKIP_1) | instid1(VALU_DEP_2)
	v_add_f32_e32 v7, v7, v9
	v_cvt_i32_f32_e32 v9, v12
	v_exp_f32_e32 v7, v7
	v_nop
	s_delay_alu instid0(TRANS32_DEP_1) | instskip(NEXT) | instid1(VALU_DEP_1)
	v_ldexp_f32 v7, v7, v9
	v_cndmask_b32_e32 v7, 0, v7, vcc_lo
	v_cmp_nlt_f32_e32 vcc_lo, 0x42b17218, v3
	s_delay_alu instid0(VALU_DEP_2) | instskip(SKIP_1) | instid1(VALU_DEP_1)
	v_cndmask_b32_e32 v3, 0x7f800000, v7, vcc_lo
	v_sub_f32_e32 v7, v13, v5
	v_mul_f32_e32 v9, 0x3fb8aa3b, v7
	v_cmp_ngt_f32_e32 vcc_lo, 0xc2ce8ed0, v7
	s_delay_alu instid0(VALU_DEP_2) | instskip(SKIP_1) | instid1(VALU_DEP_1)
	v_fma_f32 v12, 0x3fb8aa3b, v7, -v9
	v_rndne_f32_e32 v13, v9
	v_dual_fmac_f32 v12, 0x32a5705f, v7 :: v_dual_sub_f32 v9, v9, v13
	s_delay_alu instid0(VALU_DEP_1) | instskip(SKIP_1) | instid1(VALU_DEP_2)
	v_add_f32_e32 v9, v9, v12
	v_cvt_i32_f32_e32 v12, v13
	v_exp_f32_e32 v9, v9
	v_nop
	s_delay_alu instid0(TRANS32_DEP_1) | instskip(NEXT) | instid1(VALU_DEP_1)
	v_ldexp_f32 v9, v9, v12
	v_cndmask_b32_e32 v9, 0, v9, vcc_lo
	v_cmp_nlt_f32_e32 vcc_lo, 0x42b17218, v7
	s_delay_alu instid0(VALU_DEP_2) | instskip(SKIP_2) | instid1(VALU_DEP_2)
	v_cndmask_b32_e32 v7, 0x7f800000, v9, vcc_lo
	v_sub_f32_e32 v9, v16, v5
	v_lshl_add_u64 v[16:17], v[60:61], 2, s[24:25]
	v_mul_f32_e32 v12, 0x3fb8aa3b, v9
	v_cmp_ngt_f32_e32 vcc_lo, 0xc2ce8ed0, v9
	s_delay_alu instid0(VALU_DEP_3) | instskip(NEXT) | instid1(VALU_DEP_3)
	v_add_nc_u64_e32 v[16:17], v[16:17], v[40:41]
	v_fma_f32 v13, 0x3fb8aa3b, v9, -v12
	v_rndne_f32_e32 v14, v12
	s_delay_alu instid0(VALU_DEP_1) | instskip(NEXT) | instid1(VALU_DEP_1)
	v_dual_fmac_f32 v13, 0x32a5705f, v9 :: v_dual_sub_f32 v12, v12, v14
	v_add_f32_e32 v12, v12, v13
	v_cvt_i32_f32_e32 v13, v14
	s_delay_alu instid0(VALU_DEP_2) | instskip(SKIP_1) | instid1(TRANS32_DEP_1)
	v_exp_f32_e32 v12, v12
	v_nop
	v_ldexp_f32 v12, v12, v13
	s_delay_alu instid0(VALU_DEP_1) | instskip(SKIP_1) | instid1(VALU_DEP_2)
	v_cndmask_b32_e32 v12, 0, v12, vcc_lo
	v_cmp_nlt_f32_e32 vcc_lo, 0x42b17218, v9
	v_cndmask_b32_e32 v9, 0x7f800000, v12, vcc_lo
	v_mul_f32_e32 v12, 0x3fb8aa3b, v11
	v_cmp_ngt_f32_e32 vcc_lo, 0xc2ce8ed0, v11
	s_delay_alu instid0(VALU_DEP_2) | instskip(SKIP_1) | instid1(VALU_DEP_1)
	v_fma_f32 v13, 0x3fb8aa3b, v11, -v12
	v_rndne_f32_e32 v14, v12
	v_dual_fmac_f32 v13, 0x32a5705f, v11 :: v_dual_sub_f32 v12, v12, v14
	s_delay_alu instid0(VALU_DEP_1) | instskip(SKIP_1) | instid1(VALU_DEP_2)
	v_add_f32_e32 v12, v12, v13
	v_cvt_i32_f32_e32 v13, v14
	v_exp_f32_e32 v12, v12
	v_nop
	s_delay_alu instid0(TRANS32_DEP_1) | instskip(NEXT) | instid1(VALU_DEP_1)
	v_ldexp_f32 v12, v12, v13
	v_cndmask_b32_e32 v12, 0, v12, vcc_lo
	v_cmp_nlt_f32_e32 vcc_lo, 0x42b17218, v11
	s_delay_alu instid0(VALU_DEP_2) | instskip(SKIP_4) | instid1(VALU_DEP_4)
	v_cndmask_b32_e32 v11, 0x7f800000, v12, vcc_lo
	v_pk_add_f32 v[12:13], v[0:1], v[2:3]
	v_cvt_pk_f16_f32 v0, v0, v1
	v_cvt_pk_f16_f32 v1, v2, v3
	v_lshl_add_u64 v[2:3], v[42:43], 2, s[24:25]
	v_pk_add_f32 v[12:13], v[6:7], v[12:13]
	ds_store_2addr_b32 v84, v0, v1 offset1:32
	v_cvt_pk_f16_f32 v0, v6, v7
	v_cvt_pk_f16_f32 v1, v8, v9
	v_add_nc_u64_e32 v[2:3], v[2:3], v[40:41]
	v_pk_add_f32 v[12:13], v[8:9], v[12:13]
	v_lshl_add_u64 v[6:7], v[46:47], 2, s[24:25]
	ds_store_2addr_b32 v84, v0, v1 offset0:64 offset1:96
	v_lshl_add_u64 v[0:1], v[34:35], 2, s[24:25]
	v_pk_fma_f32 v[52:53], v[52:53], v[10:11], v[12:13]
	v_add_nc_u64_e32 v[12:13], v[6:7], v[40:41]
	v_lshl_add_u64 v[6:7], v[50:51], 2, s[24:25]
	v_cvt_f16_f32_e32 v10, v11
	v_add_nc_u64_e32 v[0:1], v[0:1], v[40:41]
	s_delay_alu instid0(VALU_DEP_3) | instskip(SKIP_1) | instid1(VALU_DEP_4)
	v_add_nc_u64_e32 v[14:15], v[6:7], v[40:41]
	v_lshl_add_u64 v[6:7], v[54:55], 2, s[24:25]
	v_and_b32_e32 v10, 0xffff, v10
	s_clause 0x1
	global_load_b128 v[20:23], v[0:1], off
	global_load_b128 v[0:3], v[2:3], off
	v_add_nc_u64_e32 v[8:9], v[6:7], v[40:41]
	v_lshl_add_u64 v[6:7], v[56:57], 2, s[24:25]
	v_mul_u32_u24_e32 v19, 0x10001, v10
	s_delay_alu instid0(VALU_DEP_2) | instskip(SKIP_1) | instid1(VALU_DEP_1)
	v_add_nc_u64_e32 v[10:11], v[6:7], v[40:41]
	v_lshl_add_u64 v[6:7], v[58:59], 2, s[24:25]
	v_add_nc_u64_e32 v[6:7], v[6:7], v[40:41]
	s_wait_loadcnt 0x1
	ds_store_b128 v74, v[20:23]
	s_wait_loadcnt 0x0
	ds_store_b128 v77, v[0:3]
	global_load_b128 v[0:3], v[12:13], off
	s_wait_loadcnt 0x0
	ds_store_b128 v78, v[0:3]
	global_load_b128 v[0:3], v[14:15], off
	;; [unrolled: 3-line block ×6, first 2 shown]
	s_wait_loadcnt 0x0
	ds_store_b128 v83, v[0:3]
	s_wait_dscnt 0x0
	s_barrier_signal -1
	s_barrier_wait -1
	ds_load_2addr_b32 v[6:7], v64 offset1:32
	ds_load_b128 v[0:3], v76
	s_wait_dscnt 0x0
	v_lshrrev_b32_e32 v8, 16, v0
	v_and_b32_e32 v0, 0xffff, v0
	s_delay_alu instid0(VALU_DEP_2) | instskip(NEXT) | instid1(VALU_DEP_2)
	v_mul_u32_u24_e32 v8, 0x10001, v8
	v_mul_u32_u24_e32 v0, 0x10001, v0
	s_delay_alu instid0(VALU_DEP_1) | instskip(NEXT) | instid1(VALU_DEP_3)
	v_pk_mul_f16 v0, v6, v0
	v_pk_mul_f16 v6, v6, v8
	v_lshrrev_b32_e32 v8, 16, v1
	v_and_b32_e32 v1, 0xffff, v1
	s_delay_alu instid0(VALU_DEP_4) | instskip(NEXT) | instid1(VALU_DEP_4)
	v_pk_fma_f16 v0, v101, v18, v0
	v_pk_fma_f16 v6, v100, v19, v6
	s_delay_alu instid0(VALU_DEP_4) | instskip(NEXT) | instid1(VALU_DEP_4)
	v_mul_u32_u24_e32 v8, 0x10001, v8
	v_mul_u32_u24_e32 v1, 0x10001, v1
	s_delay_alu instid0(VALU_DEP_2) | instskip(NEXT) | instid1(VALU_DEP_2)
	v_pk_fma_f16 v6, v7, v8, v6
	v_pk_fma_f16 v9, v7, v1, v0
	ds_load_2addr_b32 v[0:1], v64 offset0:64 offset1:96
	v_lshrrev_b32_e32 v7, 16, v2
	v_and_b32_e32 v2, 0xffff, v2
	s_delay_alu instid0(VALU_DEP_2) | instskip(NEXT) | instid1(VALU_DEP_2)
	v_mul_u32_u24_e32 v7, 0x10001, v7
	v_mul_u32_u24_e32 v2, 0x10001, v2
	s_wait_dscnt 0x0
	s_delay_alu instid0(VALU_DEP_1) | instskip(NEXT) | instid1(VALU_DEP_3)
	v_pk_fma_f16 v2, v0, v2, v9
	v_pk_fma_f16 v0, v0, v7, v6
	v_lshrrev_b32_e32 v6, 16, v3
	v_and_b32_e32 v3, 0xffff, v3
	s_delay_alu instid0(VALU_DEP_2) | instskip(NEXT) | instid1(VALU_DEP_2)
	v_mul_u32_u24_e32 v6, 0x10001, v6
	v_mul_u32_u24_e32 v3, 0x10001, v3
	s_delay_alu instid0(VALU_DEP_2) | instskip(NEXT) | instid1(VALU_DEP_2)
	v_pk_fma_f16 v9, v1, v6, v0
	v_pk_fma_f16 v8, v1, v3, v2
	ds_load_2addr_b32 v[6:7], v64 offset0:128 offset1:160
	ds_load_b128 v[0:3], v76 offset:16
	s_wait_dscnt 0x0
	v_lshrrev_b32_e32 v10, 16, v0
	v_and_b32_e32 v0, 0xffff, v0
	s_delay_alu instid0(VALU_DEP_2) | instskip(NEXT) | instid1(VALU_DEP_2)
	v_mul_u32_u24_e32 v10, 0x10001, v10
	v_mul_u32_u24_e32 v0, 0x10001, v0
	s_delay_alu instid0(VALU_DEP_1) | instskip(SKIP_3) | instid1(VALU_DEP_3)
	v_pk_fma_f16 v0, v6, v0, v8
	v_lshrrev_b32_e32 v8, 16, v1
	v_and_b32_e32 v1, 0xffff, v1
	v_pk_fma_f16 v6, v6, v10, v9
	v_mul_u32_u24_e32 v8, 0x10001, v8
	s_delay_alu instid0(VALU_DEP_3) | instskip(NEXT) | instid1(VALU_DEP_2)
	v_mul_u32_u24_e32 v1, 0x10001, v1
	v_pk_fma_f16 v6, v7, v8, v6
	s_delay_alu instid0(VALU_DEP_2) | instskip(SKIP_3) | instid1(VALU_DEP_2)
	v_pk_fma_f16 v9, v7, v1, v0
	ds_load_2addr_b32 v[0:1], v64 offset0:192 offset1:224
	v_lshrrev_b32_e32 v7, 16, v2
	v_and_b32_e32 v2, 0xffff, v2
	v_mul_u32_u24_e32 v7, 0x10001, v7
	s_delay_alu instid0(VALU_DEP_2) | instskip(SKIP_1) | instid1(VALU_DEP_1)
	v_mul_u32_u24_e32 v2, 0x10001, v2
	s_wait_dscnt 0x0
	v_pk_fma_f16 v2, v0, v2, v9
	s_delay_alu instid0(VALU_DEP_3) | instskip(SKIP_2) | instid1(VALU_DEP_2)
	v_pk_fma_f16 v0, v0, v7, v6
	v_lshrrev_b32_e32 v6, 16, v3
	v_and_b32_e32 v3, 0xffff, v3
	v_mul_u32_u24_e32 v6, 0x10001, v6
	s_delay_alu instid0(VALU_DEP_2) | instskip(NEXT) | instid1(VALU_DEP_2)
	v_mul_u32_u24_e32 v3, 0x10001, v3
	v_pk_fma_f16 v9, v1, v6, v0
	s_delay_alu instid0(VALU_DEP_2)
	v_pk_fma_f16 v8, v1, v3, v2
	ds_load_2addr_b32 v[6:7], v85 offset1:32
	ds_load_b128 v[0:3], v76 offset:32
	s_wait_dscnt 0x0
	v_lshrrev_b32_e32 v10, 16, v0
	v_and_b32_e32 v0, 0xffff, v0
	s_delay_alu instid0(VALU_DEP_2) | instskip(NEXT) | instid1(VALU_DEP_2)
	v_mul_u32_u24_e32 v10, 0x10001, v10
	v_mul_u32_u24_e32 v0, 0x10001, v0
	s_delay_alu instid0(VALU_DEP_1) | instskip(SKIP_3) | instid1(VALU_DEP_3)
	v_pk_fma_f16 v0, v6, v0, v8
	v_lshrrev_b32_e32 v8, 16, v1
	v_and_b32_e32 v1, 0xffff, v1
	v_pk_fma_f16 v6, v6, v10, v9
	v_mul_u32_u24_e32 v8, 0x10001, v8
	s_delay_alu instid0(VALU_DEP_3) | instskip(NEXT) | instid1(VALU_DEP_2)
	v_mul_u32_u24_e32 v1, 0x10001, v1
	v_pk_fma_f16 v6, v7, v8, v6
	s_delay_alu instid0(VALU_DEP_2) | instskip(SKIP_3) | instid1(VALU_DEP_2)
	v_pk_fma_f16 v9, v7, v1, v0
	ds_load_2addr_b32 v[0:1], v85 offset0:64 offset1:96
	v_lshrrev_b32_e32 v7, 16, v2
	v_and_b32_e32 v2, 0xffff, v2
	v_mul_u32_u24_e32 v7, 0x10001, v7
	s_delay_alu instid0(VALU_DEP_2) | instskip(SKIP_1) | instid1(VALU_DEP_1)
	v_mul_u32_u24_e32 v2, 0x10001, v2
	s_wait_dscnt 0x0
	v_pk_fma_f16 v2, v0, v2, v9
	s_delay_alu instid0(VALU_DEP_3) | instskip(SKIP_2) | instid1(VALU_DEP_2)
	v_pk_fma_f16 v0, v0, v7, v6
	v_lshrrev_b32_e32 v6, 16, v3
	v_and_b32_e32 v3, 0xffff, v3
	v_mul_u32_u24_e32 v6, 0x10001, v6
	s_delay_alu instid0(VALU_DEP_2) | instskip(NEXT) | instid1(VALU_DEP_2)
	v_mul_u32_u24_e32 v3, 0x10001, v3
	v_pk_fma_f16 v9, v1, v6, v0
	s_delay_alu instid0(VALU_DEP_2)
	v_pk_fma_f16 v8, v1, v3, v2
	ds_load_2addr_b32 v[6:7], v85 offset0:128 offset1:160
	ds_load_b128 v[0:3], v76 offset:48
	s_wait_dscnt 0x0
	v_lshrrev_b32_e32 v10, 16, v0
	v_and_b32_e32 v0, 0xffff, v0
	s_delay_alu instid0(VALU_DEP_1) | instskip(NEXT) | instid1(VALU_DEP_1)
	v_mul_u32_u24_e32 v0, 0x10001, v0
	v_pk_fma_f16 v0, v6, v0, v8
	v_lshrrev_b32_e32 v8, 16, v1
	v_and_b32_e32 v1, 0xffff, v1
	v_mul_u32_u24_e32 v10, 0x10001, v10
	s_delay_alu instid0(VALU_DEP_3) | instskip(NEXT) | instid1(VALU_DEP_3)
	v_mul_u32_u24_e32 v8, 0x10001, v8
	v_mul_u32_u24_e32 v1, 0x10001, v1
	s_delay_alu instid0(VALU_DEP_3) | instskip(NEXT) | instid1(VALU_DEP_2)
	v_pk_fma_f16 v6, v6, v10, v9
	v_pk_fma_f16 v9, v7, v1, v0
	ds_load_2addr_b32 v[0:1], v85 offset0:192 offset1:224
	v_pk_fma_f16 v6, v7, v8, v6
	v_lshrrev_b32_e32 v7, 16, v2
	v_and_b32_e32 v2, 0xffff, v2
	s_delay_alu instid0(VALU_DEP_2) | instskip(NEXT) | instid1(VALU_DEP_2)
	v_mul_u32_u24_e32 v7, 0x10001, v7
	v_mul_u32_u24_e32 v2, 0x10001, v2
	s_wait_dscnt 0x0
	s_delay_alu instid0(VALU_DEP_1) | instskip(NEXT) | instid1(VALU_DEP_3)
	v_pk_fma_f16 v2, v0, v2, v9
	v_pk_fma_f16 v0, v0, v7, v6
	v_lshrrev_b32_e32 v6, 16, v3
	v_and_b32_e32 v3, 0xffff, v3
	s_delay_alu instid0(VALU_DEP_2) | instskip(NEXT) | instid1(VALU_DEP_2)
	v_mul_u32_u24_e32 v6, 0x10001, v6
	v_mul_u32_u24_e32 v3, 0x10001, v3
	s_delay_alu instid0(VALU_DEP_2) | instskip(NEXT) | instid1(VALU_DEP_2)
	v_pk_fma_f16 v9, v1, v6, v0
	v_pk_fma_f16 v8, v1, v3, v2
	ds_load_2addr_b32 v[6:7], v86 offset1:32
	ds_load_b128 v[0:3], v76 offset:64
	s_wait_dscnt 0x0
	v_lshrrev_b32_e32 v10, 16, v0
	v_and_b32_e32 v0, 0xffff, v0
	s_delay_alu instid0(VALU_DEP_1) | instskip(NEXT) | instid1(VALU_DEP_1)
	v_mul_u32_u24_e32 v0, 0x10001, v0
	v_pk_fma_f16 v0, v6, v0, v8
	v_lshrrev_b32_e32 v8, 16, v1
	v_and_b32_e32 v1, 0xffff, v1
	v_mul_u32_u24_e32 v10, 0x10001, v10
	s_delay_alu instid0(VALU_DEP_3) | instskip(NEXT) | instid1(VALU_DEP_3)
	v_mul_u32_u24_e32 v8, 0x10001, v8
	v_mul_u32_u24_e32 v1, 0x10001, v1
	s_delay_alu instid0(VALU_DEP_3) | instskip(NEXT) | instid1(VALU_DEP_2)
	v_pk_fma_f16 v6, v6, v10, v9
	v_pk_fma_f16 v9, v7, v1, v0
	ds_load_2addr_b32 v[0:1], v86 offset0:64 offset1:96
	v_pk_fma_f16 v6, v7, v8, v6
	v_lshrrev_b32_e32 v7, 16, v2
	v_and_b32_e32 v2, 0xffff, v2
	s_delay_alu instid0(VALU_DEP_2) | instskip(NEXT) | instid1(VALU_DEP_2)
	v_mul_u32_u24_e32 v7, 0x10001, v7
	v_mul_u32_u24_e32 v2, 0x10001, v2
	s_wait_dscnt 0x0
	s_delay_alu instid0(VALU_DEP_1) | instskip(NEXT) | instid1(VALU_DEP_3)
	v_pk_fma_f16 v2, v0, v2, v9
	v_pk_fma_f16 v0, v0, v7, v6
	v_lshrrev_b32_e32 v6, 16, v3
	v_and_b32_e32 v3, 0xffff, v3
	s_delay_alu instid0(VALU_DEP_2) | instskip(NEXT) | instid1(VALU_DEP_2)
	v_mul_u32_u24_e32 v6, 0x10001, v6
	v_mul_u32_u24_e32 v3, 0x10001, v3
	s_delay_alu instid0(VALU_DEP_2) | instskip(NEXT) | instid1(VALU_DEP_2)
	v_pk_fma_f16 v9, v1, v6, v0
	v_pk_fma_f16 v8, v1, v3, v2
	ds_load_2addr_b32 v[6:7], v86 offset0:128 offset1:160
	ds_load_b128 v[0:3], v76 offset:80
	s_wait_dscnt 0x0
	v_lshrrev_b32_e32 v10, 16, v0
	v_and_b32_e32 v0, 0xffff, v0
	s_delay_alu instid0(VALU_DEP_1) | instskip(NEXT) | instid1(VALU_DEP_1)
	v_mul_u32_u24_e32 v0, 0x10001, v0
	v_pk_fma_f16 v0, v6, v0, v8
	v_lshrrev_b32_e32 v8, 16, v1
	v_and_b32_e32 v1, 0xffff, v1
	v_mul_u32_u24_e32 v10, 0x10001, v10
	s_delay_alu instid0(VALU_DEP_3) | instskip(NEXT) | instid1(VALU_DEP_3)
	v_mul_u32_u24_e32 v8, 0x10001, v8
	v_mul_u32_u24_e32 v1, 0x10001, v1
	s_delay_alu instid0(VALU_DEP_3) | instskip(NEXT) | instid1(VALU_DEP_2)
	v_pk_fma_f16 v6, v6, v10, v9
	v_pk_fma_f16 v9, v7, v1, v0
	ds_load_2addr_b32 v[0:1], v86 offset0:192 offset1:224
	v_pk_fma_f16 v6, v7, v8, v6
	v_lshrrev_b32_e32 v7, 16, v2
	v_and_b32_e32 v2, 0xffff, v2
	s_delay_alu instid0(VALU_DEP_2) | instskip(NEXT) | instid1(VALU_DEP_2)
	v_mul_u32_u24_e32 v7, 0x10001, v7
	v_mul_u32_u24_e32 v2, 0x10001, v2
	s_wait_dscnt 0x0
	s_delay_alu instid0(VALU_DEP_1) | instskip(NEXT) | instid1(VALU_DEP_3)
	v_pk_fma_f16 v2, v0, v2, v9
	v_pk_fma_f16 v0, v0, v7, v6
	v_lshrrev_b32_e32 v6, 16, v3
	v_and_b32_e32 v3, 0xffff, v3
	s_delay_alu instid0(VALU_DEP_2) | instskip(NEXT) | instid1(VALU_DEP_2)
	v_mul_u32_u24_e32 v6, 0x10001, v6
	v_mul_u32_u24_e32 v3, 0x10001, v3
	s_delay_alu instid0(VALU_DEP_2) | instskip(NEXT) | instid1(VALU_DEP_2)
	v_pk_fma_f16 v9, v1, v6, v0
	v_pk_fma_f16 v8, v1, v3, v2
	ds_load_2addr_b32 v[6:7], v87 offset1:32
	ds_load_b128 v[0:3], v76 offset:96
	s_wait_dscnt 0x0
	v_lshrrev_b32_e32 v10, 16, v0
	v_and_b32_e32 v0, 0xffff, v0
	s_delay_alu instid0(VALU_DEP_1) | instskip(NEXT) | instid1(VALU_DEP_1)
	v_mul_u32_u24_e32 v0, 0x10001, v0
	v_pk_fma_f16 v0, v6, v0, v8
	v_lshrrev_b32_e32 v8, 16, v1
	v_and_b32_e32 v1, 0xffff, v1
	v_mul_u32_u24_e32 v10, 0x10001, v10
	s_delay_alu instid0(VALU_DEP_3) | instskip(NEXT) | instid1(VALU_DEP_3)
	v_mul_u32_u24_e32 v8, 0x10001, v8
	v_mul_u32_u24_e32 v1, 0x10001, v1
	s_delay_alu instid0(VALU_DEP_3) | instskip(NEXT) | instid1(VALU_DEP_2)
	v_pk_fma_f16 v6, v6, v10, v9
	v_pk_fma_f16 v9, v7, v1, v0
	ds_load_2addr_b32 v[0:1], v87 offset0:64 offset1:96
	v_pk_fma_f16 v6, v7, v8, v6
	v_lshrrev_b32_e32 v7, 16, v2
	v_and_b32_e32 v2, 0xffff, v2
	s_delay_alu instid0(VALU_DEP_2) | instskip(NEXT) | instid1(VALU_DEP_2)
	v_mul_u32_u24_e32 v7, 0x10001, v7
	v_mul_u32_u24_e32 v2, 0x10001, v2
	s_wait_dscnt 0x0
	s_delay_alu instid0(VALU_DEP_1) | instskip(NEXT) | instid1(VALU_DEP_3)
	v_pk_fma_f16 v2, v0, v2, v9
	v_pk_fma_f16 v0, v0, v7, v6
	v_lshrrev_b32_e32 v6, 16, v3
	v_and_b32_e32 v3, 0xffff, v3
	s_delay_alu instid0(VALU_DEP_2) | instskip(NEXT) | instid1(VALU_DEP_2)
	v_mul_u32_u24_e32 v6, 0x10001, v6
	v_mul_u32_u24_e32 v3, 0x10001, v3
	s_delay_alu instid0(VALU_DEP_2) | instskip(NEXT) | instid1(VALU_DEP_2)
	v_pk_fma_f16 v9, v1, v6, v0
	v_pk_fma_f16 v8, v1, v3, v2
	ds_load_2addr_b32 v[6:7], v87 offset0:128 offset1:160
	ds_load_b128 v[0:3], v76 offset:112
	s_wait_dscnt 0x0
	v_lshrrev_b32_e32 v10, 16, v0
	v_and_b32_e32 v0, 0xffff, v0
	s_delay_alu instid0(VALU_DEP_1) | instskip(NEXT) | instid1(VALU_DEP_1)
	v_mul_u32_u24_e32 v0, 0x10001, v0
	v_pk_fma_f16 v0, v6, v0, v8
	v_lshrrev_b32_e32 v8, 16, v1
	v_and_b32_e32 v1, 0xffff, v1
	v_mul_u32_u24_e32 v10, 0x10001, v10
	s_delay_alu instid0(VALU_DEP_3) | instskip(NEXT) | instid1(VALU_DEP_3)
	v_mul_u32_u24_e32 v8, 0x10001, v8
	v_mul_u32_u24_e32 v1, 0x10001, v1
	s_delay_alu instid0(VALU_DEP_3) | instskip(NEXT) | instid1(VALU_DEP_2)
	v_pk_fma_f16 v6, v6, v10, v9
	v_pk_fma_f16 v9, v7, v1, v0
	ds_load_2addr_b32 v[0:1], v87 offset0:192 offset1:224
	v_pk_fma_f16 v6, v7, v8, v6
	v_lshrrev_b32_e32 v7, 16, v2
	v_and_b32_e32 v2, 0xffff, v2
	s_delay_alu instid0(VALU_DEP_2) | instskip(NEXT) | instid1(VALU_DEP_2)
	v_mul_u32_u24_e32 v7, 0x10001, v7
	v_mul_u32_u24_e32 v2, 0x10001, v2
	s_wait_dscnt 0x0
	s_delay_alu instid0(VALU_DEP_1) | instskip(NEXT) | instid1(VALU_DEP_3)
	v_pk_fma_f16 v2, v0, v2, v9
	v_pk_fma_f16 v0, v0, v7, v6
	v_lshrrev_b32_e32 v6, 16, v3
	v_and_b32_e32 v3, 0xffff, v3
	s_delay_alu instid0(VALU_DEP_2) | instskip(NEXT) | instid1(VALU_DEP_2)
	v_mul_u32_u24_e32 v6, 0x10001, v6
	v_mul_u32_u24_e32 v3, 0x10001, v3
	s_delay_alu instid0(VALU_DEP_2) | instskip(NEXT) | instid1(VALU_DEP_2)
	v_pk_fma_f16 v9, v1, v6, v0
	v_pk_fma_f16 v8, v1, v3, v2
	ds_load_2addr_b32 v[6:7], v88 offset1:32
	ds_load_b128 v[0:3], v76 offset:128
	s_wait_dscnt 0x0
	v_lshrrev_b32_e32 v10, 16, v0
	v_and_b32_e32 v0, 0xffff, v0
	s_delay_alu instid0(VALU_DEP_1) | instskip(NEXT) | instid1(VALU_DEP_1)
	v_mul_u32_u24_e32 v0, 0x10001, v0
	v_pk_fma_f16 v0, v6, v0, v8
	v_lshrrev_b32_e32 v8, 16, v1
	v_and_b32_e32 v1, 0xffff, v1
	v_mul_u32_u24_e32 v10, 0x10001, v10
	s_delay_alu instid0(VALU_DEP_3) | instskip(NEXT) | instid1(VALU_DEP_3)
	v_mul_u32_u24_e32 v8, 0x10001, v8
	v_mul_u32_u24_e32 v1, 0x10001, v1
	s_delay_alu instid0(VALU_DEP_3) | instskip(NEXT) | instid1(VALU_DEP_2)
	v_pk_fma_f16 v6, v6, v10, v9
	v_pk_fma_f16 v9, v7, v1, v0
	ds_load_2addr_b32 v[0:1], v88 offset0:64 offset1:96
	v_pk_fma_f16 v6, v7, v8, v6
	v_lshrrev_b32_e32 v7, 16, v2
	v_and_b32_e32 v2, 0xffff, v2
	s_delay_alu instid0(VALU_DEP_2) | instskip(NEXT) | instid1(VALU_DEP_2)
	v_mul_u32_u24_e32 v7, 0x10001, v7
	v_mul_u32_u24_e32 v2, 0x10001, v2
	s_wait_dscnt 0x0
	s_delay_alu instid0(VALU_DEP_1) | instskip(NEXT) | instid1(VALU_DEP_3)
	v_pk_fma_f16 v2, v0, v2, v9
	v_pk_fma_f16 v0, v0, v7, v6
	v_lshrrev_b32_e32 v6, 16, v3
	v_and_b32_e32 v3, 0xffff, v3
	s_delay_alu instid0(VALU_DEP_2) | instskip(NEXT) | instid1(VALU_DEP_2)
	v_mul_u32_u24_e32 v6, 0x10001, v6
	v_mul_u32_u24_e32 v3, 0x10001, v3
	s_delay_alu instid0(VALU_DEP_2) | instskip(NEXT) | instid1(VALU_DEP_2)
	v_pk_fma_f16 v9, v1, v6, v0
	v_pk_fma_f16 v8, v1, v3, v2
	ds_load_2addr_b32 v[6:7], v88 offset0:128 offset1:160
	ds_load_b128 v[0:3], v76 offset:144
	s_wait_dscnt 0x0
	v_lshrrev_b32_e32 v10, 16, v0
	v_and_b32_e32 v0, 0xffff, v0
	s_delay_alu instid0(VALU_DEP_1) | instskip(NEXT) | instid1(VALU_DEP_1)
	v_mul_u32_u24_e32 v0, 0x10001, v0
	v_pk_fma_f16 v0, v6, v0, v8
	v_lshrrev_b32_e32 v8, 16, v1
	v_and_b32_e32 v1, 0xffff, v1
	v_mul_u32_u24_e32 v10, 0x10001, v10
	s_delay_alu instid0(VALU_DEP_3) | instskip(NEXT) | instid1(VALU_DEP_3)
	v_mul_u32_u24_e32 v8, 0x10001, v8
	v_mul_u32_u24_e32 v1, 0x10001, v1
	s_delay_alu instid0(VALU_DEP_3) | instskip(NEXT) | instid1(VALU_DEP_2)
	v_pk_fma_f16 v6, v6, v10, v9
	v_pk_fma_f16 v9, v7, v1, v0
	ds_load_2addr_b32 v[0:1], v88 offset0:192 offset1:224
	v_pk_fma_f16 v6, v7, v8, v6
	v_lshrrev_b32_e32 v7, 16, v2
	v_and_b32_e32 v2, 0xffff, v2
	s_delay_alu instid0(VALU_DEP_2) | instskip(NEXT) | instid1(VALU_DEP_2)
	v_mul_u32_u24_e32 v7, 0x10001, v7
	v_mul_u32_u24_e32 v2, 0x10001, v2
	s_wait_dscnt 0x0
	s_delay_alu instid0(VALU_DEP_1) | instskip(NEXT) | instid1(VALU_DEP_3)
	v_pk_fma_f16 v2, v0, v2, v9
	v_pk_fma_f16 v0, v0, v7, v6
	v_lshrrev_b32_e32 v6, 16, v3
	v_and_b32_e32 v3, 0xffff, v3
	s_delay_alu instid0(VALU_DEP_2) | instskip(NEXT) | instid1(VALU_DEP_2)
	v_mul_u32_u24_e32 v6, 0x10001, v6
	v_mul_u32_u24_e32 v3, 0x10001, v3
	s_delay_alu instid0(VALU_DEP_2) | instskip(NEXT) | instid1(VALU_DEP_2)
	v_pk_fma_f16 v9, v1, v6, v0
	v_pk_fma_f16 v8, v1, v3, v2
	ds_load_2addr_b32 v[6:7], v89 offset1:32
	ds_load_b128 v[0:3], v76 offset:160
	s_wait_dscnt 0x0
	v_lshrrev_b32_e32 v10, 16, v0
	v_and_b32_e32 v0, 0xffff, v0
	s_delay_alu instid0(VALU_DEP_1) | instskip(NEXT) | instid1(VALU_DEP_1)
	v_mul_u32_u24_e32 v0, 0x10001, v0
	v_pk_fma_f16 v0, v6, v0, v8
	v_lshrrev_b32_e32 v8, 16, v1
	v_and_b32_e32 v1, 0xffff, v1
	v_mul_u32_u24_e32 v10, 0x10001, v10
	s_delay_alu instid0(VALU_DEP_3) | instskip(NEXT) | instid1(VALU_DEP_3)
	v_mul_u32_u24_e32 v8, 0x10001, v8
	v_mul_u32_u24_e32 v1, 0x10001, v1
	s_delay_alu instid0(VALU_DEP_3) | instskip(NEXT) | instid1(VALU_DEP_2)
	v_pk_fma_f16 v6, v6, v10, v9
	v_pk_fma_f16 v9, v7, v1, v0
	ds_load_2addr_b32 v[0:1], v89 offset0:64 offset1:96
	v_pk_fma_f16 v6, v7, v8, v6
	v_lshrrev_b32_e32 v7, 16, v2
	v_and_b32_e32 v2, 0xffff, v2
	s_delay_alu instid0(VALU_DEP_2) | instskip(NEXT) | instid1(VALU_DEP_2)
	v_mul_u32_u24_e32 v7, 0x10001, v7
	v_mul_u32_u24_e32 v2, 0x10001, v2
	s_wait_dscnt 0x0
	s_delay_alu instid0(VALU_DEP_1) | instskip(NEXT) | instid1(VALU_DEP_3)
	v_pk_fma_f16 v2, v0, v2, v9
	v_pk_fma_f16 v0, v0, v7, v6
	v_lshrrev_b32_e32 v6, 16, v3
	v_and_b32_e32 v3, 0xffff, v3
	s_delay_alu instid0(VALU_DEP_2) | instskip(NEXT) | instid1(VALU_DEP_2)
	v_mul_u32_u24_e32 v6, 0x10001, v6
	v_mul_u32_u24_e32 v3, 0x10001, v3
	s_delay_alu instid0(VALU_DEP_2) | instskip(NEXT) | instid1(VALU_DEP_2)
	v_pk_fma_f16 v9, v1, v6, v0
	v_pk_fma_f16 v8, v1, v3, v2
	ds_load_2addr_b32 v[6:7], v89 offset0:128 offset1:160
	ds_load_b128 v[0:3], v76 offset:176
	s_wait_dscnt 0x0
	v_lshrrev_b32_e32 v10, 16, v0
	v_and_b32_e32 v0, 0xffff, v0
	s_delay_alu instid0(VALU_DEP_1) | instskip(NEXT) | instid1(VALU_DEP_1)
	v_mul_u32_u24_e32 v0, 0x10001, v0
	v_pk_fma_f16 v0, v6, v0, v8
	v_lshrrev_b32_e32 v8, 16, v1
	v_and_b32_e32 v1, 0xffff, v1
	v_mul_u32_u24_e32 v10, 0x10001, v10
	s_delay_alu instid0(VALU_DEP_3) | instskip(NEXT) | instid1(VALU_DEP_3)
	v_mul_u32_u24_e32 v8, 0x10001, v8
	v_mul_u32_u24_e32 v1, 0x10001, v1
	s_delay_alu instid0(VALU_DEP_3) | instskip(NEXT) | instid1(VALU_DEP_2)
	v_pk_fma_f16 v6, v6, v10, v9
	v_pk_fma_f16 v9, v7, v1, v0
	ds_load_2addr_b32 v[0:1], v89 offset0:192 offset1:224
	v_pk_fma_f16 v6, v7, v8, v6
	v_lshrrev_b32_e32 v7, 16, v2
	v_and_b32_e32 v2, 0xffff, v2
	s_delay_alu instid0(VALU_DEP_2) | instskip(NEXT) | instid1(VALU_DEP_2)
	v_mul_u32_u24_e32 v7, 0x10001, v7
	v_mul_u32_u24_e32 v2, 0x10001, v2
	s_wait_dscnt 0x0
	s_delay_alu instid0(VALU_DEP_1) | instskip(NEXT) | instid1(VALU_DEP_3)
	v_pk_fma_f16 v2, v0, v2, v9
	v_pk_fma_f16 v0, v0, v7, v6
	v_lshrrev_b32_e32 v6, 16, v3
	v_and_b32_e32 v3, 0xffff, v3
	s_delay_alu instid0(VALU_DEP_2) | instskip(NEXT) | instid1(VALU_DEP_2)
	v_mul_u32_u24_e32 v6, 0x10001, v6
	v_mul_u32_u24_e32 v3, 0x10001, v3
	s_delay_alu instid0(VALU_DEP_2) | instskip(NEXT) | instid1(VALU_DEP_2)
	v_pk_fma_f16 v9, v1, v6, v0
	v_pk_fma_f16 v8, v1, v3, v2
	ds_load_2addr_b32 v[6:7], v90 offset1:32
	ds_load_b128 v[0:3], v76 offset:192
	s_wait_dscnt 0x0
	v_lshrrev_b32_e32 v10, 16, v0
	v_and_b32_e32 v0, 0xffff, v0
	s_delay_alu instid0(VALU_DEP_1) | instskip(NEXT) | instid1(VALU_DEP_1)
	v_mul_u32_u24_e32 v0, 0x10001, v0
	v_pk_fma_f16 v0, v6, v0, v8
	v_lshrrev_b32_e32 v8, 16, v1
	v_and_b32_e32 v1, 0xffff, v1
	v_mul_u32_u24_e32 v10, 0x10001, v10
	s_delay_alu instid0(VALU_DEP_3) | instskip(NEXT) | instid1(VALU_DEP_3)
	v_mul_u32_u24_e32 v8, 0x10001, v8
	v_mul_u32_u24_e32 v1, 0x10001, v1
	s_delay_alu instid0(VALU_DEP_3) | instskip(NEXT) | instid1(VALU_DEP_2)
	v_pk_fma_f16 v6, v6, v10, v9
	v_pk_fma_f16 v9, v7, v1, v0
	ds_load_2addr_b32 v[0:1], v90 offset0:64 offset1:96
	v_pk_fma_f16 v6, v7, v8, v6
	v_lshrrev_b32_e32 v7, 16, v2
	v_and_b32_e32 v2, 0xffff, v2
	s_delay_alu instid0(VALU_DEP_2) | instskip(NEXT) | instid1(VALU_DEP_2)
	v_mul_u32_u24_e32 v7, 0x10001, v7
	v_mul_u32_u24_e32 v2, 0x10001, v2
	s_wait_dscnt 0x0
	s_delay_alu instid0(VALU_DEP_1) | instskip(NEXT) | instid1(VALU_DEP_3)
	v_pk_fma_f16 v2, v0, v2, v9
	v_pk_fma_f16 v0, v0, v7, v6
	v_lshrrev_b32_e32 v6, 16, v3
	v_and_b32_e32 v3, 0xffff, v3
	s_delay_alu instid0(VALU_DEP_2) | instskip(NEXT) | instid1(VALU_DEP_2)
	v_mul_u32_u24_e32 v6, 0x10001, v6
	v_mul_u32_u24_e32 v3, 0x10001, v3
	s_delay_alu instid0(VALU_DEP_2) | instskip(NEXT) | instid1(VALU_DEP_2)
	v_pk_fma_f16 v9, v1, v6, v0
	v_pk_fma_f16 v8, v1, v3, v2
	ds_load_2addr_b32 v[6:7], v90 offset0:128 offset1:160
	ds_load_b128 v[0:3], v76 offset:208
	s_wait_dscnt 0x0
	v_lshrrev_b32_e32 v10, 16, v0
	v_and_b32_e32 v0, 0xffff, v0
	s_delay_alu instid0(VALU_DEP_1) | instskip(NEXT) | instid1(VALU_DEP_1)
	v_mul_u32_u24_e32 v0, 0x10001, v0
	v_pk_fma_f16 v0, v6, v0, v8
	v_lshrrev_b32_e32 v8, 16, v1
	v_and_b32_e32 v1, 0xffff, v1
	v_mul_u32_u24_e32 v10, 0x10001, v10
	s_delay_alu instid0(VALU_DEP_3) | instskip(NEXT) | instid1(VALU_DEP_3)
	v_mul_u32_u24_e32 v8, 0x10001, v8
	v_mul_u32_u24_e32 v1, 0x10001, v1
	s_delay_alu instid0(VALU_DEP_3) | instskip(NEXT) | instid1(VALU_DEP_2)
	v_pk_fma_f16 v6, v6, v10, v9
	v_pk_fma_f16 v9, v7, v1, v0
	ds_load_2addr_b32 v[0:1], v90 offset0:192 offset1:224
	v_pk_fma_f16 v6, v7, v8, v6
	v_lshrrev_b32_e32 v7, 16, v2
	v_and_b32_e32 v2, 0xffff, v2
	s_delay_alu instid0(VALU_DEP_2) | instskip(NEXT) | instid1(VALU_DEP_2)
	v_mul_u32_u24_e32 v7, 0x10001, v7
	v_mul_u32_u24_e32 v2, 0x10001, v2
	s_wait_dscnt 0x0
	s_delay_alu instid0(VALU_DEP_1) | instskip(NEXT) | instid1(VALU_DEP_3)
	v_pk_fma_f16 v2, v0, v2, v9
	v_pk_fma_f16 v0, v0, v7, v6
	v_lshrrev_b32_e32 v6, 16, v3
	v_and_b32_e32 v3, 0xffff, v3
	s_delay_alu instid0(VALU_DEP_2) | instskip(NEXT) | instid1(VALU_DEP_2)
	v_mul_u32_u24_e32 v6, 0x10001, v6
	v_mul_u32_u24_e32 v3, 0x10001, v3
	s_delay_alu instid0(VALU_DEP_2) | instskip(NEXT) | instid1(VALU_DEP_2)
	v_pk_fma_f16 v9, v1, v6, v0
	v_pk_fma_f16 v8, v1, v3, v2
	ds_load_2addr_b32 v[6:7], v91 offset1:32
	ds_load_b128 v[0:3], v76 offset:224
	s_wait_dscnt 0x0
	v_lshrrev_b32_e32 v10, 16, v0
	v_and_b32_e32 v0, 0xffff, v0
	s_delay_alu instid0(VALU_DEP_1) | instskip(NEXT) | instid1(VALU_DEP_1)
	v_mul_u32_u24_e32 v0, 0x10001, v0
	v_pk_fma_f16 v0, v6, v0, v8
	v_lshrrev_b32_e32 v8, 16, v1
	v_and_b32_e32 v1, 0xffff, v1
	v_mul_u32_u24_e32 v10, 0x10001, v10
	s_delay_alu instid0(VALU_DEP_3) | instskip(NEXT) | instid1(VALU_DEP_3)
	v_mul_u32_u24_e32 v8, 0x10001, v8
	v_mul_u32_u24_e32 v1, 0x10001, v1
	s_delay_alu instid0(VALU_DEP_3) | instskip(NEXT) | instid1(VALU_DEP_2)
	v_pk_fma_f16 v6, v6, v10, v9
	v_pk_fma_f16 v9, v7, v1, v0
	ds_load_2addr_b32 v[0:1], v91 offset0:64 offset1:96
	v_pk_fma_f16 v6, v7, v8, v6
	v_lshrrev_b32_e32 v7, 16, v2
	v_and_b32_e32 v2, 0xffff, v2
	s_delay_alu instid0(VALU_DEP_2) | instskip(NEXT) | instid1(VALU_DEP_2)
	v_mul_u32_u24_e32 v7, 0x10001, v7
	v_mul_u32_u24_e32 v2, 0x10001, v2
	s_wait_dscnt 0x0
	s_delay_alu instid0(VALU_DEP_1) | instskip(NEXT) | instid1(VALU_DEP_3)
	v_pk_fma_f16 v2, v0, v2, v9
	v_pk_fma_f16 v0, v0, v7, v6
	v_lshrrev_b32_e32 v6, 16, v3
	v_and_b32_e32 v3, 0xffff, v3
	s_delay_alu instid0(VALU_DEP_2) | instskip(NEXT) | instid1(VALU_DEP_2)
	v_mul_u32_u24_e32 v6, 0x10001, v6
	v_mul_u32_u24_e32 v3, 0x10001, v3
	s_delay_alu instid0(VALU_DEP_2) | instskip(NEXT) | instid1(VALU_DEP_2)
	v_pk_fma_f16 v9, v1, v6, v0
	v_pk_fma_f16 v8, v1, v3, v2
	ds_load_2addr_b32 v[6:7], v91 offset0:128 offset1:160
	ds_load_b128 v[0:3], v76 offset:240
	s_wait_dscnt 0x0
	v_lshrrev_b32_e32 v10, 16, v0
	v_and_b32_e32 v0, 0xffff, v0
	s_delay_alu instid0(VALU_DEP_1) | instskip(NEXT) | instid1(VALU_DEP_1)
	v_mul_u32_u24_e32 v0, 0x10001, v0
	v_pk_fma_f16 v0, v6, v0, v8
	v_lshrrev_b32_e32 v8, 16, v1
	v_and_b32_e32 v1, 0xffff, v1
	v_mul_u32_u24_e32 v10, 0x10001, v10
	s_delay_alu instid0(VALU_DEP_3) | instskip(NEXT) | instid1(VALU_DEP_3)
	v_mul_u32_u24_e32 v8, 0x10001, v8
	v_mul_u32_u24_e32 v1, 0x10001, v1
	s_delay_alu instid0(VALU_DEP_3) | instskip(NEXT) | instid1(VALU_DEP_2)
	v_pk_fma_f16 v6, v6, v10, v9
	v_pk_fma_f16 v9, v7, v1, v0
	ds_load_2addr_b32 v[0:1], v91 offset0:192 offset1:224
	v_pk_fma_f16 v6, v7, v8, v6
	v_lshrrev_b32_e32 v7, 16, v2
	v_and_b32_e32 v2, 0xffff, v2
	s_delay_alu instid0(VALU_DEP_2) | instskip(NEXT) | instid1(VALU_DEP_2)
	v_mul_u32_u24_e32 v7, 0x10001, v7
	v_mul_u32_u24_e32 v2, 0x10001, v2
	s_wait_dscnt 0x0
	s_delay_alu instid0(VALU_DEP_1) | instskip(NEXT) | instid1(VALU_DEP_3)
	v_pk_fma_f16 v2, v0, v2, v9
	v_pk_fma_f16 v0, v0, v7, v6
	v_lshrrev_b32_e32 v6, 16, v3
	v_and_b32_e32 v3, 0xffff, v3
	s_delay_alu instid0(VALU_DEP_2) | instskip(NEXT) | instid1(VALU_DEP_2)
	v_mul_u32_u24_e32 v6, 0x10001, v6
	v_mul_u32_u24_e32 v3, 0x10001, v3
	s_delay_alu instid0(VALU_DEP_2) | instskip(NEXT) | instid1(VALU_DEP_2)
	v_pk_fma_f16 v9, v1, v6, v0
	v_pk_fma_f16 v8, v1, v3, v2
	ds_load_2addr_b32 v[6:7], v92 offset1:32
	ds_load_b128 v[0:3], v76 offset:256
	s_wait_dscnt 0x0
	v_lshrrev_b32_e32 v10, 16, v0
	v_and_b32_e32 v0, 0xffff, v0
	s_delay_alu instid0(VALU_DEP_1) | instskip(NEXT) | instid1(VALU_DEP_1)
	v_mul_u32_u24_e32 v0, 0x10001, v0
	v_pk_fma_f16 v0, v6, v0, v8
	v_lshrrev_b32_e32 v8, 16, v1
	v_and_b32_e32 v1, 0xffff, v1
	v_mul_u32_u24_e32 v10, 0x10001, v10
	s_delay_alu instid0(VALU_DEP_3) | instskip(NEXT) | instid1(VALU_DEP_3)
	v_mul_u32_u24_e32 v8, 0x10001, v8
	v_mul_u32_u24_e32 v1, 0x10001, v1
	s_delay_alu instid0(VALU_DEP_3) | instskip(NEXT) | instid1(VALU_DEP_2)
	v_pk_fma_f16 v6, v6, v10, v9
	v_pk_fma_f16 v9, v7, v1, v0
	ds_load_2addr_b32 v[0:1], v92 offset0:64 offset1:96
	v_pk_fma_f16 v6, v7, v8, v6
	v_lshrrev_b32_e32 v7, 16, v2
	v_and_b32_e32 v2, 0xffff, v2
	s_delay_alu instid0(VALU_DEP_2) | instskip(NEXT) | instid1(VALU_DEP_2)
	v_mul_u32_u24_e32 v7, 0x10001, v7
	v_mul_u32_u24_e32 v2, 0x10001, v2
	s_wait_dscnt 0x0
	s_delay_alu instid0(VALU_DEP_1) | instskip(NEXT) | instid1(VALU_DEP_3)
	v_pk_fma_f16 v2, v0, v2, v9
	v_pk_fma_f16 v0, v0, v7, v6
	v_lshrrev_b32_e32 v6, 16, v3
	v_and_b32_e32 v3, 0xffff, v3
	s_delay_alu instid0(VALU_DEP_2) | instskip(NEXT) | instid1(VALU_DEP_2)
	v_mul_u32_u24_e32 v6, 0x10001, v6
	v_mul_u32_u24_e32 v3, 0x10001, v3
	s_delay_alu instid0(VALU_DEP_2) | instskip(NEXT) | instid1(VALU_DEP_2)
	v_pk_fma_f16 v9, v1, v6, v0
	v_pk_fma_f16 v8, v1, v3, v2
	ds_load_2addr_b32 v[6:7], v92 offset0:128 offset1:160
	ds_load_b128 v[0:3], v76 offset:272
	s_wait_dscnt 0x0
	v_lshrrev_b32_e32 v10, 16, v0
	v_and_b32_e32 v0, 0xffff, v0
	s_delay_alu instid0(VALU_DEP_1) | instskip(NEXT) | instid1(VALU_DEP_1)
	v_mul_u32_u24_e32 v0, 0x10001, v0
	v_pk_fma_f16 v0, v6, v0, v8
	v_lshrrev_b32_e32 v8, 16, v1
	v_and_b32_e32 v1, 0xffff, v1
	v_mul_u32_u24_e32 v10, 0x10001, v10
	s_delay_alu instid0(VALU_DEP_3) | instskip(NEXT) | instid1(VALU_DEP_3)
	v_mul_u32_u24_e32 v8, 0x10001, v8
	v_mul_u32_u24_e32 v1, 0x10001, v1
	s_delay_alu instid0(VALU_DEP_3) | instskip(NEXT) | instid1(VALU_DEP_2)
	v_pk_fma_f16 v6, v6, v10, v9
	v_pk_fma_f16 v9, v7, v1, v0
	ds_load_2addr_b32 v[0:1], v92 offset0:192 offset1:224
	v_pk_fma_f16 v6, v7, v8, v6
	v_lshrrev_b32_e32 v7, 16, v2
	v_and_b32_e32 v2, 0xffff, v2
	s_delay_alu instid0(VALU_DEP_2) | instskip(NEXT) | instid1(VALU_DEP_2)
	v_mul_u32_u24_e32 v7, 0x10001, v7
	v_mul_u32_u24_e32 v2, 0x10001, v2
	s_wait_dscnt 0x0
	s_delay_alu instid0(VALU_DEP_1) | instskip(NEXT) | instid1(VALU_DEP_3)
	v_pk_fma_f16 v2, v0, v2, v9
	v_pk_fma_f16 v0, v0, v7, v6
	v_lshrrev_b32_e32 v6, 16, v3
	v_and_b32_e32 v3, 0xffff, v3
	s_delay_alu instid0(VALU_DEP_2) | instskip(NEXT) | instid1(VALU_DEP_2)
	v_mul_u32_u24_e32 v6, 0x10001, v6
	v_mul_u32_u24_e32 v3, 0x10001, v3
	s_delay_alu instid0(VALU_DEP_2) | instskip(NEXT) | instid1(VALU_DEP_2)
	v_pk_fma_f16 v9, v1, v6, v0
	v_pk_fma_f16 v8, v1, v3, v2
	ds_load_2addr_b32 v[6:7], v93 offset1:32
	ds_load_b128 v[0:3], v76 offset:288
	s_wait_dscnt 0x0
	v_lshrrev_b32_e32 v10, 16, v0
	v_and_b32_e32 v0, 0xffff, v0
	s_delay_alu instid0(VALU_DEP_1) | instskip(NEXT) | instid1(VALU_DEP_1)
	v_mul_u32_u24_e32 v0, 0x10001, v0
	v_pk_fma_f16 v0, v6, v0, v8
	v_lshrrev_b32_e32 v8, 16, v1
	v_and_b32_e32 v1, 0xffff, v1
	v_mul_u32_u24_e32 v10, 0x10001, v10
	s_delay_alu instid0(VALU_DEP_3) | instskip(NEXT) | instid1(VALU_DEP_3)
	v_mul_u32_u24_e32 v8, 0x10001, v8
	v_mul_u32_u24_e32 v1, 0x10001, v1
	s_delay_alu instid0(VALU_DEP_3) | instskip(NEXT) | instid1(VALU_DEP_2)
	v_pk_fma_f16 v6, v6, v10, v9
	v_pk_fma_f16 v9, v7, v1, v0
	ds_load_2addr_b32 v[0:1], v93 offset0:64 offset1:96
	v_pk_fma_f16 v6, v7, v8, v6
	v_lshrrev_b32_e32 v7, 16, v2
	v_and_b32_e32 v2, 0xffff, v2
	s_delay_alu instid0(VALU_DEP_2) | instskip(NEXT) | instid1(VALU_DEP_2)
	v_mul_u32_u24_e32 v7, 0x10001, v7
	v_mul_u32_u24_e32 v2, 0x10001, v2
	s_wait_dscnt 0x0
	s_delay_alu instid0(VALU_DEP_1) | instskip(NEXT) | instid1(VALU_DEP_3)
	v_pk_fma_f16 v2, v0, v2, v9
	v_pk_fma_f16 v0, v0, v7, v6
	v_lshrrev_b32_e32 v6, 16, v3
	v_and_b32_e32 v3, 0xffff, v3
	s_delay_alu instid0(VALU_DEP_2) | instskip(NEXT) | instid1(VALU_DEP_2)
	v_mul_u32_u24_e32 v6, 0x10001, v6
	v_mul_u32_u24_e32 v3, 0x10001, v3
	s_delay_alu instid0(VALU_DEP_2) | instskip(NEXT) | instid1(VALU_DEP_2)
	v_pk_fma_f16 v9, v1, v6, v0
	v_pk_fma_f16 v8, v1, v3, v2
	ds_load_2addr_b32 v[6:7], v93 offset0:128 offset1:160
	ds_load_b128 v[0:3], v76 offset:304
	s_wait_dscnt 0x0
	v_lshrrev_b32_e32 v10, 16, v0
	v_and_b32_e32 v0, 0xffff, v0
	s_delay_alu instid0(VALU_DEP_1) | instskip(NEXT) | instid1(VALU_DEP_1)
	v_mul_u32_u24_e32 v0, 0x10001, v0
	v_pk_fma_f16 v0, v6, v0, v8
	v_lshrrev_b32_e32 v8, 16, v1
	v_and_b32_e32 v1, 0xffff, v1
	v_mul_u32_u24_e32 v10, 0x10001, v10
	s_delay_alu instid0(VALU_DEP_3) | instskip(NEXT) | instid1(VALU_DEP_3)
	v_mul_u32_u24_e32 v8, 0x10001, v8
	v_mul_u32_u24_e32 v1, 0x10001, v1
	s_delay_alu instid0(VALU_DEP_3) | instskip(NEXT) | instid1(VALU_DEP_2)
	v_pk_fma_f16 v6, v6, v10, v9
	v_pk_fma_f16 v9, v7, v1, v0
	ds_load_2addr_b32 v[0:1], v93 offset0:192 offset1:224
	v_pk_fma_f16 v6, v7, v8, v6
	v_lshrrev_b32_e32 v7, 16, v2
	v_and_b32_e32 v2, 0xffff, v2
	s_delay_alu instid0(VALU_DEP_2) | instskip(NEXT) | instid1(VALU_DEP_2)
	v_mul_u32_u24_e32 v7, 0x10001, v7
	v_mul_u32_u24_e32 v2, 0x10001, v2
	s_wait_dscnt 0x0
	s_delay_alu instid0(VALU_DEP_1) | instskip(NEXT) | instid1(VALU_DEP_3)
	v_pk_fma_f16 v2, v0, v2, v9
	v_pk_fma_f16 v0, v0, v7, v6
	v_lshrrev_b32_e32 v6, 16, v3
	v_and_b32_e32 v3, 0xffff, v3
	s_delay_alu instid0(VALU_DEP_2) | instskip(NEXT) | instid1(VALU_DEP_2)
	v_mul_u32_u24_e32 v6, 0x10001, v6
	v_mul_u32_u24_e32 v3, 0x10001, v3
	s_delay_alu instid0(VALU_DEP_2) | instskip(NEXT) | instid1(VALU_DEP_2)
	v_pk_fma_f16 v9, v1, v6, v0
	v_pk_fma_f16 v8, v1, v3, v2
	ds_load_2addr_b32 v[6:7], v94 offset1:32
	ds_load_b128 v[0:3], v76 offset:320
	s_wait_dscnt 0x0
	v_lshrrev_b32_e32 v10, 16, v0
	v_and_b32_e32 v0, 0xffff, v0
	s_delay_alu instid0(VALU_DEP_1) | instskip(NEXT) | instid1(VALU_DEP_1)
	v_mul_u32_u24_e32 v0, 0x10001, v0
	v_pk_fma_f16 v0, v6, v0, v8
	v_lshrrev_b32_e32 v8, 16, v1
	v_and_b32_e32 v1, 0xffff, v1
	v_mul_u32_u24_e32 v10, 0x10001, v10
	s_delay_alu instid0(VALU_DEP_3) | instskip(NEXT) | instid1(VALU_DEP_3)
	v_mul_u32_u24_e32 v8, 0x10001, v8
	v_mul_u32_u24_e32 v1, 0x10001, v1
	s_delay_alu instid0(VALU_DEP_3) | instskip(NEXT) | instid1(VALU_DEP_2)
	v_pk_fma_f16 v6, v6, v10, v9
	v_pk_fma_f16 v9, v7, v1, v0
	ds_load_2addr_b32 v[0:1], v94 offset0:64 offset1:96
	v_pk_fma_f16 v6, v7, v8, v6
	v_lshrrev_b32_e32 v7, 16, v2
	v_and_b32_e32 v2, 0xffff, v2
	s_delay_alu instid0(VALU_DEP_2) | instskip(NEXT) | instid1(VALU_DEP_2)
	v_mul_u32_u24_e32 v7, 0x10001, v7
	v_mul_u32_u24_e32 v2, 0x10001, v2
	s_wait_dscnt 0x0
	s_delay_alu instid0(VALU_DEP_1) | instskip(NEXT) | instid1(VALU_DEP_3)
	v_pk_fma_f16 v2, v0, v2, v9
	v_pk_fma_f16 v0, v0, v7, v6
	v_lshrrev_b32_e32 v6, 16, v3
	v_and_b32_e32 v3, 0xffff, v3
	s_delay_alu instid0(VALU_DEP_2) | instskip(NEXT) | instid1(VALU_DEP_2)
	v_mul_u32_u24_e32 v6, 0x10001, v6
	v_mul_u32_u24_e32 v3, 0x10001, v3
	s_delay_alu instid0(VALU_DEP_2) | instskip(NEXT) | instid1(VALU_DEP_2)
	v_pk_fma_f16 v9, v1, v6, v0
	v_pk_fma_f16 v8, v1, v3, v2
	ds_load_2addr_b32 v[6:7], v94 offset0:128 offset1:160
	ds_load_b128 v[0:3], v76 offset:336
	s_wait_dscnt 0x0
	v_lshrrev_b32_e32 v10, 16, v0
	v_and_b32_e32 v0, 0xffff, v0
	s_delay_alu instid0(VALU_DEP_1) | instskip(NEXT) | instid1(VALU_DEP_1)
	v_mul_u32_u24_e32 v0, 0x10001, v0
	v_pk_fma_f16 v0, v6, v0, v8
	v_lshrrev_b32_e32 v8, 16, v1
	v_and_b32_e32 v1, 0xffff, v1
	v_mul_u32_u24_e32 v10, 0x10001, v10
	s_delay_alu instid0(VALU_DEP_3) | instskip(NEXT) | instid1(VALU_DEP_3)
	v_mul_u32_u24_e32 v8, 0x10001, v8
	v_mul_u32_u24_e32 v1, 0x10001, v1
	s_delay_alu instid0(VALU_DEP_3) | instskip(NEXT) | instid1(VALU_DEP_2)
	v_pk_fma_f16 v6, v6, v10, v9
	v_pk_fma_f16 v9, v7, v1, v0
	ds_load_2addr_b32 v[0:1], v94 offset0:192 offset1:224
	v_pk_fma_f16 v6, v7, v8, v6
	v_lshrrev_b32_e32 v7, 16, v2
	v_and_b32_e32 v2, 0xffff, v2
	s_delay_alu instid0(VALU_DEP_2) | instskip(NEXT) | instid1(VALU_DEP_2)
	v_mul_u32_u24_e32 v7, 0x10001, v7
	v_mul_u32_u24_e32 v2, 0x10001, v2
	s_wait_dscnt 0x0
	s_delay_alu instid0(VALU_DEP_1) | instskip(NEXT) | instid1(VALU_DEP_3)
	v_pk_fma_f16 v2, v0, v2, v9
	v_pk_fma_f16 v0, v0, v7, v6
	v_lshrrev_b32_e32 v6, 16, v3
	v_and_b32_e32 v3, 0xffff, v3
	s_delay_alu instid0(VALU_DEP_2) | instskip(NEXT) | instid1(VALU_DEP_2)
	v_mul_u32_u24_e32 v6, 0x10001, v6
	v_mul_u32_u24_e32 v3, 0x10001, v3
	s_delay_alu instid0(VALU_DEP_2) | instskip(NEXT) | instid1(VALU_DEP_2)
	v_pk_fma_f16 v9, v1, v6, v0
	v_pk_fma_f16 v8, v1, v3, v2
	ds_load_2addr_b32 v[6:7], v95 offset1:32
	ds_load_b128 v[0:3], v76 offset:352
	s_wait_dscnt 0x0
	v_lshrrev_b32_e32 v10, 16, v0
	v_and_b32_e32 v0, 0xffff, v0
	s_delay_alu instid0(VALU_DEP_1) | instskip(NEXT) | instid1(VALU_DEP_1)
	v_mul_u32_u24_e32 v0, 0x10001, v0
	v_pk_fma_f16 v0, v6, v0, v8
	v_lshrrev_b32_e32 v8, 16, v1
	v_and_b32_e32 v1, 0xffff, v1
	v_mul_u32_u24_e32 v10, 0x10001, v10
	s_delay_alu instid0(VALU_DEP_3) | instskip(NEXT) | instid1(VALU_DEP_3)
	v_mul_u32_u24_e32 v8, 0x10001, v8
	v_mul_u32_u24_e32 v1, 0x10001, v1
	s_delay_alu instid0(VALU_DEP_3) | instskip(NEXT) | instid1(VALU_DEP_2)
	v_pk_fma_f16 v6, v6, v10, v9
	v_pk_fma_f16 v9, v7, v1, v0
	ds_load_2addr_b32 v[0:1], v95 offset0:64 offset1:96
	v_pk_fma_f16 v6, v7, v8, v6
	v_lshrrev_b32_e32 v7, 16, v2
	v_and_b32_e32 v2, 0xffff, v2
	s_delay_alu instid0(VALU_DEP_2) | instskip(NEXT) | instid1(VALU_DEP_2)
	v_mul_u32_u24_e32 v7, 0x10001, v7
	v_mul_u32_u24_e32 v2, 0x10001, v2
	s_wait_dscnt 0x0
	s_delay_alu instid0(VALU_DEP_1) | instskip(NEXT) | instid1(VALU_DEP_3)
	v_pk_fma_f16 v2, v0, v2, v9
	v_pk_fma_f16 v0, v0, v7, v6
	v_lshrrev_b32_e32 v6, 16, v3
	v_and_b32_e32 v3, 0xffff, v3
	s_delay_alu instid0(VALU_DEP_2) | instskip(NEXT) | instid1(VALU_DEP_2)
	v_mul_u32_u24_e32 v6, 0x10001, v6
	v_mul_u32_u24_e32 v3, 0x10001, v3
	s_delay_alu instid0(VALU_DEP_2) | instskip(NEXT) | instid1(VALU_DEP_2)
	v_pk_fma_f16 v9, v1, v6, v0
	v_pk_fma_f16 v8, v1, v3, v2
	ds_load_2addr_b32 v[6:7], v95 offset0:128 offset1:160
	ds_load_b128 v[0:3], v76 offset:368
	s_wait_dscnt 0x0
	v_lshrrev_b32_e32 v10, 16, v0
	v_and_b32_e32 v0, 0xffff, v0
	s_delay_alu instid0(VALU_DEP_1) | instskip(NEXT) | instid1(VALU_DEP_1)
	v_mul_u32_u24_e32 v0, 0x10001, v0
	v_pk_fma_f16 v0, v6, v0, v8
	v_lshrrev_b32_e32 v8, 16, v1
	v_and_b32_e32 v1, 0xffff, v1
	v_mul_u32_u24_e32 v10, 0x10001, v10
	s_delay_alu instid0(VALU_DEP_3) | instskip(NEXT) | instid1(VALU_DEP_3)
	v_mul_u32_u24_e32 v8, 0x10001, v8
	v_mul_u32_u24_e32 v1, 0x10001, v1
	s_delay_alu instid0(VALU_DEP_3) | instskip(NEXT) | instid1(VALU_DEP_2)
	v_pk_fma_f16 v6, v6, v10, v9
	v_pk_fma_f16 v9, v7, v1, v0
	ds_load_2addr_b32 v[0:1], v95 offset0:192 offset1:224
	v_pk_fma_f16 v6, v7, v8, v6
	v_lshrrev_b32_e32 v7, 16, v2
	v_and_b32_e32 v2, 0xffff, v2
	s_delay_alu instid0(VALU_DEP_2) | instskip(NEXT) | instid1(VALU_DEP_2)
	v_mul_u32_u24_e32 v7, 0x10001, v7
	v_mul_u32_u24_e32 v2, 0x10001, v2
	s_wait_dscnt 0x0
	s_delay_alu instid0(VALU_DEP_1) | instskip(NEXT) | instid1(VALU_DEP_3)
	v_pk_fma_f16 v2, v0, v2, v9
	v_pk_fma_f16 v0, v0, v7, v6
	v_lshrrev_b32_e32 v6, 16, v3
	v_and_b32_e32 v3, 0xffff, v3
	s_delay_alu instid0(VALU_DEP_2) | instskip(NEXT) | instid1(VALU_DEP_2)
	v_mul_u32_u24_e32 v6, 0x10001, v6
	v_mul_u32_u24_e32 v3, 0x10001, v3
	s_delay_alu instid0(VALU_DEP_2) | instskip(NEXT) | instid1(VALU_DEP_2)
	v_pk_fma_f16 v9, v1, v6, v0
	v_pk_fma_f16 v8, v1, v3, v2
	ds_load_2addr_b32 v[6:7], v96 offset1:32
	ds_load_b128 v[0:3], v76 offset:384
	s_wait_dscnt 0x0
	v_lshrrev_b32_e32 v10, 16, v0
	v_and_b32_e32 v0, 0xffff, v0
	s_delay_alu instid0(VALU_DEP_1) | instskip(NEXT) | instid1(VALU_DEP_1)
	v_mul_u32_u24_e32 v0, 0x10001, v0
	v_pk_fma_f16 v0, v6, v0, v8
	v_lshrrev_b32_e32 v8, 16, v1
	v_and_b32_e32 v1, 0xffff, v1
	v_mul_u32_u24_e32 v10, 0x10001, v10
	s_delay_alu instid0(VALU_DEP_3) | instskip(NEXT) | instid1(VALU_DEP_3)
	v_mul_u32_u24_e32 v8, 0x10001, v8
	v_mul_u32_u24_e32 v1, 0x10001, v1
	s_delay_alu instid0(VALU_DEP_3) | instskip(NEXT) | instid1(VALU_DEP_2)
	v_pk_fma_f16 v6, v6, v10, v9
	v_pk_fma_f16 v9, v7, v1, v0
	ds_load_2addr_b32 v[0:1], v96 offset0:64 offset1:96
	v_pk_fma_f16 v6, v7, v8, v6
	v_lshrrev_b32_e32 v7, 16, v2
	v_and_b32_e32 v2, 0xffff, v2
	s_delay_alu instid0(VALU_DEP_2) | instskip(NEXT) | instid1(VALU_DEP_2)
	v_mul_u32_u24_e32 v7, 0x10001, v7
	v_mul_u32_u24_e32 v2, 0x10001, v2
	s_wait_dscnt 0x0
	s_delay_alu instid0(VALU_DEP_1) | instskip(NEXT) | instid1(VALU_DEP_3)
	v_pk_fma_f16 v2, v0, v2, v9
	v_pk_fma_f16 v0, v0, v7, v6
	v_lshrrev_b32_e32 v6, 16, v3
	v_and_b32_e32 v3, 0xffff, v3
	s_delay_alu instid0(VALU_DEP_2) | instskip(NEXT) | instid1(VALU_DEP_2)
	v_mul_u32_u24_e32 v6, 0x10001, v6
	v_mul_u32_u24_e32 v3, 0x10001, v3
	s_delay_alu instid0(VALU_DEP_2) | instskip(NEXT) | instid1(VALU_DEP_2)
	v_pk_fma_f16 v9, v1, v6, v0
	v_pk_fma_f16 v8, v1, v3, v2
	ds_load_2addr_b32 v[6:7], v96 offset0:128 offset1:160
	ds_load_b128 v[0:3], v76 offset:400
	s_wait_dscnt 0x0
	v_lshrrev_b32_e32 v10, 16, v0
	v_and_b32_e32 v0, 0xffff, v0
	s_delay_alu instid0(VALU_DEP_1) | instskip(NEXT) | instid1(VALU_DEP_1)
	v_mul_u32_u24_e32 v0, 0x10001, v0
	v_pk_fma_f16 v0, v6, v0, v8
	v_lshrrev_b32_e32 v8, 16, v1
	v_and_b32_e32 v1, 0xffff, v1
	v_mul_u32_u24_e32 v10, 0x10001, v10
	s_delay_alu instid0(VALU_DEP_3) | instskip(NEXT) | instid1(VALU_DEP_3)
	v_mul_u32_u24_e32 v8, 0x10001, v8
	v_mul_u32_u24_e32 v1, 0x10001, v1
	s_delay_alu instid0(VALU_DEP_3) | instskip(NEXT) | instid1(VALU_DEP_2)
	v_pk_fma_f16 v6, v6, v10, v9
	v_pk_fma_f16 v9, v7, v1, v0
	ds_load_2addr_b32 v[0:1], v96 offset0:192 offset1:224
	v_pk_fma_f16 v6, v7, v8, v6
	v_lshrrev_b32_e32 v7, 16, v2
	v_and_b32_e32 v2, 0xffff, v2
	s_delay_alu instid0(VALU_DEP_2) | instskip(NEXT) | instid1(VALU_DEP_2)
	v_mul_u32_u24_e32 v7, 0x10001, v7
	v_mul_u32_u24_e32 v2, 0x10001, v2
	s_wait_dscnt 0x0
	s_delay_alu instid0(VALU_DEP_1) | instskip(NEXT) | instid1(VALU_DEP_3)
	v_pk_fma_f16 v2, v0, v2, v9
	v_pk_fma_f16 v0, v0, v7, v6
	v_lshrrev_b32_e32 v6, 16, v3
	v_and_b32_e32 v3, 0xffff, v3
	s_delay_alu instid0(VALU_DEP_2) | instskip(NEXT) | instid1(VALU_DEP_2)
	v_mul_u32_u24_e32 v6, 0x10001, v6
	v_mul_u32_u24_e32 v3, 0x10001, v3
	s_delay_alu instid0(VALU_DEP_2) | instskip(NEXT) | instid1(VALU_DEP_2)
	v_pk_fma_f16 v9, v1, v6, v0
	v_pk_fma_f16 v8, v1, v3, v2
	ds_load_2addr_b32 v[6:7], v97 offset1:32
	ds_load_b128 v[0:3], v76 offset:416
	s_wait_dscnt 0x0
	v_lshrrev_b32_e32 v10, 16, v0
	v_and_b32_e32 v0, 0xffff, v0
	s_delay_alu instid0(VALU_DEP_1) | instskip(NEXT) | instid1(VALU_DEP_1)
	v_mul_u32_u24_e32 v0, 0x10001, v0
	v_pk_fma_f16 v0, v6, v0, v8
	v_lshrrev_b32_e32 v8, 16, v1
	v_and_b32_e32 v1, 0xffff, v1
	v_mul_u32_u24_e32 v10, 0x10001, v10
	s_delay_alu instid0(VALU_DEP_3) | instskip(NEXT) | instid1(VALU_DEP_3)
	v_mul_u32_u24_e32 v8, 0x10001, v8
	v_mul_u32_u24_e32 v1, 0x10001, v1
	s_delay_alu instid0(VALU_DEP_3) | instskip(NEXT) | instid1(VALU_DEP_2)
	v_pk_fma_f16 v6, v6, v10, v9
	v_pk_fma_f16 v9, v7, v1, v0
	ds_load_2addr_b32 v[0:1], v97 offset0:64 offset1:96
	v_pk_fma_f16 v6, v7, v8, v6
	v_lshrrev_b32_e32 v7, 16, v2
	v_and_b32_e32 v2, 0xffff, v2
	s_delay_alu instid0(VALU_DEP_2) | instskip(NEXT) | instid1(VALU_DEP_2)
	v_mul_u32_u24_e32 v7, 0x10001, v7
	v_mul_u32_u24_e32 v2, 0x10001, v2
	s_wait_dscnt 0x0
	s_delay_alu instid0(VALU_DEP_1) | instskip(NEXT) | instid1(VALU_DEP_3)
	v_pk_fma_f16 v2, v0, v2, v9
	v_pk_fma_f16 v0, v0, v7, v6
	v_lshrrev_b32_e32 v6, 16, v3
	v_and_b32_e32 v3, 0xffff, v3
	s_delay_alu instid0(VALU_DEP_2) | instskip(NEXT) | instid1(VALU_DEP_2)
	v_mul_u32_u24_e32 v6, 0x10001, v6
	v_mul_u32_u24_e32 v3, 0x10001, v3
	s_delay_alu instid0(VALU_DEP_2) | instskip(NEXT) | instid1(VALU_DEP_2)
	v_pk_fma_f16 v9, v1, v6, v0
	v_pk_fma_f16 v8, v1, v3, v2
	ds_load_2addr_b32 v[6:7], v97 offset0:128 offset1:160
	ds_load_b128 v[0:3], v76 offset:432
	s_wait_dscnt 0x0
	v_lshrrev_b32_e32 v10, 16, v0
	v_and_b32_e32 v0, 0xffff, v0
	s_delay_alu instid0(VALU_DEP_1) | instskip(NEXT) | instid1(VALU_DEP_1)
	v_mul_u32_u24_e32 v0, 0x10001, v0
	v_pk_fma_f16 v0, v6, v0, v8
	v_lshrrev_b32_e32 v8, 16, v1
	v_and_b32_e32 v1, 0xffff, v1
	v_mul_u32_u24_e32 v10, 0x10001, v10
	s_delay_alu instid0(VALU_DEP_3) | instskip(NEXT) | instid1(VALU_DEP_3)
	v_mul_u32_u24_e32 v8, 0x10001, v8
	v_mul_u32_u24_e32 v1, 0x10001, v1
	s_delay_alu instid0(VALU_DEP_3) | instskip(NEXT) | instid1(VALU_DEP_2)
	v_pk_fma_f16 v6, v6, v10, v9
	v_pk_fma_f16 v9, v7, v1, v0
	ds_load_2addr_b32 v[0:1], v97 offset0:192 offset1:224
	v_pk_fma_f16 v6, v7, v8, v6
	v_lshrrev_b32_e32 v7, 16, v2
	v_and_b32_e32 v2, 0xffff, v2
	s_delay_alu instid0(VALU_DEP_2) | instskip(NEXT) | instid1(VALU_DEP_2)
	v_mul_u32_u24_e32 v7, 0x10001, v7
	v_mul_u32_u24_e32 v2, 0x10001, v2
	s_wait_dscnt 0x0
	s_delay_alu instid0(VALU_DEP_1) | instskip(NEXT) | instid1(VALU_DEP_3)
	v_pk_fma_f16 v2, v0, v2, v9
	v_pk_fma_f16 v0, v0, v7, v6
	v_lshrrev_b32_e32 v6, 16, v3
	v_and_b32_e32 v3, 0xffff, v3
	s_delay_alu instid0(VALU_DEP_2) | instskip(NEXT) | instid1(VALU_DEP_2)
	v_mul_u32_u24_e32 v6, 0x10001, v6
	v_mul_u32_u24_e32 v3, 0x10001, v3
	s_delay_alu instid0(VALU_DEP_2) | instskip(NEXT) | instid1(VALU_DEP_2)
	v_pk_fma_f16 v9, v1, v6, v0
	v_pk_fma_f16 v8, v1, v3, v2
	ds_load_2addr_b32 v[6:7], v98 offset1:32
	ds_load_b128 v[0:3], v76 offset:448
	s_wait_dscnt 0x0
	v_lshrrev_b32_e32 v10, 16, v0
	v_and_b32_e32 v0, 0xffff, v0
	s_delay_alu instid0(VALU_DEP_1) | instskip(NEXT) | instid1(VALU_DEP_1)
	v_mul_u32_u24_e32 v0, 0x10001, v0
	v_pk_fma_f16 v0, v6, v0, v8
	v_lshrrev_b32_e32 v8, 16, v1
	v_and_b32_e32 v1, 0xffff, v1
	v_mul_u32_u24_e32 v10, 0x10001, v10
	s_delay_alu instid0(VALU_DEP_3) | instskip(NEXT) | instid1(VALU_DEP_3)
	v_mul_u32_u24_e32 v8, 0x10001, v8
	v_mul_u32_u24_e32 v1, 0x10001, v1
	s_delay_alu instid0(VALU_DEP_3) | instskip(NEXT) | instid1(VALU_DEP_2)
	v_pk_fma_f16 v6, v6, v10, v9
	v_pk_fma_f16 v9, v7, v1, v0
	ds_load_2addr_b32 v[0:1], v98 offset0:64 offset1:96
	v_pk_fma_f16 v6, v7, v8, v6
	v_lshrrev_b32_e32 v7, 16, v2
	v_and_b32_e32 v2, 0xffff, v2
	s_delay_alu instid0(VALU_DEP_2) | instskip(NEXT) | instid1(VALU_DEP_2)
	v_mul_u32_u24_e32 v7, 0x10001, v7
	v_mul_u32_u24_e32 v2, 0x10001, v2
	s_wait_dscnt 0x0
	s_delay_alu instid0(VALU_DEP_1) | instskip(NEXT) | instid1(VALU_DEP_3)
	v_pk_fma_f16 v2, v0, v2, v9
	v_pk_fma_f16 v0, v0, v7, v6
	v_lshrrev_b32_e32 v6, 16, v3
	v_and_b32_e32 v3, 0xffff, v3
	s_delay_alu instid0(VALU_DEP_2) | instskip(NEXT) | instid1(VALU_DEP_2)
	v_mul_u32_u24_e32 v6, 0x10001, v6
	v_mul_u32_u24_e32 v3, 0x10001, v3
	s_delay_alu instid0(VALU_DEP_2) | instskip(NEXT) | instid1(VALU_DEP_2)
	v_pk_fma_f16 v9, v1, v6, v0
	v_pk_fma_f16 v8, v1, v3, v2
	ds_load_2addr_b32 v[6:7], v98 offset0:128 offset1:160
	ds_load_b128 v[0:3], v76 offset:464
	s_wait_dscnt 0x0
	v_lshrrev_b32_e32 v10, 16, v0
	v_and_b32_e32 v0, 0xffff, v0
	s_delay_alu instid0(VALU_DEP_1) | instskip(NEXT) | instid1(VALU_DEP_1)
	v_mul_u32_u24_e32 v0, 0x10001, v0
	v_pk_fma_f16 v0, v6, v0, v8
	v_lshrrev_b32_e32 v8, 16, v1
	v_and_b32_e32 v1, 0xffff, v1
	v_mul_u32_u24_e32 v10, 0x10001, v10
	s_delay_alu instid0(VALU_DEP_3) | instskip(NEXT) | instid1(VALU_DEP_3)
	v_mul_u32_u24_e32 v8, 0x10001, v8
	v_mul_u32_u24_e32 v1, 0x10001, v1
	s_delay_alu instid0(VALU_DEP_3) | instskip(NEXT) | instid1(VALU_DEP_2)
	v_pk_fma_f16 v6, v6, v10, v9
	v_pk_fma_f16 v9, v7, v1, v0
	ds_load_2addr_b32 v[0:1], v98 offset0:192 offset1:224
	v_pk_fma_f16 v6, v7, v8, v6
	v_lshrrev_b32_e32 v7, 16, v2
	v_and_b32_e32 v2, 0xffff, v2
	s_delay_alu instid0(VALU_DEP_2) | instskip(NEXT) | instid1(VALU_DEP_2)
	v_mul_u32_u24_e32 v7, 0x10001, v7
	v_mul_u32_u24_e32 v2, 0x10001, v2
	s_wait_dscnt 0x0
	s_delay_alu instid0(VALU_DEP_1) | instskip(NEXT) | instid1(VALU_DEP_3)
	v_pk_fma_f16 v2, v0, v2, v9
	v_pk_fma_f16 v0, v0, v7, v6
	v_lshrrev_b32_e32 v6, 16, v3
	v_and_b32_e32 v3, 0xffff, v3
	s_delay_alu instid0(VALU_DEP_2) | instskip(NEXT) | instid1(VALU_DEP_2)
	v_mul_u32_u24_e32 v6, 0x10001, v6
	v_mul_u32_u24_e32 v3, 0x10001, v3
	s_delay_alu instid0(VALU_DEP_1) | instskip(NEXT) | instid1(VALU_DEP_3)
	v_pk_fma_f16 v2, v1, v3, v2
	v_pk_fma_f16 v3, v1, v6, v0
	ds_load_2addr_b32 v[0:1], v99 offset1:32
	ds_load_b128 v[6:9], v76 offset:480
	s_wait_dscnt 0x0
	v_lshrrev_b32_e32 v10, 16, v6
	v_and_b32_e32 v6, 0xffff, v6
	s_delay_alu instid0(VALU_DEP_2) | instskip(NEXT) | instid1(VALU_DEP_2)
	v_mul_u32_u24_e32 v10, 0x10001, v10
	v_mul_u32_u24_e32 v6, 0x10001, v6
	s_delay_alu instid0(VALU_DEP_1) | instskip(NEXT) | instid1(VALU_DEP_3)
	v_pk_fma_f16 v2, v0, v6, v2
	v_pk_fma_f16 v0, v0, v10, v3
	v_lshrrev_b32_e32 v3, 16, v7
	v_and_b32_e32 v6, 0xffff, v7
	v_and_b32_e32 v7, 0xffff, v8
	s_delay_alu instid0(VALU_DEP_3) | instskip(NEXT) | instid1(VALU_DEP_3)
	v_mul_u32_u24_e32 v3, 0x10001, v3
	v_mul_u32_u24_e32 v6, 0x10001, v6
	s_delay_alu instid0(VALU_DEP_3) | instskip(NEXT) | instid1(VALU_DEP_3)
	v_mul_u32_u24_e32 v7, 0x10001, v7
	v_pk_fma_f16 v3, v1, v3, v0
	s_delay_alu instid0(VALU_DEP_3) | instskip(SKIP_2) | instid1(VALU_DEP_1)
	v_pk_fma_f16 v2, v1, v6, v2
	ds_load_2addr_b32 v[0:1], v99 offset0:64 offset1:96
	v_lshrrev_b32_e32 v6, 16, v8
	v_mul_u32_u24_e32 v6, 0x10001, v6
	s_wait_dscnt 0x0
	v_pk_fma_f16 v2, v0, v7, v2
	s_delay_alu instid0(VALU_DEP_2) | instskip(SKIP_2) | instid1(VALU_DEP_2)
	v_pk_fma_f16 v0, v0, v6, v3
	v_lshrrev_b32_e32 v3, 16, v9
	v_and_b32_e32 v6, 0xffff, v9
	v_mul_u32_u24_e32 v3, 0x10001, v3
	s_delay_alu instid0(VALU_DEP_2) | instskip(NEXT) | instid1(VALU_DEP_2)
	v_mul_u32_u24_e32 v6, 0x10001, v6
	v_pk_fma_f16 v9, v1, v3, v0
	s_delay_alu instid0(VALU_DEP_2)
	v_pk_fma_f16 v8, v1, v6, v2
	ds_load_2addr_b32 v[6:7], v99 offset0:128 offset1:160
	ds_load_b128 v[0:3], v76 offset:496
	s_wait_dscnt 0x0
	v_lshrrev_b32_e32 v10, 16, v0
	v_and_b32_e32 v0, 0xffff, v0
	s_delay_alu instid0(VALU_DEP_1) | instskip(NEXT) | instid1(VALU_DEP_1)
	v_mul_u32_u24_e32 v0, 0x10001, v0
	v_pk_fma_f16 v0, v6, v0, v8
	v_lshrrev_b32_e32 v8, 16, v1
	v_mul_u32_u24_e32 v10, 0x10001, v10
	v_and_b32_e32 v1, 0xffff, v1
	s_delay_alu instid0(VALU_DEP_3) | instskip(NEXT) | instid1(VALU_DEP_3)
	v_mul_u32_u24_e32 v8, 0x10001, v8
	v_pk_fma_f16 v6, v6, v10, v9
	s_delay_alu instid0(VALU_DEP_3) | instskip(NEXT) | instid1(VALU_DEP_1)
	v_mul_u32_u24_e32 v1, 0x10001, v1
	v_pk_fma_f16 v0, v7, v1, v0
	s_delay_alu instid0(VALU_DEP_3)
	v_pk_fma_f16 v1, v7, v8, v6
	ds_load_2addr_b32 v[6:7], v99 offset0:192 offset1:224
	s_wait_dscnt 0x0
	s_barrier_signal -1
	s_barrier_wait -1
	s_load_b32 s3, s[20:21], 0x4
	v_lshrrev_b32_e32 v8, 16, v2
	v_and_b32_e32 v2, 0xffff, v2
	s_delay_alu instid0(VALU_DEP_1) | instskip(NEXT) | instid1(VALU_DEP_1)
	v_mul_u32_u24_e32 v2, 0x10001, v2
	v_pk_fma_f16 v0, v6, v2, v0
	v_lshrrev_b32_e32 v2, 16, v3
	v_mul_u32_u24_e32 v8, 0x10001, v8
	v_and_b32_e32 v3, 0xffff, v3
	s_wait_kmcnt 0x0
	s_lshl_b32 s3, s3, 7
	v_mul_u32_u24_e32 v2, 0x10001, v2
	v_pk_fma_f16 v1, v6, v8, v1
	v_mul_u32_u24_e32 v3, 0x10001, v3
	s_add_co_i32 s4, s3, s4
	s_delay_alu instid0(SALU_CYCLE_1) | instskip(NEXT) | instid1(VALU_DEP_2)
	s_cmp_ge_i32 s4, s28
	v_pk_fma_f16 v100, v7, v2, v1
	s_delay_alu instid0(VALU_DEP_2)
	v_pk_fma_f16 v101, v7, v3, v0
	s_cbranch_scc0 .LBB27_9
; %bb.10:
	v_dual_mov_b32 v3, v63 :: v_dual_lshlrev_b32 v7, 1, v25
.LBB27_11:
	v_cmp_lt_i32_e32 vcc_lo, v71, v65
	s_cmp_lg_u64 s[12:13], 0
	s_cselect_b32 s3, -1, 0
	s_cmp_eq_u32 s29, 0
	v_cndmask_b32_e32 v0, v3, v71, vcc_lo
	v_cmp_lt_i32_e32 vcc_lo, v70, v65
	s_cselect_b32 s4, -1, 0
	s_delay_alu instid0(SALU_CYCLE_1) | instskip(NEXT) | instid1(VALU_DEP_2)
	s_and_b32 s3, s4, s3
	v_dual_cndmask_b32 v2, v3, v70 :: v_dual_lshlrev_b32 v1, 2, v0
	v_cmp_lt_i32_e32 vcc_lo, v69, v65
	s_delay_alu instid0(VALU_DEP_2)
	v_lshlrev_b32_e32 v2, 2, v2
	ds_bpermute_b32 v0, v1, v52
	ds_bpermute_b32 v1, v1, v53
	s_wait_dscnt 0x0
	v_pk_add_f32 v[0:1], v[52:53], v[0:1]
	ds_bpermute_b32 v8, v2, v0
	ds_bpermute_b32 v9, v2, v1
	v_cndmask_b32_e32 v2, v3, v69, vcc_lo
	v_cmp_lt_i32_e32 vcc_lo, v68, v65
	s_delay_alu instid0(VALU_DEP_2)
	v_lshlrev_b32_e32 v2, 2, v2
	s_wait_dscnt 0x0
	v_pk_add_f32 v[0:1], v[0:1], v[8:9]
	ds_bpermute_b32 v8, v2, v0
	ds_bpermute_b32 v9, v2, v1
	v_cndmask_b32_e32 v2, v3, v68, vcc_lo
	v_cmp_lt_i32_e32 vcc_lo, v67, v65
	s_delay_alu instid0(VALU_DEP_2)
	v_lshlrev_b32_e32 v2, 2, v2
	s_wait_dscnt 0x0
	v_pk_add_f32 v[0:1], v[0:1], v[8:9]
	ds_bpermute_b32 v8, v2, v0
	ds_bpermute_b32 v9, v2, v1
	v_cndmask_b32_e32 v2, v3, v67, vcc_lo
	s_and_b32 vcc_lo, exec_lo, s3
	s_delay_alu instid0(VALU_DEP_1)
	v_lshlrev_b32_e32 v3, 2, v2
	s_wait_dscnt 0x0
	v_pk_add_f32 v[0:1], v[0:1], v[8:9]
	ds_bpermute_b32 v2, v3, v0
	ds_bpermute_b32 v3, v3, v1
	s_wait_dscnt 0x0
	v_pk_add_f32 v[0:1], v[0:1], v[2:3]
	v_add_nc_u32_e32 v2, s33, v24
	s_cbranch_vccz .LBB27_13
; %bb.12:
	s_delay_alu instid0(VALU_DEP_1) | instskip(NEXT) | instid1(VALU_DEP_1)
	v_dual_ashrrev_i32 v3, 31, v2 :: v_dual_max_num_f32 v11, v5, v5
	v_lshl_add_u64 v[8:9], v[2:3], 2, s[12:13]
	v_max_num_f32_e32 v3, v4, v4
	global_load_b64 v[8:9], v[8:9], off
	s_wait_loadcnt 0x0
	v_dual_max_num_f32 v6, v8, v8 :: v_dual_max_num_f32 v12, v9, v9
	s_delay_alu instid0(VALU_DEP_1) | instskip(NEXT) | instid1(VALU_DEP_1)
	v_max_num_f32_e32 v10, v3, v6
	v_dual_max_num_f32 v11, v11, v12 :: v_dual_sub_f32 v3, v4, v10
	s_delay_alu instid0(VALU_DEP_1) | instskip(SKIP_1) | instid1(VALU_DEP_3)
	v_dual_sub_f32 v6, v8, v10 :: v_dual_sub_f32 v5, v5, v11
	v_sub_f32_e32 v9, v9, v11
	v_cmp_ngt_f32_e32 vcc_lo, 0xc2ce8ed0, v3
	s_delay_alu instid0(VALU_DEP_3) | instskip(NEXT) | instid1(VALU_DEP_3)
	v_mul_f32_e32 v8, 0x3fb8aa3b, v6
	v_dual_mul_f32 v4, 0x3fb8aa3b, v3 :: v_dual_mul_f32 v13, 0x3fb8aa3b, v9
	s_delay_alu instid0(VALU_DEP_2) | instskip(NEXT) | instid1(VALU_DEP_2)
	v_rndne_f32_e32 v17, v8
	v_fma_f32 v14, 0x3fb8aa3b, v3, -v4
	v_rndne_f32_e32 v15, v4
	s_delay_alu instid0(VALU_DEP_4) | instskip(SKIP_3) | instid1(VALU_DEP_4)
	v_rndne_f32_e32 v21, v13
	v_fma_f32 v20, 0x3fb8aa3b, v9, -v13
	v_fma_f32 v16, 0x3fb8aa3b, v6, -v8
	v_fmac_f32_e32 v14, 0x32a5705f, v3
	v_dual_sub_f32 v4, v4, v15 :: v_dual_sub_f32 v13, v13, v21
	s_delay_alu instid0(VALU_DEP_4) | instskip(SKIP_2) | instid1(VALU_DEP_4)
	v_fmac_f32_e32 v20, 0x32a5705f, v9
	v_mul_f32_e32 v12, 0x3fb8aa3b, v5
	v_cvt_i32_f32_e32 v15, v15
	v_add_f32_e32 v4, v4, v14
	s_delay_alu instid0(VALU_DEP_4) | instskip(NEXT) | instid1(VALU_DEP_4)
	v_dual_sub_f32 v8, v8, v17 :: v_dual_add_f32 v13, v13, v20
	v_fma_f32 v18, 0x3fb8aa3b, v5, -v12
	v_rndne_f32_e32 v19, v12
	s_delay_alu instid0(VALU_DEP_4)
	v_exp_f32_e32 v4, v4
	v_cvt_i32_f32_e32 v14, v17
	v_fmac_f32_e32 v16, 0x32a5705f, v6
	v_fmac_f32_e32 v18, 0x32a5705f, v5
	v_cvt_i32_f32_e32 v17, v19
	v_exp_f32_e32 v13, v13
	s_delay_alu instid0(TRANS32_DEP_2) | instskip(SKIP_3) | instid1(VALU_DEP_3)
	v_ldexp_f32 v4, v4, v15
	v_sub_f32_e32 v12, v12, v19
	v_add_f32_e32 v8, v8, v16
	v_cvt_i32_f32_e32 v16, v21
	v_dual_cndmask_b32 v4, 0, v4, vcc_lo :: v_dual_add_f32 v12, v12, v18
	v_cmp_ngt_f32_e32 vcc_lo, 0xc2ce8ed0, v5
	s_delay_alu instid0(VALU_DEP_4) | instskip(NEXT) | instid1(VALU_DEP_2)
	v_exp_f32_e32 v8, v8
	v_exp_f32_e32 v12, v12
	v_nop
	s_delay_alu instid0(TRANS32_DEP_1) | instskip(NEXT) | instid1(VALU_DEP_1)
	v_ldexp_f32 v12, v12, v17
	v_cndmask_b32_e32 v12, 0, v12, vcc_lo
	v_cmp_nlt_f32_e32 vcc_lo, 0x42b17218, v3
	s_delay_alu instid0(TRANS32_DEP_2)
	v_ldexp_f32 v3, v8, v14
	v_ldexp_f32 v8, v13, v16
	v_cndmask_b32_e32 v4, 0x7f800000, v4, vcc_lo
	v_cmp_nlt_f32_e32 vcc_lo, 0x42b17218, v5
	v_cndmask_b32_e32 v5, 0x7f800000, v12, vcc_lo
	v_cmp_ngt_f32_e32 vcc_lo, 0xc2ce8ed0, v6
	s_delay_alu instid0(VALU_DEP_4) | instskip(NEXT) | instid1(VALU_DEP_3)
	v_cvt_f16_f32_e32 v12, v4
	v_cvt_f16_f32_e32 v13, v5
	v_cndmask_b32_e32 v3, 0, v3, vcc_lo
	v_cmp_ngt_f32_e32 vcc_lo, 0xc2ce8ed0, v9
	s_delay_alu instid0(VALU_DEP_4) | instskip(NEXT) | instid1(VALU_DEP_4)
	v_and_b32_e32 v12, 0xffff, v12
	v_and_b32_e32 v13, 0xffff, v13
	v_cndmask_b32_e32 v14, 0, v8, vcc_lo
	v_cmp_nlt_f32_e32 vcc_lo, 0x42b17218, v6
	s_delay_alu instid0(VALU_DEP_3) | instskip(SKIP_3) | instid1(VALU_DEP_4)
	v_mul_u32_u24_e32 v6, 0x10001, v13
	v_cndmask_b32_e32 v8, 0x7f800000, v3, vcc_lo
	v_cmp_nlt_f32_e32 vcc_lo, 0x42b17218, v9
	v_mul_u32_u24_e32 v3, 0x10001, v12
	v_pk_mul_f16 v100, v100, v6
	v_cndmask_b32_e32 v9, 0x7f800000, v14, vcc_lo
	s_delay_alu instid0(VALU_DEP_3) | instskip(NEXT) | instid1(VALU_DEP_2)
	v_pk_mul_f16 v101, v101, v3
	v_pk_fma_f32 v[0:1], v[0:1], v[4:5], v[8:9]
	v_mov_b64_e32 v[4:5], v[10:11]
.LBB27_13:
	s_mov_b32 s3, exec_lo
	v_cmpx_gt_i32_e64 s22, v62
	s_cbranch_execz .LBB27_22
; %bb.14:
	s_load_b32 s0, s[0:1], 0xd4
	v_mov_b32_e32 v6, 1.0
	s_wait_kmcnt 0x0
	s_cmp_lg_u32 s0, 1
	s_cselect_b32 s3, -1, 0
	s_cmp_eq_u32 s0, 1
	s_cselect_b32 s1, -1, 0
	s_and_b32 vcc_lo, exec_lo, s3
	s_cbranch_vccnz .LBB27_16
; %bb.15:
	v_div_scale_f32 v3, null, v0, v0, 1.0
	s_delay_alu instid0(VALU_DEP_1) | instskip(SKIP_1) | instid1(TRANS32_DEP_1)
	v_rcp_f32_e32 v6, v3
	v_nop
	v_fma_f32 v8, -v3, v6, 1.0
	s_delay_alu instid0(VALU_DEP_1) | instskip(SKIP_1) | instid1(VALU_DEP_1)
	v_fmac_f32_e32 v6, v8, v6
	v_div_scale_f32 v8, vcc_lo, 1.0, v0, 1.0
	v_mul_f32_e32 v9, v8, v6
	s_delay_alu instid0(VALU_DEP_1) | instskip(NEXT) | instid1(VALU_DEP_1)
	v_fma_f32 v10, -v3, v9, v8
	v_fmac_f32_e32 v9, v10, v6
	s_delay_alu instid0(VALU_DEP_1) | instskip(NEXT) | instid1(VALU_DEP_1)
	v_fma_f32 v3, -v3, v9, v8
	v_div_fmas_f32 v3, v3, v6, v9
	s_delay_alu instid0(VALU_DEP_1)
	v_div_fixup_f32 v6, v3, v0, 1.0
.LBB27_16:
	v_mad_u32 v3, s2, s22, v62
	v_cvt_f32_f16_e32 v10, v101
	v_cmp_eq_u32_e32 vcc_lo, 0, v25
	v_mov_b32_e32 v9, 0
	s_and_b32 s2, vcc_lo, s3
	s_delay_alu instid0(VALU_DEP_4) | instskip(SKIP_1) | instid1(VALU_DEP_1)
	v_mad_u32 v2, v3, s23, v2
	v_lshrrev_b32_e32 v3, 16, v101
	v_cvt_f32_f16_e32 v11, v3
	s_delay_alu instid0(VALU_DEP_1) | instskip(NEXT) | instid1(VALU_DEP_4)
	v_pk_mul_f32 v[10:11], v[6:7], v[10:11] op_sel_hi:[0,1]
	v_mad_u32 v2, s0, v2, s29
	s_delay_alu instid0(VALU_DEP_1) | instskip(NEXT) | instid1(VALU_DEP_1)
	v_lshl_add_u32 v8, v2, 6, v7
	v_lshl_add_u64 v[8:9], v[8:9], 2, s[16:17]
	global_store_b64 v[8:9], v[10:11], off
	s_wait_xcnt 0x0
	s_and_saveexec_b32 s3, s2
	s_cbranch_execz .LBB27_18
; %bb.17:
	v_dual_mov_b32 v8, v4 :: v_dual_mov_b32 v9, v0
	global_store_b64 v2, v[8:9], s[18:19] scale_offset
.LBB27_18:
	s_wait_xcnt 0x0
	s_or_b32 exec_lo, exec_lo, s3
	v_mov_b32_e32 v0, 1.0
	s_and_not1_b32 vcc_lo, exec_lo, s1
	s_cbranch_vccnz .LBB27_20
; %bb.19:
	v_div_scale_f32 v0, null, v1, v1, 1.0
	s_delay_alu instid0(VALU_DEP_1) | instskip(SKIP_1) | instid1(TRANS32_DEP_1)
	v_rcp_f32_e32 v3, v0
	v_nop
	v_fma_f32 v4, -v0, v3, 1.0
	s_delay_alu instid0(VALU_DEP_1) | instskip(SKIP_1) | instid1(VALU_DEP_1)
	v_fmac_f32_e32 v3, v4, v3
	v_div_scale_f32 v4, vcc_lo, 1.0, v1, 1.0
	v_mul_f32_e32 v6, v4, v3
	s_delay_alu instid0(VALU_DEP_1) | instskip(NEXT) | instid1(VALU_DEP_1)
	v_fma_f32 v8, -v0, v6, v4
	v_fmac_f32_e32 v6, v8, v3
	s_delay_alu instid0(VALU_DEP_1) | instskip(NEXT) | instid1(VALU_DEP_1)
	v_fma_f32 v0, -v0, v6, v4
	v_div_fmas_f32 v0, v0, v3, v6
	s_delay_alu instid0(VALU_DEP_1)
	v_div_fixup_f32 v0, v0, v1, 1.0
.LBB27_20:
	v_dual_add_nc_u32 v2, s0, v2 :: v_dual_lshrrev_b32 v3, 16, v100
	v_mov_b32_e32 v9, 0
	v_cvt_f32_f16_e32 v6, v100
	s_delay_alu instid0(VALU_DEP_3) | instskip(NEXT) | instid1(VALU_DEP_4)
	v_lshl_add_u32 v8, v2, 6, v7
	v_cvt_f32_f16_e32 v7, v3
	s_delay_alu instid0(VALU_DEP_2) | instskip(NEXT) | instid1(VALU_DEP_2)
	v_lshl_add_u64 v[8:9], v[8:9], 2, s[16:17]
	v_pk_mul_f32 v[6:7], v[0:1], v[6:7] op_sel_hi:[0,1]
	global_store_b64 v[8:9], v[6:7], off
	s_wait_xcnt 0x0
	s_and_b32 exec_lo, exec_lo, s2
	s_cbranch_execz .LBB27_22
; %bb.21:
	v_mov_b32_e32 v0, v5
	global_store_b64 v2, v[0:1], s[18:19] scale_offset
.LBB27_22:
	s_sendmsg sendmsg(MSG_DEALLOC_VGPRS)
	s_endpgm
	.section	.rodata,"a",@progbits
	.p2align	6, 0x0
	.amdhsa_kernel _ZL15flash_attn_tileILi64ELi64ELi2ELi4ELb0EEvPKcS1_S1_S1_S1_PKiPfP15HIP_vector_typeIfLj2EEffffjfiS5_IjLj3EEiiiiiiiiiiiliiliiiiil
		.amdhsa_group_segment_fixed_size 21504
		.amdhsa_private_segment_fixed_size 0
		.amdhsa_kernarg_size 464
		.amdhsa_user_sgpr_count 2
		.amdhsa_user_sgpr_dispatch_ptr 0
		.amdhsa_user_sgpr_queue_ptr 0
		.amdhsa_user_sgpr_kernarg_segment_ptr 1
		.amdhsa_user_sgpr_dispatch_id 0
		.amdhsa_user_sgpr_kernarg_preload_length 0
		.amdhsa_user_sgpr_kernarg_preload_offset 0
		.amdhsa_user_sgpr_private_segment_size 0
		.amdhsa_wavefront_size32 1
		.amdhsa_uses_dynamic_stack 0
		.amdhsa_enable_private_segment 0
		.amdhsa_system_sgpr_workgroup_id_x 1
		.amdhsa_system_sgpr_workgroup_id_y 1
		.amdhsa_system_sgpr_workgroup_id_z 1
		.amdhsa_system_sgpr_workgroup_info 0
		.amdhsa_system_vgpr_workitem_id 1
		.amdhsa_next_free_vgpr 122
		.amdhsa_next_free_sgpr 43
		.amdhsa_named_barrier_count 0
		.amdhsa_reserve_vcc 1
		.amdhsa_float_round_mode_32 0
		.amdhsa_float_round_mode_16_64 0
		.amdhsa_float_denorm_mode_32 3
		.amdhsa_float_denorm_mode_16_64 3
		.amdhsa_fp16_overflow 0
		.amdhsa_memory_ordered 1
		.amdhsa_forward_progress 1
		.amdhsa_inst_pref_size 109
		.amdhsa_round_robin_scheduling 0
		.amdhsa_exception_fp_ieee_invalid_op 0
		.amdhsa_exception_fp_denorm_src 0
		.amdhsa_exception_fp_ieee_div_zero 0
		.amdhsa_exception_fp_ieee_overflow 0
		.amdhsa_exception_fp_ieee_underflow 0
		.amdhsa_exception_fp_ieee_inexact 0
		.amdhsa_exception_int_div_zero 0
	.end_amdhsa_kernel
	.section	.text._ZL15flash_attn_tileILi64ELi64ELi2ELi4ELb0EEvPKcS1_S1_S1_S1_PKiPfP15HIP_vector_typeIfLj2EEffffjfiS5_IjLj3EEiiiiiiiiiiiliiliiiiil,"axG",@progbits,_ZL15flash_attn_tileILi64ELi64ELi2ELi4ELb0EEvPKcS1_S1_S1_S1_PKiPfP15HIP_vector_typeIfLj2EEffffjfiS5_IjLj3EEiiiiiiiiiiiliiliiiiil,comdat
.Lfunc_end27:
	.size	_ZL15flash_attn_tileILi64ELi64ELi2ELi4ELb0EEvPKcS1_S1_S1_S1_PKiPfP15HIP_vector_typeIfLj2EEffffjfiS5_IjLj3EEiiiiiiiiiiiliiliiiiil, .Lfunc_end27-_ZL15flash_attn_tileILi64ELi64ELi2ELi4ELb0EEvPKcS1_S1_S1_S1_PKiPfP15HIP_vector_typeIfLj2EEffffjfiS5_IjLj3EEiiiiiiiiiiiliiliiiiil
                                        ; -- End function
	.set _ZL15flash_attn_tileILi64ELi64ELi2ELi4ELb0EEvPKcS1_S1_S1_S1_PKiPfP15HIP_vector_typeIfLj2EEffffjfiS5_IjLj3EEiiiiiiiiiiiliiliiiiil.num_vgpr, 122
	.set _ZL15flash_attn_tileILi64ELi64ELi2ELi4ELb0EEvPKcS1_S1_S1_S1_PKiPfP15HIP_vector_typeIfLj2EEffffjfiS5_IjLj3EEiiiiiiiiiiiliiliiiiil.num_agpr, 0
	.set _ZL15flash_attn_tileILi64ELi64ELi2ELi4ELb0EEvPKcS1_S1_S1_S1_PKiPfP15HIP_vector_typeIfLj2EEffffjfiS5_IjLj3EEiiiiiiiiiiiliiliiiiil.numbered_sgpr, 43
	.set _ZL15flash_attn_tileILi64ELi64ELi2ELi4ELb0EEvPKcS1_S1_S1_S1_PKiPfP15HIP_vector_typeIfLj2EEffffjfiS5_IjLj3EEiiiiiiiiiiiliiliiiiil.num_named_barrier, 0
	.set _ZL15flash_attn_tileILi64ELi64ELi2ELi4ELb0EEvPKcS1_S1_S1_S1_PKiPfP15HIP_vector_typeIfLj2EEffffjfiS5_IjLj3EEiiiiiiiiiiiliiliiiiil.private_seg_size, 0
	.set _ZL15flash_attn_tileILi64ELi64ELi2ELi4ELb0EEvPKcS1_S1_S1_S1_PKiPfP15HIP_vector_typeIfLj2EEffffjfiS5_IjLj3EEiiiiiiiiiiiliiliiiiil.uses_vcc, 1
	.set _ZL15flash_attn_tileILi64ELi64ELi2ELi4ELb0EEvPKcS1_S1_S1_S1_PKiPfP15HIP_vector_typeIfLj2EEffffjfiS5_IjLj3EEiiiiiiiiiiiliiliiiiil.uses_flat_scratch, 0
	.set _ZL15flash_attn_tileILi64ELi64ELi2ELi4ELb0EEvPKcS1_S1_S1_S1_PKiPfP15HIP_vector_typeIfLj2EEffffjfiS5_IjLj3EEiiiiiiiiiiiliiliiiiil.has_dyn_sized_stack, 0
	.set _ZL15flash_attn_tileILi64ELi64ELi2ELi4ELb0EEvPKcS1_S1_S1_S1_PKiPfP15HIP_vector_typeIfLj2EEffffjfiS5_IjLj3EEiiiiiiiiiiiliiliiiiil.has_recursion, 0
	.set _ZL15flash_attn_tileILi64ELi64ELi2ELi4ELb0EEvPKcS1_S1_S1_S1_PKiPfP15HIP_vector_typeIfLj2EEffffjfiS5_IjLj3EEiiiiiiiiiiiliiliiiiil.has_indirect_call, 0
	.section	.AMDGPU.csdata,"",@progbits
; Kernel info:
; codeLenInByte = 13864
; TotalNumSgprs: 45
; NumVgprs: 122
; ScratchSize: 0
; MemoryBound: 0
; FloatMode: 240
; IeeeMode: 1
; LDSByteSize: 21504 bytes/workgroup (compile time only)
; SGPRBlocks: 0
; VGPRBlocks: 7
; NumSGPRsForWavesPerEU: 45
; NumVGPRsForWavesPerEU: 122
; NamedBarCnt: 0
; Occupancy: 8
; WaveLimiterHint : 1
; COMPUTE_PGM_RSRC2:SCRATCH_EN: 0
; COMPUTE_PGM_RSRC2:USER_SGPR: 2
; COMPUTE_PGM_RSRC2:TRAP_HANDLER: 0
; COMPUTE_PGM_RSRC2:TGID_X_EN: 1
; COMPUTE_PGM_RSRC2:TGID_Y_EN: 1
; COMPUTE_PGM_RSRC2:TGID_Z_EN: 1
; COMPUTE_PGM_RSRC2:TIDIG_COMP_CNT: 1
	.section	.text._ZL33flash_attn_stream_k_fixup_uniformILi64ELi2ELi4EEvPfPK15HIP_vector_typeIfLj2EEiiiiiiS1_IjLj3EES5_S5_,"axG",@progbits,_ZL33flash_attn_stream_k_fixup_uniformILi64ELi2ELi4EEvPfPK15HIP_vector_typeIfLj2EEiiiiiiS1_IjLj3EES5_S5_,comdat
	.globl	_ZL33flash_attn_stream_k_fixup_uniformILi64ELi2ELi4EEvPfPK15HIP_vector_typeIfLj2EEiiiiiiS1_IjLj3EES5_S5_ ; -- Begin function _ZL33flash_attn_stream_k_fixup_uniformILi64ELi2ELi4EEvPfPK15HIP_vector_typeIfLj2EEiiiiiiS1_IjLj3EES5_S5_
	.p2align	8
	.type	_ZL33flash_attn_stream_k_fixup_uniformILi64ELi2ELi4EEvPfPK15HIP_vector_typeIfLj2EEiiiiiiS1_IjLj3EES5_S5_,@function
_ZL33flash_attn_stream_k_fixup_uniformILi64ELi2ELi4EEvPfPK15HIP_vector_typeIfLj2EEiiiiiiS1_IjLj3EES5_S5_: ; @_ZL33flash_attn_stream_k_fixup_uniformILi64ELi2ELi4EEvPfPK15HIP_vector_typeIfLj2EEiiiiiiS1_IjLj3EES5_S5_
; %bb.0:
	s_load_b256 s[4:11], s[0:1], 0x1c
	s_bfe_u32 s2, ttmp6, 0x40014
	s_lshr_b32 s3, ttmp7, 16
	s_add_co_i32 s2, s2, 1
	s_bfe_u32 s13, ttmp6, 0x40010
	s_mul_i32 s2, s3, s2
	s_bfe_u32 s12, ttmp6, 0x40008
	s_and_b32 s15, ttmp7, 0xffff
	s_add_co_i32 s13, s13, 1
	s_bfe_u32 s14, ttmp6, 0x4000c
	s_add_co_i32 s12, s12, s2
	s_mul_i32 s2, s15, s13
	s_bfe_u32 s13, ttmp6, 0x40004
	s_add_co_i32 s14, s14, 1
	s_add_co_i32 s13, s13, s2
	s_and_b32 s2, ttmp6, 15
	s_mul_i32 s14, ttmp9, s14
	s_getreg_b32 s20, hwreg(HW_REG_IB_STS2, 6, 4)
	s_add_co_i32 s2, s2, s14
	s_load_b128 s[16:19], s[0:1], 0x3c
	s_cmp_eq_u32 s20, 0
	s_cselect_b32 s14, ttmp9, s2
	s_cselect_b32 s13, s15, s13
	s_wait_kmcnt 0x0
	s_mul_hi_u32 s2, s7, s14
	s_cselect_b32 s12, s3, s12
	s_add_co_i32 s2, s14, s2
	s_delay_alu instid0(SALU_CYCLE_1) | instskip(NEXT) | instid1(SALU_CYCLE_1)
	s_lshr_b32 s7, s2, s8
	s_mul_i32 s2, s7, s9
	s_delay_alu instid0(SALU_CYCLE_1) | instskip(NEXT) | instid1(SALU_CYCLE_1)
	s_sub_co_i32 s8, s14, s2
	s_mul_hi_u32 s2, s8, s10
	s_delay_alu instid0(SALU_CYCLE_1) | instskip(SKIP_2) | instid1(SALU_CYCLE_1)
	s_add_co_i32 s9, s8, s2
	s_load_b64 s[2:3], s[0:1], 0x10
	s_lshr_b32 s15, s9, s11
	s_mul_i32 s9, s15, s16
	s_delay_alu instid0(SALU_CYCLE_1) | instskip(NEXT) | instid1(SALU_CYCLE_1)
	s_sub_co_i32 s8, s8, s9
	s_mul_hi_u32 s9, s8, s17
	s_delay_alu instid0(SALU_CYCLE_1) | instskip(NEXT) | instid1(SALU_CYCLE_1)
	s_add_co_i32 s9, s8, s9
	s_lshr_b32 s9, s9, s18
	s_delay_alu instid0(SALU_CYCLE_1) | instskip(SKIP_2) | instid1(SALU_CYCLE_1)
	s_mul_i32 s10, s9, s19
	s_lshl_b32 s17, s9, 2
	s_sub_co_i32 s16, s8, s10
	s_lshl_b32 s8, s16, 1
	s_delay_alu instid0(SALU_CYCLE_1) | instskip(SKIP_4) | instid1(SALU_CYCLE_1)
	s_add_co_i32 s8, s8, s13
	s_wait_kmcnt 0x0
	s_cmp_lt_i32 s8, s2
	s_cselect_b32 s8, -1, 0
	s_add_co_i32 s9, s17, s12
	s_cmp_lt_i32 s9, s5
	s_cselect_b32 s9, -1, 0
	s_delay_alu instid0(SALU_CYCLE_1) | instskip(NEXT) | instid1(SALU_CYCLE_1)
	s_and_b32 s8, s8, s9
	s_and_not1_b32 vcc_lo, exec_lo, s8
	s_cbranch_vccnz .LBB28_6
; %bb.1:
	s_mul_i32 s2, s7, s2
	s_load_b128 s[8:11], s[0:1], 0x0
	s_wait_xcnt 0x0
	s_add_co_i32 s0, s2, s13
	s_mul_i32 s15, s15, s5
	s_mul_i32 s0, s0, s3
	;; [unrolled: 1-line block ×3, first 2 shown]
	s_add_co_i32 s0, s0, s12
	s_lshl_b32 s1, s1, 7
	s_add_co_i32 s0, s0, s15
	s_mul_i32 s7, s6, s14
	s_add_co_i32 s0, s0, s17
	s_lshl_b32 s5, s13, 2
	s_lshl_b32 s0, s0, 6
	s_add_co_i32 s15, s7, s6
	s_add_co_i32 s1, s1, s0
	s_add_co_i32 s0, s5, s12
	v_or_b32_e32 v4, s1, v0
	s_lshl_b32 s1, s15, 3
	s_add_co_i32 s2, s15, -2
	s_add_co_i32 s0, s0, s1
	s_delay_alu instid0(SALU_CYCLE_1)
	s_add_co_i32 s0, s0, -8
	s_wait_kmcnt 0x0
	global_load_b32 v3, v4, s[8:9] scale_offset
	s_ashr_i32 s1, s0, 31
	v_ashrrev_i32_e32 v5, 31, v4
	s_lshl_b64 s[0:1], s[0:1], 3
	s_cmp_lt_i32 s2, s7
	s_add_nc_u64 s[0:1], s[10:11], s[0:1]
	s_load_b32 s16, s[0:1], 0x4
	s_cbranch_scc1 .LBB28_4
; %bb.2:
	s_wait_xcnt 0x0
	s_load_b32 s0, s[0:1], 0x0
	s_add_co_i32 s14, s14, 1
	s_lshl_b32 s3, s13, 8
	s_wait_xcnt 0x0
	s_mul_i32 s1, s6, s14
	s_lshl_b32 s6, s12, 6
	s_lshl_b32 s13, s1, 9
	s_add_co_i32 s6, s6, s3
	s_lshl_b32 s1, s1, 3
	s_add_co_i32 s6, s6, s13
	s_lshl_b32 s2, s4, 5
	s_wait_kmcnt 0x0
	v_dual_mov_b32 v2, s16 :: v_dual_bitop2_b32 v0, s6, v0 bitop3:0x54
	s_add_co_i32 s1, s12, s1
	s_lshl_b32 s4, s4, 3
	s_ashr_i32 s3, s2, 31
	s_add_co_i32 s1, s1, s4
	v_add_nc_u32_e32 v0, 0xfffffc00, v0
	s_lshl_b64 s[2:3], s[2:3], 2
	s_add_co_i32 s4, s1, s5
	s_add_nc_u64 s[2:3], s[10:11], s[2:3]
	s_add_co_i32 s1, s15, -1
	s_add_co_i32 s4, s4, -16
.LBB28_3:                               ; =>This Inner Loop Header: Depth=1
	global_load_b32 v7, v0, s[2:3] scale_offset
	s_ashr_i32 s5, s4, 31
	v_max_num_f32_e64 v1, s0, s0
	s_lshl_b64 s[12:13], s[4:5], 3
	s_delay_alu instid0(SALU_CYCLE_1) | instskip(SKIP_1) | instid1(VALU_DEP_1)
	s_add_nc_u64 s[12:13], s[10:11], s[12:13]
	s_load_b64 s[12:13], s[12:13], 0x0
	v_readfirstlane_b32 s5, v1
	v_add_nc_u32_e32 v0, 0xfffffe00, v0
	s_wait_kmcnt 0x0
	v_max_num_f32_e64 v1, s12, s12
	s_delay_alu instid0(VALU_DEP_1) | instskip(SKIP_1) | instid1(SALU_CYCLE_3)
	v_readfirstlane_b32 s6, v1
	s_max_num_f32 s5, s5, s6
	s_sub_f32 s0, s0, s5
	s_sub_f32 s6, s12, s5
	s_delay_alu instid0(SALU_CYCLE_2) | instskip(NEXT) | instid1(SALU_CYCLE_2)
	s_mul_f32 s12, s0, 0x3fb8aa3b
	s_mul_f32 s14, s6, 0x3fb8aa3b
	s_delay_alu instid0(SALU_CYCLE_2)
	s_xor_b32 s15, s12, 0x80000000
	s_rndne_f32 s16, s12
	s_fmamk_f32 s15, s0, 0x3fb8aa3b, s15
	s_cmp_nlt_f32 s0, 0xc2ce8ed0
	s_rndne_f32 s17, s14
	s_sub_f32 s12, s12, s16
	s_fmamk_f32 s15, s0, 0x32a5705f, s15
	s_cselect_b32 vcc_lo, -1, 0
	s_cmp_ngt_f32 s0, 0x42b17218
	s_delay_alu instid0(SALU_CYCLE_1) | instskip(SKIP_2) | instid1(SALU_CYCLE_1)
	s_add_f32 s12, s12, s15
	s_cvt_i32_f32 s15, s16
	s_sub_f32 s16, s14, s17
	v_s_exp_f32 s12, s12
	v_nop
	s_delay_alu instid0(TRANS32_DEP_1) | instskip(SKIP_1) | instid1(VALU_DEP_1)
	v_ldexp_f32 v1, s12, s15
	s_cvt_i32_f32 s12, s17
	v_cndmask_b32_e32 v1, 0, v1, vcc_lo
	s_cselect_b32 vcc_lo, -1, 0
	s_cmp_ge_f32 s0, 0xc1a00000
	s_delay_alu instid0(VALU_DEP_1)
	v_cndmask_b32_e32 v1, 0x7f800000, v1, vcc_lo
	s_cselect_b32 vcc_lo, -1, 0
	s_xor_b32 s0, s14, 0x80000000
	s_cmp_nlt_f32 s6, 0xc2ce8ed0
	s_fmamk_f32 s0, s6, 0x3fb8aa3b, s0
	v_cndmask_b32_e32 v10, 0, v1, vcc_lo
	s_delay_alu instid0(SALU_CYCLE_2) | instskip(NEXT) | instid1(SALU_CYCLE_3)
	s_fmamk_f32 s0, s6, 0x32a5705f, s0
	s_add_f32 s0, s16, s0
	s_delay_alu instid0(SALU_CYCLE_3) | instskip(SKIP_1) | instid1(TRANS32_DEP_1)
	v_s_exp_f32 s0, s0
	v_nop
	v_ldexp_f32 v6, s0, s12
	s_cselect_b32 s0, -1, 0
	s_cmp_ngt_f32 s6, 0x42b17218
	s_delay_alu instid0(VALU_DEP_1) | instskip(SKIP_2) | instid1(VALU_DEP_1)
	v_cndmask_b32_e64 v6, 0, v6, s0
	s_cselect_b32 s0, -1, 0
	s_cmp_ge_f32 s6, 0xc1a00000
	v_cndmask_b32_e64 v8, 0x7f800000, v6, s0
	s_cselect_b32 s0, -1, 0
	v_mov_b32_e32 v6, s13
	s_add_co_i32 s1, s1, -1
	s_add_co_i32 s4, s4, -8
	v_cndmask_b32_e64 v8, 0, v8, s0
	s_cmp_le_i32 s1, s7
	s_mov_b32 s0, s5
	s_wait_loadcnt 0x0
	s_delay_alu instid0(VALU_DEP_1) | instskip(NEXT) | instid1(VALU_DEP_1)
	v_pk_mul_f32 v[6:7], v[6:7], v[8:9] op_sel_hi:[1,0]
	v_pk_fma_f32 v[2:3], v[2:3], v[10:11], v[6:7] op_sel_hi:[1,0,1]
	s_cbranch_scc0 .LBB28_3
	s_branch .LBB28_5
.LBB28_4:
	s_wait_kmcnt 0x0
	v_mov_b32_e32 v2, s16
.LBB28_5:
	v_lshl_add_u64 v[0:1], v[4:5], 2, s[8:9]
	s_wait_loadcnt 0x0
	s_delay_alu instid0(VALU_DEP_2) | instskip(NEXT) | instid1(VALU_DEP_1)
	v_div_scale_f32 v4, null, v2, v2, v3
	v_rcp_f32_e32 v5, v4
	v_nop
	s_delay_alu instid0(TRANS32_DEP_1) | instskip(NEXT) | instid1(VALU_DEP_1)
	v_fma_f32 v6, -v4, v5, 1.0
	v_fmac_f32_e32 v5, v6, v5
	v_div_scale_f32 v6, vcc_lo, v3, v2, v3
	s_delay_alu instid0(VALU_DEP_1) | instskip(NEXT) | instid1(VALU_DEP_1)
	v_mul_f32_e32 v7, v6, v5
	v_fma_f32 v8, -v4, v7, v6
	s_delay_alu instid0(VALU_DEP_1) | instskip(NEXT) | instid1(VALU_DEP_1)
	v_fmac_f32_e32 v7, v8, v5
	v_fma_f32 v4, -v4, v7, v6
	s_delay_alu instid0(VALU_DEP_1) | instskip(NEXT) | instid1(VALU_DEP_1)
	v_div_fmas_f32 v4, v4, v5, v7
	v_div_fixup_f32 v2, v4, v2, v3
	global_store_b32 v[0:1], v2, off
.LBB28_6:
	s_endpgm
	.section	.rodata,"a",@progbits
	.p2align	6, 0x0
	.amdhsa_kernel _ZL33flash_attn_stream_k_fixup_uniformILi64ELi2ELi4EEvPfPK15HIP_vector_typeIfLj2EEiiiiiiS1_IjLj3EES5_S5_
		.amdhsa_group_segment_fixed_size 0
		.amdhsa_private_segment_fixed_size 0
		.amdhsa_kernarg_size 76
		.amdhsa_user_sgpr_count 2
		.amdhsa_user_sgpr_dispatch_ptr 0
		.amdhsa_user_sgpr_queue_ptr 0
		.amdhsa_user_sgpr_kernarg_segment_ptr 1
		.amdhsa_user_sgpr_dispatch_id 0
		.amdhsa_user_sgpr_kernarg_preload_length 0
		.amdhsa_user_sgpr_kernarg_preload_offset 0
		.amdhsa_user_sgpr_private_segment_size 0
		.amdhsa_wavefront_size32 1
		.amdhsa_uses_dynamic_stack 0
		.amdhsa_enable_private_segment 0
		.amdhsa_system_sgpr_workgroup_id_x 1
		.amdhsa_system_sgpr_workgroup_id_y 1
		.amdhsa_system_sgpr_workgroup_id_z 1
		.amdhsa_system_sgpr_workgroup_info 0
		.amdhsa_system_vgpr_workitem_id 0
		.amdhsa_next_free_vgpr 12
		.amdhsa_next_free_sgpr 21
		.amdhsa_named_barrier_count 0
		.amdhsa_reserve_vcc 1
		.amdhsa_float_round_mode_32 0
		.amdhsa_float_round_mode_16_64 0
		.amdhsa_float_denorm_mode_32 3
		.amdhsa_float_denorm_mode_16_64 3
		.amdhsa_fp16_overflow 0
		.amdhsa_memory_ordered 1
		.amdhsa_forward_progress 1
		.amdhsa_inst_pref_size 9
		.amdhsa_round_robin_scheduling 0
		.amdhsa_exception_fp_ieee_invalid_op 0
		.amdhsa_exception_fp_denorm_src 0
		.amdhsa_exception_fp_ieee_div_zero 0
		.amdhsa_exception_fp_ieee_overflow 0
		.amdhsa_exception_fp_ieee_underflow 0
		.amdhsa_exception_fp_ieee_inexact 0
		.amdhsa_exception_int_div_zero 0
	.end_amdhsa_kernel
	.section	.text._ZL33flash_attn_stream_k_fixup_uniformILi64ELi2ELi4EEvPfPK15HIP_vector_typeIfLj2EEiiiiiiS1_IjLj3EES5_S5_,"axG",@progbits,_ZL33flash_attn_stream_k_fixup_uniformILi64ELi2ELi4EEvPfPK15HIP_vector_typeIfLj2EEiiiiiiS1_IjLj3EES5_S5_,comdat
.Lfunc_end28:
	.size	_ZL33flash_attn_stream_k_fixup_uniformILi64ELi2ELi4EEvPfPK15HIP_vector_typeIfLj2EEiiiiiiS1_IjLj3EES5_S5_, .Lfunc_end28-_ZL33flash_attn_stream_k_fixup_uniformILi64ELi2ELi4EEvPfPK15HIP_vector_typeIfLj2EEiiiiiiS1_IjLj3EES5_S5_
                                        ; -- End function
	.set _ZL33flash_attn_stream_k_fixup_uniformILi64ELi2ELi4EEvPfPK15HIP_vector_typeIfLj2EEiiiiiiS1_IjLj3EES5_S5_.num_vgpr, 12
	.set _ZL33flash_attn_stream_k_fixup_uniformILi64ELi2ELi4EEvPfPK15HIP_vector_typeIfLj2EEiiiiiiS1_IjLj3EES5_S5_.num_agpr, 0
	.set _ZL33flash_attn_stream_k_fixup_uniformILi64ELi2ELi4EEvPfPK15HIP_vector_typeIfLj2EEiiiiiiS1_IjLj3EES5_S5_.numbered_sgpr, 21
	.set _ZL33flash_attn_stream_k_fixup_uniformILi64ELi2ELi4EEvPfPK15HIP_vector_typeIfLj2EEiiiiiiS1_IjLj3EES5_S5_.num_named_barrier, 0
	.set _ZL33flash_attn_stream_k_fixup_uniformILi64ELi2ELi4EEvPfPK15HIP_vector_typeIfLj2EEiiiiiiS1_IjLj3EES5_S5_.private_seg_size, 0
	.set _ZL33flash_attn_stream_k_fixup_uniformILi64ELi2ELi4EEvPfPK15HIP_vector_typeIfLj2EEiiiiiiS1_IjLj3EES5_S5_.uses_vcc, 1
	.set _ZL33flash_attn_stream_k_fixup_uniformILi64ELi2ELi4EEvPfPK15HIP_vector_typeIfLj2EEiiiiiiS1_IjLj3EES5_S5_.uses_flat_scratch, 0
	.set _ZL33flash_attn_stream_k_fixup_uniformILi64ELi2ELi4EEvPfPK15HIP_vector_typeIfLj2EEiiiiiiS1_IjLj3EES5_S5_.has_dyn_sized_stack, 0
	.set _ZL33flash_attn_stream_k_fixup_uniformILi64ELi2ELi4EEvPfPK15HIP_vector_typeIfLj2EEiiiiiiS1_IjLj3EES5_S5_.has_recursion, 0
	.set _ZL33flash_attn_stream_k_fixup_uniformILi64ELi2ELi4EEvPfPK15HIP_vector_typeIfLj2EEiiiiiiS1_IjLj3EES5_S5_.has_indirect_call, 0
	.section	.AMDGPU.csdata,"",@progbits
; Kernel info:
; codeLenInByte = 1092
; TotalNumSgprs: 23
; NumVgprs: 12
; ScratchSize: 0
; MemoryBound: 0
; FloatMode: 240
; IeeeMode: 1
; LDSByteSize: 0 bytes/workgroup (compile time only)
; SGPRBlocks: 0
; VGPRBlocks: 0
; NumSGPRsForWavesPerEU: 23
; NumVGPRsForWavesPerEU: 12
; NamedBarCnt: 0
; Occupancy: 16
; WaveLimiterHint : 0
; COMPUTE_PGM_RSRC2:SCRATCH_EN: 0
; COMPUTE_PGM_RSRC2:USER_SGPR: 2
; COMPUTE_PGM_RSRC2:TRAP_HANDLER: 0
; COMPUTE_PGM_RSRC2:TGID_X_EN: 1
; COMPUTE_PGM_RSRC2:TGID_Y_EN: 1
; COMPUTE_PGM_RSRC2:TGID_Z_EN: 1
; COMPUTE_PGM_RSRC2:TIDIG_COMP_CNT: 0
	.section	.text._ZL33flash_attn_stream_k_fixup_generalILi64ELi2ELi4EEvPfPK15HIP_vector_typeIfLj2EEiiiiS1_IjLj3EES5_S5_S5_,"axG",@progbits,_ZL33flash_attn_stream_k_fixup_generalILi64ELi2ELi4EEvPfPK15HIP_vector_typeIfLj2EEiiiiS1_IjLj3EES5_S5_S5_,comdat
	.globl	_ZL33flash_attn_stream_k_fixup_generalILi64ELi2ELi4EEvPfPK15HIP_vector_typeIfLj2EEiiiiS1_IjLj3EES5_S5_S5_ ; -- Begin function _ZL33flash_attn_stream_k_fixup_generalILi64ELi2ELi4EEvPfPK15HIP_vector_typeIfLj2EEiiiiS1_IjLj3EES5_S5_S5_
	.p2align	8
	.type	_ZL33flash_attn_stream_k_fixup_generalILi64ELi2ELi4EEvPfPK15HIP_vector_typeIfLj2EEiiiiS1_IjLj3EES5_S5_S5_,@function
_ZL33flash_attn_stream_k_fixup_generalILi64ELi2ELi4EEvPfPK15HIP_vector_typeIfLj2EEiiiiS1_IjLj3EES5_S5_S5_: ; @_ZL33flash_attn_stream_k_fixup_generalILi64ELi2ELi4EEvPfPK15HIP_vector_typeIfLj2EEiiiiS1_IjLj3EES5_S5_S5_
; %bb.0:
	s_clause 0x1
	s_load_b128 s[4:7], s[0:1], 0x10
	s_load_b32 s16, s[0:1], 0x50
	s_bfe_u32 s2, ttmp6, 0x4000c
	s_and_b32 s3, ttmp6, 15
	s_add_co_i32 s2, s2, 1
	s_getreg_b32 s15, hwreg(HW_REG_IB_STS2, 6, 4)
	s_mul_i32 s2, ttmp9, s2
	s_mov_b32 s17, 0
	s_add_co_i32 s3, s3, s2
	s_cmp_eq_u32 s15, 0
	s_cselect_b32 s2, ttmp9, s3
	s_delay_alu instid0(SALU_CYCLE_1) | instskip(SKIP_3) | instid1(SALU_CYCLE_1)
	s_ashr_i32 s3, s2, 31
	s_wait_kmcnt 0x0
	s_ashr_i32 s19, s7, 31
	s_mov_b32 s18, s7
	s_mul_u64 s[8:9], s[18:19], s[2:3]
	s_delay_alu instid0(SALU_CYCLE_1) | instskip(NEXT) | instid1(SALU_CYCLE_1)
	s_and_b64 s[10:11], s[8:9], 0xffffffff00000000
	s_cmp_lg_u64 s[10:11], 0
	s_cbranch_scc0 .LBB29_21
; %bb.1:
	s_add_nc_u64 s[10:11], s[16:17], 0
	s_mov_b32 s23, s17
	s_xor_b64 s[10:11], s[10:11], 0
	s_mov_b32 s27, s17
	s_cvt_f32_u32 s3, s10
	s_cvt_f32_u32 s7, s11
	s_sub_nc_u64 s[20:21], 0, s[10:11]
	s_delay_alu instid0(SALU_CYCLE_2) | instskip(NEXT) | instid1(SALU_CYCLE_3)
	s_fmamk_f32 s3, s7, 0x4f800000, s3
	v_s_rcp_f32 s3, s3
	s_delay_alu instid0(TRANS32_DEP_1) | instskip(NEXT) | instid1(SALU_CYCLE_3)
	s_mul_f32 s3, s3, 0x5f7ffffc
	s_mul_f32 s7, s3, 0x2f800000
	s_delay_alu instid0(SALU_CYCLE_3) | instskip(NEXT) | instid1(SALU_CYCLE_3)
	s_trunc_f32 s7, s7
	s_fmamk_f32 s3, s7, 0xcf800000, s3
	s_cvt_u32_f32 s13, s7
	s_delay_alu instid0(SALU_CYCLE_2) | instskip(NEXT) | instid1(SALU_CYCLE_3)
	s_cvt_u32_f32 s12, s3
	s_mul_u64 s[24:25], s[20:21], s[12:13]
	s_delay_alu instid0(SALU_CYCLE_1)
	s_mul_hi_u32 s29, s12, s25
	s_mul_i32 s28, s12, s25
	s_mul_hi_u32 s22, s12, s24
	s_mul_i32 s7, s13, s24
	s_add_nc_u64 s[22:23], s[22:23], s[28:29]
	s_mul_hi_u32 s3, s13, s24
	s_mul_hi_u32 s14, s13, s25
	s_add_co_u32 s7, s22, s7
	s_add_co_ci_u32 s26, s23, s3
	s_mul_i32 s24, s13, s25
	s_add_co_ci_u32 s25, s14, 0
	s_delay_alu instid0(SALU_CYCLE_1) | instskip(SKIP_3) | instid1(SALU_CYCLE_1)
	s_add_nc_u64 s[22:23], s[26:27], s[24:25]
	s_mov_b32 s25, s17
	s_add_co_u32 s12, s12, s22
	s_cselect_b32 s3, -1, 0
	s_cmp_lg_u32 s3, 0
	s_add_co_ci_u32 s13, s13, s23
	s_mov_b32 s23, s17
	s_mul_u64 s[20:21], s[20:21], s[12:13]
	s_delay_alu instid0(SALU_CYCLE_1)
	s_mul_hi_u32 s27, s12, s21
	s_mul_i32 s26, s12, s21
	s_mul_hi_u32 s22, s12, s20
	s_mul_i32 s7, s13, s20
	s_add_nc_u64 s[22:23], s[22:23], s[26:27]
	s_mul_hi_u32 s3, s13, s20
	s_mul_hi_u32 s14, s13, s21
	s_add_co_u32 s7, s22, s7
	s_add_co_ci_u32 s24, s23, s3
	s_mul_i32 s20, s13, s21
	s_add_co_ci_u32 s21, s14, 0
	s_mov_b32 s23, s17
	s_add_nc_u64 s[20:21], s[24:25], s[20:21]
	s_delay_alu instid0(SALU_CYCLE_1) | instskip(SKIP_1) | instid1(SALU_CYCLE_1)
	s_add_co_u32 s3, s12, s20
	s_cselect_b32 s7, -1, 0
	s_cmp_lg_u32 s7, 0
	s_add_co_ci_u32 s7, s13, s21
	s_ashr_i32 s12, s9, 31
	s_delay_alu instid0(SALU_CYCLE_1) | instskip(NEXT) | instid1(SALU_CYCLE_1)
	s_mov_b32 s13, s12
	s_add_nc_u64 s[20:21], s[8:9], s[12:13]
	s_delay_alu instid0(SALU_CYCLE_1) | instskip(NEXT) | instid1(SALU_CYCLE_1)
	s_xor_b64 s[20:21], s[20:21], s[12:13]
	s_mul_hi_u32 s27, s20, s7
	s_mul_i32 s26, s20, s7
	s_mul_hi_u32 s22, s20, s3
	s_mul_hi_u32 s14, s21, s3
	s_mul_i32 s3, s21, s3
	s_add_nc_u64 s[22:23], s[22:23], s[26:27]
	s_mul_hi_u32 s9, s21, s7
	s_add_co_u32 s3, s22, s3
	s_add_co_ci_u32 s24, s23, s14
	s_mul_i32 s26, s21, s7
	s_add_co_ci_u32 s27, s9, 0
	s_delay_alu instid0(SALU_CYCLE_1) | instskip(NEXT) | instid1(SALU_CYCLE_1)
	s_add_nc_u64 s[22:23], s[24:25], s[26:27]
	s_and_b64 s[24:25], s[22:23], 0xffffffff00000000
	s_delay_alu instid0(SALU_CYCLE_1) | instskip(NEXT) | instid1(SALU_CYCLE_1)
	s_or_b32 s24, s24, s22
	s_mul_u64 s[22:23], s[10:11], s[24:25]
	s_add_nc_u64 s[26:27], s[24:25], 1
	s_sub_co_u32 s3, s20, s22
	s_cselect_b32 s7, -1, 0
	s_sub_co_i32 s9, s21, s23
	s_cmp_lg_u32 s7, 0
	s_add_nc_u64 s[28:29], s[24:25], 2
	s_sub_co_ci_u32 s9, s9, s11
	s_sub_co_u32 s14, s3, s10
	s_cselect_b32 s20, -1, 0
	s_delay_alu instid0(SALU_CYCLE_1) | instskip(SKIP_1) | instid1(SALU_CYCLE_1)
	s_cmp_lg_u32 s20, 0
	s_sub_co_ci_u32 s9, s9, 0
	s_cmp_ge_u32 s9, s11
	s_cselect_b32 s20, -1, 0
	s_cmp_ge_u32 s14, s10
	s_cselect_b32 s14, -1, 0
	s_cmp_eq_u32 s9, s11
	s_cselect_b32 s9, s14, s20
	s_delay_alu instid0(SALU_CYCLE_1) | instskip(SKIP_4) | instid1(SALU_CYCLE_1)
	s_cmp_lg_u32 s9, 0
	s_cselect_b32 s9, s28, s26
	s_cselect_b32 s14, s29, s27
	s_cmp_lg_u32 s7, 0
	s_sub_co_ci_u32 s7, s21, s23
	s_cmp_ge_u32 s7, s11
	s_cselect_b32 s20, -1, 0
	s_cmp_ge_u32 s3, s10
	s_cselect_b32 s3, -1, 0
	s_cmp_eq_u32 s7, s11
	s_cselect_b32 s3, s3, s20
	s_delay_alu instid0(SALU_CYCLE_1) | instskip(SKIP_4) | instid1(SALU_CYCLE_1)
	s_cmp_lg_u32 s3, 0
	s_mov_b32 s3, s17
	s_cselect_b32 s11, s14, s25
	s_cselect_b32 s10, s9, s24
	s_xor_b64 s[12:13], s[12:13], 0
	s_xor_b64 s[10:11], s[10:11], s[12:13]
	s_delay_alu instid0(SALU_CYCLE_1)
	s_sub_nc_u64 s[20:21], s[10:11], s[12:13]
	s_and_not1_b32 vcc_lo, exec_lo, s3
	s_cbranch_vccnz .LBB29_3
.LBB29_2:
	v_cvt_f32_u32_e32 v1, s16
	s_sub_co_i32 s7, 0, s16
	s_mov_b32 s21, 0
	s_delay_alu instid0(VALU_DEP_1) | instskip(SKIP_1) | instid1(TRANS32_DEP_1)
	v_rcp_iflag_f32_e32 v1, v1
	v_nop
	v_mul_f32_e32 v1, 0x4f7ffffe, v1
	s_delay_alu instid0(VALU_DEP_1) | instskip(NEXT) | instid1(VALU_DEP_1)
	v_cvt_u32_f32_e32 v1, v1
	v_readfirstlane_b32 s3, v1
	s_mul_i32 s7, s7, s3
	s_delay_alu instid0(SALU_CYCLE_1) | instskip(NEXT) | instid1(SALU_CYCLE_1)
	s_mul_hi_u32 s7, s3, s7
	s_add_co_i32 s3, s3, s7
	s_delay_alu instid0(SALU_CYCLE_1) | instskip(NEXT) | instid1(SALU_CYCLE_1)
	s_mul_hi_u32 s3, s8, s3
	s_mul_i32 s7, s3, s16
	s_delay_alu instid0(SALU_CYCLE_1)
	s_sub_co_i32 s7, s8, s7
	s_add_co_i32 s8, s3, 1
	s_sub_co_i32 s9, s7, s16
	s_cmp_ge_u32 s7, s16
	s_cselect_b32 s3, s8, s3
	s_cselect_b32 s7, s9, s7
	s_add_co_i32 s8, s3, 1
	s_cmp_ge_u32 s7, s16
	s_cselect_b32 s20, s8, s3
.LBB29_3:
	s_add_co_i32 s8, s2, 1
	s_delay_alu instid0(SALU_CYCLE_1) | instskip(NEXT) | instid1(SALU_CYCLE_1)
	s_ashr_i32 s9, s8, 31
	s_mul_u64 s[8:9], s[18:19], s[8:9]
	s_delay_alu instid0(SALU_CYCLE_1) | instskip(NEXT) | instid1(SALU_CYCLE_1)
	s_and_b64 s[10:11], s[8:9], 0xffffffff00000000
	s_cmp_lg_u64 s[10:11], 0
	s_cbranch_scc0 .LBB29_22
; %bb.4:
	s_add_nc_u64 s[10:11], s[16:17], 0
	s_delay_alu instid0(SALU_CYCLE_1) | instskip(SKIP_4) | instid1(SALU_CYCLE_2)
	s_xor_b64 s[12:13], s[10:11], 0
	s_mov_b32 s11, 0
	s_cvt_f32_u32 s3, s12
	s_cvt_f32_u32 s7, s13
	s_sub_nc_u64 s[24:25], 0, s[12:13]
	s_fmamk_f32 s3, s7, 0x4f800000, s3
	s_delay_alu instid0(SALU_CYCLE_3) | instskip(NEXT) | instid1(TRANS32_DEP_1)
	v_s_rcp_f32 s3, s3
	s_mul_f32 s3, s3, 0x5f7ffffc
	s_delay_alu instid0(SALU_CYCLE_3) | instskip(NEXT) | instid1(SALU_CYCLE_3)
	s_mul_f32 s7, s3, 0x2f800000
	s_trunc_f32 s7, s7
	s_delay_alu instid0(SALU_CYCLE_3) | instskip(SKIP_1) | instid1(SALU_CYCLE_2)
	s_fmamk_f32 s3, s7, 0xcf800000, s3
	s_cvt_u32_f32 s23, s7
	s_cvt_u32_f32 s22, s3
	s_delay_alu instid0(SALU_CYCLE_3) | instskip(NEXT) | instid1(SALU_CYCLE_1)
	s_mul_u64 s[26:27], s[24:25], s[22:23]
	s_mul_hi_u32 s29, s22, s27
	s_mul_i32 s28, s22, s27
	s_mul_hi_u32 s10, s22, s26
	s_mul_i32 s7, s23, s26
	s_add_nc_u64 s[28:29], s[10:11], s[28:29]
	s_mul_hi_u32 s3, s23, s26
	s_mul_hi_u32 s14, s23, s27
	s_add_co_u32 s7, s28, s7
	s_add_co_ci_u32 s10, s29, s3
	s_mul_i32 s26, s23, s27
	s_add_co_ci_u32 s27, s14, 0
	s_delay_alu instid0(SALU_CYCLE_1) | instskip(NEXT) | instid1(SALU_CYCLE_1)
	s_add_nc_u64 s[26:27], s[10:11], s[26:27]
	s_add_co_u32 s22, s22, s26
	s_cselect_b32 s3, -1, 0
	s_delay_alu instid0(SALU_CYCLE_1) | instskip(SKIP_1) | instid1(SALU_CYCLE_1)
	s_cmp_lg_u32 s3, 0
	s_add_co_ci_u32 s23, s23, s27
	s_mul_u64 s[24:25], s[24:25], s[22:23]
	s_delay_alu instid0(SALU_CYCLE_1)
	s_mul_hi_u32 s27, s22, s25
	s_mul_i32 s26, s22, s25
	s_mul_hi_u32 s10, s22, s24
	s_mul_i32 s7, s23, s24
	s_add_nc_u64 s[26:27], s[10:11], s[26:27]
	s_mul_hi_u32 s3, s23, s24
	s_mul_hi_u32 s14, s23, s25
	s_add_co_u32 s7, s26, s7
	s_add_co_ci_u32 s10, s27, s3
	s_mul_i32 s24, s23, s25
	s_add_co_ci_u32 s25, s14, 0
	s_delay_alu instid0(SALU_CYCLE_1) | instskip(NEXT) | instid1(SALU_CYCLE_1)
	s_add_nc_u64 s[24:25], s[10:11], s[24:25]
	s_add_co_u32 s3, s22, s24
	s_cselect_b32 s7, -1, 0
	s_delay_alu instid0(SALU_CYCLE_1) | instskip(SKIP_2) | instid1(SALU_CYCLE_1)
	s_cmp_lg_u32 s7, 0
	s_add_co_ci_u32 s7, s23, s25
	s_ashr_i32 s22, s9, 31
	s_mov_b32 s23, s22
	s_delay_alu instid0(SALU_CYCLE_1) | instskip(NEXT) | instid1(SALU_CYCLE_1)
	s_add_nc_u64 s[24:25], s[8:9], s[22:23]
	s_xor_b64 s[24:25], s[24:25], s[22:23]
	s_delay_alu instid0(SALU_CYCLE_1)
	s_mul_hi_u32 s27, s24, s7
	s_mul_i32 s26, s24, s7
	s_mul_hi_u32 s10, s24, s3
	s_mul_hi_u32 s14, s25, s3
	s_mul_i32 s3, s25, s3
	s_add_nc_u64 s[26:27], s[10:11], s[26:27]
	s_mul_hi_u32 s9, s25, s7
	s_add_co_u32 s3, s26, s3
	s_add_co_ci_u32 s10, s27, s14
	s_mul_i32 s28, s25, s7
	s_add_co_ci_u32 s29, s9, 0
	s_delay_alu instid0(SALU_CYCLE_1) | instskip(NEXT) | instid1(SALU_CYCLE_1)
	s_add_nc_u64 s[26:27], s[10:11], s[28:29]
	s_and_b64 s[28:29], s[26:27], 0xffffffff00000000
	s_delay_alu instid0(SALU_CYCLE_1) | instskip(NEXT) | instid1(SALU_CYCLE_1)
	s_or_b32 s28, s28, s26
	s_mul_u64 s[26:27], s[12:13], s[28:29]
	s_add_nc_u64 s[30:31], s[28:29], 1
	s_sub_co_u32 s3, s24, s26
	s_cselect_b32 s7, -1, 0
	s_sub_co_i32 s9, s25, s27
	s_cmp_lg_u32 s7, 0
	s_add_nc_u64 s[34:35], s[28:29], 2
	s_sub_co_ci_u32 s9, s9, s13
	s_sub_co_u32 s10, s3, s12
	s_cselect_b32 s14, -1, 0
	s_delay_alu instid0(SALU_CYCLE_1) | instskip(SKIP_1) | instid1(SALU_CYCLE_1)
	s_cmp_lg_u32 s14, 0
	s_sub_co_ci_u32 s9, s9, 0
	s_cmp_ge_u32 s9, s13
	s_cselect_b32 s14, -1, 0
	s_cmp_ge_u32 s10, s12
	s_cselect_b32 s10, -1, 0
	s_cmp_eq_u32 s9, s13
	s_cselect_b32 s9, s10, s14
	s_delay_alu instid0(SALU_CYCLE_1) | instskip(SKIP_4) | instid1(SALU_CYCLE_1)
	s_cmp_lg_u32 s9, 0
	s_cselect_b32 s9, s34, s30
	s_cselect_b32 s10, s35, s31
	s_cmp_lg_u32 s7, 0
	s_sub_co_ci_u32 s7, s25, s27
	s_cmp_ge_u32 s7, s13
	s_cselect_b32 s14, -1, 0
	s_cmp_ge_u32 s3, s12
	s_cselect_b32 s3, -1, 0
	s_cmp_eq_u32 s7, s13
	s_cselect_b32 s3, s3, s14
	s_delay_alu instid0(SALU_CYCLE_1) | instskip(SKIP_3) | instid1(SALU_CYCLE_1)
	s_cmp_lg_u32 s3, 0
	s_cselect_b32 s13, s10, s29
	s_cselect_b32 s12, s9, s28
	s_xor_b64 s[22:23], s[22:23], 0
	s_xor_b64 s[12:13], s[12:13], s[22:23]
	s_delay_alu instid0(SALU_CYCLE_1)
	s_sub_nc_u64 s[24:25], s[12:13], s[22:23]
	s_load_b96 s[12:14], s[0:1], 0x44
	s_cbranch_execnz .LBB29_6
.LBB29_5:
	v_cvt_f32_u32_e32 v1, s16
	s_sub_co_i32 s7, 0, s16
	s_delay_alu instid0(VALU_DEP_1) | instskip(SKIP_1) | instid1(TRANS32_DEP_1)
	v_rcp_iflag_f32_e32 v1, v1
	v_nop
	v_mul_f32_e32 v1, 0x4f7ffffe, v1
	s_delay_alu instid0(VALU_DEP_1) | instskip(NEXT) | instid1(VALU_DEP_1)
	v_cvt_u32_f32_e32 v1, v1
	v_readfirstlane_b32 s3, v1
	s_mul_i32 s7, s7, s3
	s_delay_alu instid0(SALU_CYCLE_1) | instskip(NEXT) | instid1(SALU_CYCLE_1)
	s_mul_hi_u32 s7, s3, s7
	s_add_co_i32 s3, s3, s7
	s_delay_alu instid0(SALU_CYCLE_1) | instskip(NEXT) | instid1(SALU_CYCLE_1)
	s_mul_hi_u32 s3, s8, s3
	s_mul_i32 s7, s3, s16
	s_delay_alu instid0(SALU_CYCLE_1)
	s_sub_co_i32 s7, s8, s7
	s_add_co_i32 s8, s3, 1
	s_sub_co_i32 s9, s7, s16
	s_cmp_ge_u32 s7, s16
	s_cselect_b32 s3, s8, s3
	s_cselect_b32 s7, s9, s7
	s_add_co_i32 s8, s3, 1
	s_cmp_ge_u32 s7, s16
	s_cselect_b32 s24, s8, s3
.LBB29_6:
	s_delay_alu instid0(SALU_CYCLE_1)
	s_cmp_eq_u32 s20, s24
	s_mov_b64 s[8:9], 0xffffffff
	s_cselect_b32 s3, -1, 0
	s_and_b64 s[8:9], s[20:21], s[8:9]
	s_mov_b32 s23, 0
	s_wait_kmcnt 0x0
	s_mov_b32 s22, s12
	s_mov_b32 s25, s23
	s_mul_u64 s[10:11], s[8:9], s[22:23]
	s_delay_alu instid0(SALU_CYCLE_1) | instskip(SKIP_2) | instid1(SALU_CYCLE_1)
	s_add_co_i32 s7, s11, s20
	s_mul_u64 s[10:11], s[24:25], s[22:23]
	s_lshr_b32 s12, s7, s13
	s_mul_i32 s7, s12, s14
	s_delay_alu instid0(SALU_CYCLE_1) | instskip(SKIP_2) | instid1(SALU_CYCLE_1)
	s_cmp_eq_u32 s7, s20
	s_cselect_b32 s7, -1, 0
	s_add_co_i32 s10, s11, s24
	s_lshr_b32 s10, s10, s13
	s_delay_alu instid0(SALU_CYCLE_1)
	s_cmp_eq_u32 s12, s10
	s_mul_i32 s10, s10, s14
	s_cselect_b32 s11, -1, 0
	s_cmp_lg_u32 s10, s24
	s_cselect_b32 s10, -1, 0
	s_or_b32 s3, s3, s7
	s_and_b32 s10, s11, s10
	s_delay_alu instid0(SALU_CYCLE_1) | instskip(NEXT) | instid1(SALU_CYCLE_1)
	s_or_b32 s3, s3, s10
	s_and_b32 vcc_lo, exec_lo, s3
	s_cbranch_vccnz .LBB29_24
; %bb.7:
	s_load_b256 s[24:31], s[0:1], 0x20
	s_bfe_u32 s7, ttmp6, 0x40014
	s_bfe_u32 s33, ttmp6, 0x40010
	s_lshr_b32 s3, ttmp7, 16
	s_add_co_i32 s7, s7, 1
	s_and_b32 s21, ttmp7, 0xffff
	s_add_co_i32 s33, s33, 1
	s_bfe_u32 s10, ttmp6, 0x40008
	s_mul_i32 s7, s3, s7
	s_bfe_u32 s34, ttmp6, 0x40004
	s_mul_i32 s33, s21, s33
	s_mov_b32 s11, s23
	s_add_co_i32 s35, s10, s7
	s_add_co_i32 s34, s34, s33
	s_cmp_eq_u32 s15, 0
	s_cselect_b32 s7, s21, s34
	s_cselect_b32 s3, s3, s35
	s_wait_kmcnt 0x0
	s_mov_b32 s10, s24
	s_delay_alu instid0(SALU_CYCLE_1) | instskip(NEXT) | instid1(SALU_CYCLE_1)
	s_mul_u64 s[8:9], s[8:9], s[10:11]
	s_add_co_i32 s8, s9, s20
	s_load_b32 s9, s[0:1], 0x40
	s_lshr_b32 s8, s8, s25
	s_delay_alu instid0(SALU_CYCLE_1) | instskip(NEXT) | instid1(SALU_CYCLE_1)
	s_mul_i32 s10, s8, s26
	s_sub_co_i32 s10, s20, s10
	s_delay_alu instid0(SALU_CYCLE_1) | instskip(NEXT) | instid1(SALU_CYCLE_1)
	s_mul_hi_u32 s11, s10, s27
	s_add_co_i32 s11, s10, s11
	s_delay_alu instid0(SALU_CYCLE_1) | instskip(NEXT) | instid1(SALU_CYCLE_1)
	s_lshr_b32 s15, s11, s28
	s_mul_i32 s11, s15, s29
	s_delay_alu instid0(SALU_CYCLE_1) | instskip(NEXT) | instid1(SALU_CYCLE_1)
	s_sub_co_i32 s10, s10, s11
	s_mul_hi_u32 s11, s10, s30
	s_delay_alu instid0(SALU_CYCLE_1) | instskip(NEXT) | instid1(SALU_CYCLE_1)
	s_add_co_i32 s11, s10, s11
	s_lshr_b32 s26, s11, s31
	s_mov_b32 s11, s23
	s_wait_kmcnt 0x0
	s_mul_i32 s9, s26, s9
	s_delay_alu instid0(SALU_CYCLE_1) | instskip(NEXT) | instid1(SALU_CYCLE_1)
	s_sub_co_i32 s10, s10, s9
	s_mul_u64 s[24:25], s[10:11], s[22:23]
	s_lshl_b32 s24, s26, 2
	s_add_co_i32 s9, s10, s25
	s_delay_alu instid0(SALU_CYCLE_1) | instskip(NEXT) | instid1(SALU_CYCLE_1)
	s_lshr_b32 s21, s9, s13
	s_lshl_b32 s9, s21, 1
	s_delay_alu instid0(SALU_CYCLE_1) | instskip(NEXT) | instid1(SALU_CYCLE_1)
	s_add_co_i32 s9, s9, s7
	s_cmp_lt_i32 s9, s4
	s_cselect_b32 s9, -1, 0
	s_add_co_i32 s10, s24, s3
	s_delay_alu instid0(SALU_CYCLE_1) | instskip(SKIP_1) | instid1(SALU_CYCLE_1)
	s_cmp_lt_i32 s10, s6
	s_cselect_b32 s10, -1, 0
	s_and_b32 s9, s9, s10
	s_delay_alu instid0(SALU_CYCLE_1)
	s_and_not1_b32 vcc_lo, exec_lo, s9
	s_cbranch_vccnz .LBB29_24
; %bb.8:
	s_mul_i32 s4, s8, s4
	s_load_b128 s[8:11], s[0:1], 0x0
	s_wait_xcnt 0x0
	s_add_co_i32 s0, s4, s7
	s_mul_i32 s15, s15, s6
	s_mul_i32 s0, s0, s5
	;; [unrolled: 1-line block ×3, first 2 shown]
	s_add_co_i32 s0, s0, s3
	s_lshl_b32 s1, s1, 7
	s_add_co_i32 s0, s0, s15
	s_lshl_b32 s15, s7, 2
	s_add_co_i32 s0, s0, s24
	s_add_co_i32 s15, s15, s3
	s_lshl_b32 s0, s0, 6
	v_lshl_or_b32 v6, s15, 6, v0
	s_add_co_i32 s1, s1, s0
	v_cvt_f32_u32_e32 v4, s16
	v_or_b32_e32 v2, s1, v0
	s_add_nc_u64 s[0:1], s[16:17], 0
	s_lshl_b32 s24, s16, 5
	s_xor_b64 s[6:7], s[0:1], 0
	s_lshl_b32 s0, s2, 3
	s_cvt_f32_u32 s3, s6
	s_add_co_i32 s0, s15, s0
	s_cvt_f32_u32 s4, s7
	s_ashr_i32 s1, s0, 31
	v_rcp_iflag_f32_e32 v4, v4
	s_lshl_b64 s[0:1], s[0:1], 3
	s_fmamk_f32 s3, s4, 0x4f800000, s3
	s_wait_kmcnt 0x0
	s_add_nc_u64 s[0:1], s[10:11], s[0:1]
	s_mov_b32 s25, 0
	s_load_b64 s[28:29], s[0:1], 0x0
	v_s_rcp_f32 s3, s3
	s_wait_xcnt 0x0
	s_lshl_b64 s[0:1], s[24:25], 2
	s_add_co_i32 s36, s2, -1
	s_add_nc_u64 s[26:27], s[10:11], s[0:1]
	s_sub_nc_u64 s[34:35], 0, s[6:7]
	v_mul_f32_e32 v4, 0x4f7ffffe, v4
	s_delay_alu instid0(TRANS32_DEP_1) | instskip(NEXT) | instid1(VALU_DEP_1)
	s_mul_f32 s3, s3, 0x5f7ffffc
	v_cvt_u32_f32_e32 v7, v4
	s_delay_alu instid0(SALU_CYCLE_2) | instskip(NEXT) | instid1(SALU_CYCLE_3)
	s_mul_f32 s4, s3, 0x2f800000
	s_trunc_f32 s4, s4
	s_wait_kmcnt 0x0
	v_mov_b32_e32 v0, s29
	global_load_b32 v1, v2, s[8:9] scale_offset
	v_ashrrev_i32_e32 v3, 31, v2
	s_fmamk_f32 s0, s4, 0xcf800000, s3
	s_cvt_u32_f32 s31, s4
	s_wait_xcnt 0x0
	s_delay_alu instid0(VALU_DEP_1)
	v_lshl_add_u64 v[2:3], v[2:3], 2, s[8:9]
	s_cvt_u32_f32 s30, s0
	s_mov_b64 s[8:9], 0xffffffff
.LBB29_9:                               ; =>This Inner Loop Header: Depth=1
	s_ashr_i32 s37, s36, 31
                                        ; implicit-def: $sgpr40_sgpr41
	s_delay_alu instid0(SALU_CYCLE_1) | instskip(NEXT) | instid1(SALU_CYCLE_1)
	s_mul_u64 s[0:1], s[36:37], s[18:19]
	s_and_b64 s[2:3], s[0:1], 0xffffffff00000000
	s_delay_alu instid0(SALU_CYCLE_1)
	s_cmp_lg_u64 s[2:3], 0
	s_mov_b32 s2, -1
	s_cbranch_scc0 .LBB29_11
; %bb.10:                               ;   in Loop: Header=BB29_9 Depth=1
	s_mul_u64 s[2:3], s[34:35], s[30:31]
	s_delay_alu instid0(SALU_CYCLE_1)
	s_mul_hi_u32 s5, s30, s3
	s_mul_i32 s4, s30, s3
	s_mul_hi_u32 s24, s30, s2
	s_mul_hi_u32 s17, s31, s2
	s_add_nc_u64 s[4:5], s[24:25], s[4:5]
	s_mul_i32 s2, s31, s2
	s_mul_hi_u32 s21, s31, s3
	s_add_co_u32 s2, s4, s2
	s_add_co_ci_u32 s24, s5, s17
	s_add_co_ci_u32 s5, s21, 0
	s_mul_i32 s4, s31, s3
	s_delay_alu instid0(SALU_CYCLE_1) | instskip(NEXT) | instid1(SALU_CYCLE_1)
	s_add_nc_u64 s[2:3], s[24:25], s[4:5]
	s_add_co_u32 s2, s30, s2
	s_cselect_b32 s4, -1, 0
	s_delay_alu instid0(SALU_CYCLE_1) | instskip(SKIP_1) | instid1(SALU_CYCLE_1)
	s_cmp_lg_u32 s4, 0
	s_add_co_ci_u32 s3, s31, s3
	s_mul_u64 s[4:5], s[34:35], s[2:3]
	s_delay_alu instid0(SALU_CYCLE_1)
	s_mul_hi_u32 s39, s2, s5
	s_mul_i32 s38, s2, s5
	s_mul_hi_u32 s24, s2, s4
	s_mul_hi_u32 s17, s3, s4
	s_mul_i32 s4, s3, s4
	s_add_nc_u64 s[38:39], s[24:25], s[38:39]
	s_mul_hi_u32 s21, s3, s5
	s_add_co_u32 s4, s38, s4
	s_add_co_ci_u32 s24, s39, s17
	s_mul_i32 s4, s3, s5
	s_add_co_ci_u32 s5, s21, 0
	s_delay_alu instid0(SALU_CYCLE_1) | instskip(NEXT) | instid1(SALU_CYCLE_1)
	s_add_nc_u64 s[4:5], s[24:25], s[4:5]
	s_add_co_u32 s17, s2, s4
	s_cselect_b32 s2, -1, 0
	s_delay_alu instid0(SALU_CYCLE_1) | instskip(SKIP_2) | instid1(SALU_CYCLE_1)
	s_cmp_lg_u32 s2, 0
	s_add_co_ci_u32 s21, s3, s5
	s_ashr_i32 s2, s1, 31
	s_mov_b32 s3, s2
	s_delay_alu instid0(SALU_CYCLE_1) | instskip(NEXT) | instid1(SALU_CYCLE_1)
	s_add_nc_u64 s[4:5], s[0:1], s[2:3]
	s_xor_b64 s[4:5], s[4:5], s[2:3]
	s_delay_alu instid0(SALU_CYCLE_1)
	s_mul_hi_u32 s39, s4, s21
	s_mul_i32 s38, s4, s21
	s_mul_hi_u32 s24, s4, s17
	s_mul_hi_u32 s29, s5, s17
	s_mul_i32 s17, s5, s17
	s_add_nc_u64 s[38:39], s[24:25], s[38:39]
	s_mul_hi_u32 s1, s5, s21
	s_add_co_u32 s17, s38, s17
	s_add_co_ci_u32 s24, s39, s29
	s_mul_i32 s40, s5, s21
	s_add_co_ci_u32 s41, s1, 0
	s_delay_alu instid0(SALU_CYCLE_1) | instskip(NEXT) | instid1(SALU_CYCLE_1)
	s_add_nc_u64 s[38:39], s[24:25], s[40:41]
	s_and_b64 s[40:41], s[38:39], 0xffffffff00000000
	s_delay_alu instid0(SALU_CYCLE_1) | instskip(NEXT) | instid1(SALU_CYCLE_1)
	s_or_b32 s40, s40, s38
	s_mul_u64 s[38:39], s[6:7], s[40:41]
	s_add_nc_u64 s[42:43], s[40:41], 1
	s_sub_co_u32 s1, s4, s38
	s_cselect_b32 s4, -1, 0
	s_sub_co_i32 s17, s5, s39
	s_cmp_lg_u32 s4, 0
	s_add_nc_u64 s[44:45], s[40:41], 2
	s_sub_co_ci_u32 s17, s17, s7
	s_sub_co_u32 s21, s1, s6
	s_cselect_b32 s24, -1, 0
	s_delay_alu instid0(SALU_CYCLE_1) | instskip(SKIP_1) | instid1(SALU_CYCLE_1)
	s_cmp_lg_u32 s24, 0
	s_sub_co_ci_u32 s17, s17, 0
	s_cmp_ge_u32 s17, s7
	s_cselect_b32 s24, -1, 0
	s_cmp_ge_u32 s21, s6
	s_cselect_b32 s21, -1, 0
	s_cmp_eq_u32 s17, s7
	s_cselect_b32 s17, s21, s24
	s_delay_alu instid0(SALU_CYCLE_1) | instskip(SKIP_4) | instid1(SALU_CYCLE_1)
	s_cmp_lg_u32 s17, 0
	s_cselect_b32 s17, s44, s42
	s_cselect_b32 s21, s45, s43
	s_cmp_lg_u32 s4, 0
	s_sub_co_ci_u32 s4, s5, s39
	s_cmp_ge_u32 s4, s7
	s_cselect_b32 s5, -1, 0
	s_cmp_ge_u32 s1, s6
	s_cselect_b32 s1, -1, 0
	s_cmp_eq_u32 s4, s7
	s_cselect_b32 s1, s1, s5
	s_delay_alu instid0(SALU_CYCLE_1) | instskip(SKIP_3) | instid1(SALU_CYCLE_1)
	s_cmp_lg_u32 s1, 0
	s_cselect_b32 s5, s21, s41
	s_cselect_b32 s4, s17, s40
	s_xor_b64 s[2:3], s[2:3], 0
	s_xor_b64 s[4:5], s[4:5], s[2:3]
	s_delay_alu instid0(SALU_CYCLE_1)
	s_sub_nc_u64 s[40:41], s[4:5], s[2:3]
	s_mov_b32 s2, 0
.LBB29_11:                              ;   in Loop: Header=BB29_9 Depth=1
	s_delay_alu instid0(SALU_CYCLE_1)
	s_and_not1_b32 vcc_lo, exec_lo, s2
	s_cbranch_vccnz .LBB29_13
; %bb.12:                               ;   in Loop: Header=BB29_9 Depth=1
	v_readfirstlane_b32 s1, v7
	s_sub_co_i32 s2, 0, s16
	s_delay_alu instid0(SALU_CYCLE_1) | instskip(NEXT) | instid1(SALU_CYCLE_1)
	s_mul_i32 s2, s2, s1
	s_mul_hi_u32 s2, s1, s2
	s_delay_alu instid0(SALU_CYCLE_1) | instskip(NEXT) | instid1(SALU_CYCLE_1)
	s_add_co_i32 s1, s1, s2
	s_mul_hi_u32 s1, s0, s1
	s_delay_alu instid0(SALU_CYCLE_1) | instskip(NEXT) | instid1(SALU_CYCLE_1)
	s_mul_i32 s2, s1, s16
	s_sub_co_i32 s0, s0, s2
	s_add_co_i32 s2, s1, 1
	s_sub_co_i32 s3, s0, s16
	s_cmp_ge_u32 s0, s16
	s_cselect_b32 s1, s2, s1
	s_cselect_b32 s0, s3, s0
	s_add_co_i32 s2, s1, 1
	s_cmp_ge_u32 s0, s16
	s_cselect_b32 s24, s2, s1
	s_delay_alu instid0(SALU_CYCLE_1)
	s_mov_b64 s[40:41], s[24:25]
.LBB29_13:                              ;   in Loop: Header=BB29_9 Depth=1
	s_delay_alu instid0(SALU_CYCLE_1)
	s_cmp_lg_u32 s20, s40
	s_mov_b32 s0, -1
                                        ; implicit-def: $vgpr4_vgpr5
                                        ; implicit-def: $sgpr24
                                        ; implicit-def: $sgpr17
                                        ; implicit-def: $sgpr21
                                        ; implicit-def: $sgpr29
	s_cbranch_scc0 .LBB29_18
; %bb.14:                               ;   in Loop: Header=BB29_9 Depth=1
	s_add_co_i32 s0, s36, s16
	v_max_num_f32_e64 v4, s28, s28
	s_lshl_b32 s0, s0, 3
	s_mov_b32 s29, s20
	s_add_co_i32 s0, s0, s15
	s_load_b64 s[38:39], s[10:11], s0 offset:0x0 scale_offset
	s_wait_xcnt 0x0
	v_readfirstlane_b32 s0, v4
	s_wait_kmcnt 0x0
	v_max_num_f32_e64 v5, s38, s38
	s_delay_alu instid0(VALU_DEP_1) | instskip(SKIP_1) | instid1(SALU_CYCLE_3)
	v_readfirstlane_b32 s1, v5
	s_max_num_f32 s17, s0, s1
	s_sub_f32 s33, s28, s17
	s_sub_f32 s37, s38, s17
	s_delay_alu instid0(SALU_CYCLE_2)
	s_cmp_nlt_f32 s33, 0xc2ce8ed0
	s_cselect_b32 s1, -1, 0
	s_cmp_ngt_f32 s33, 0x42b17218
	s_cselect_b32 s2, -1, 0
	s_cmp_ge_f32 s33, 0xc1a00000
	s_cselect_b32 s0, -1, 0
	s_cmp_nlt_f32 s37, 0xc2ce8ed0
	s_cselect_b32 s3, -1, 0
	s_cmp_ngt_f32 s37, 0x42b17218
	s_cselect_b32 s4, -1, 0
	s_cmp_ge_f32 s37, 0xc1a00000
	s_cselect_b32 s5, -1, 0
	s_and_b64 s[42:43], s[40:41], s[8:9]
	s_delay_alu instid0(SALU_CYCLE_1) | instskip(NEXT) | instid1(SALU_CYCLE_1)
	s_mul_u64 s[42:43], s[42:43], s[22:23]
	s_add_co_i32 s21, s43, s40
	s_delay_alu instid0(SALU_CYCLE_1) | instskip(NEXT) | instid1(SALU_CYCLE_1)
	s_lshr_b32 s21, s21, s13
	s_mul_i32 s24, s21, s14
	s_delay_alu instid0(SALU_CYCLE_1) | instskip(SKIP_3) | instid1(SALU_CYCLE_1)
	s_cmp_eq_u32 s24, s40
	s_cselect_b32 s24, -1, 0
	s_cmp_lt_u32 s21, s12
	s_cselect_b32 s21, -1, 0
	s_or_b32 s21, s21, s24
	s_mov_b32 s24, -1
	s_and_b32 vcc_lo, exec_lo, s21
	s_mov_b32 s21, s36
	s_cbranch_vccnz .LBB29_16
; %bb.15:                               ;   in Loop: Header=BB29_9 Depth=1
	s_add_co_i32 s21, s36, -1
	s_mov_b32 s24, 0
	s_mov_b32 s29, s40
.LBB29_16:                              ;   in Loop: Header=BB29_9 Depth=1
	v_lshl_add_u32 v4, s36, 9, v6
	s_mul_f32 s40, s33, 0x3fb8aa3b
	s_mul_f32 s38, s37, 0x3fb8aa3b
	s_delay_alu instid0(SALU_CYCLE_2)
	s_xor_b32 s42, s40, 0x80000000
	global_load_b32 v5, v4, s[26:27] scale_offset
	s_fmamk_f32 s42, s33, 0x3fb8aa3b, s42
	s_rndne_f32 s44, s40
	s_xor_b32 s41, s38, 0x80000000
	s_rndne_f32 s43, s38
	s_fmamk_f32 s33, s33, 0x32a5705f, s42
	s_sub_f32 s40, s40, s44
	s_fmamk_f32 s41, s37, 0x3fb8aa3b, s41
	s_sub_f32 s38, s38, s43
	s_delay_alu instid0(SALU_CYCLE_1) | instskip(NEXT) | instid1(SALU_CYCLE_1)
	s_add_f32 s33, s40, s33
	s_fmamk_f32 s37, s37, 0x32a5705f, s41
	s_cvt_i32_f32 s40, s44
	s_delay_alu instid0(SALU_CYCLE_1) | instskip(NEXT) | instid1(SALU_CYCLE_1)
	v_s_exp_f32 s33, s33
	s_add_f32 s37, s38, s37
	s_cvt_i32_f32 s38, s43
	s_delay_alu instid0(SALU_CYCLE_2) | instskip(NEXT) | instid1(TRANS32_DEP_2)
	v_s_exp_f32 s37, s37
	v_ldexp_f32 v8, s33, s40
	s_wait_xcnt 0x0
	s_delay_alu instid0(TRANS32_DEP_1) | instskip(NEXT) | instid1(VALU_DEP_2)
	v_ldexp_f32 v4, s37, s38
	v_cndmask_b32_e64 v8, 0, v8, s1
	s_delay_alu instid0(VALU_DEP_1) | instskip(NEXT) | instid1(VALU_DEP_1)
	v_cndmask_b32_e64 v9, 0x7f800000, v8, s2
	v_dual_cndmask_b32 v4, 0, v4, s3 :: v_dual_cndmask_b32 v10, 0, v9, s0
	s_delay_alu instid0(VALU_DEP_1) | instskip(NEXT) | instid1(VALU_DEP_1)
	v_cndmask_b32_e64 v4, 0x7f800000, v4, s4
	v_dual_cndmask_b32 v8, 0, v4, s5 :: v_dual_mov_b32 v4, s39
	s_wait_loadcnt 0x0
	s_delay_alu instid0(VALU_DEP_1) | instskip(NEXT) | instid1(VALU_DEP_1)
	v_pk_mul_f32 v[4:5], v[4:5], v[8:9] op_sel_hi:[1,0]
	v_pk_fma_f32 v[4:5], v[0:1], v[10:11], v[4:5] op_sel_hi:[1,0,1]
	s_cbranch_execz .LBB29_19
.LBB29_17:                              ;   in Loop: Header=BB29_9 Depth=1
	s_and_not1_b32 vcc_lo, exec_lo, s24
	s_cbranch_vccnz .LBB29_20
	s_branch .LBB29_23
.LBB29_18:                              ;   in Loop: Header=BB29_9 Depth=1
	s_and_not1_b32 vcc_lo, exec_lo, s0
	s_cbranch_vccnz .LBB29_17
.LBB29_19:                              ;   in Loop: Header=BB29_9 Depth=1
	s_wait_loadcnt 0x0
	v_mov_b64_e32 v[4:5], v[0:1]
	s_add_co_i32 s21, s36, -1
	s_mov_b32 s29, s20
	s_mov_b32 s17, s28
	s_cbranch_execz .LBB29_23
.LBB29_20:                              ;   in Loop: Header=BB29_9 Depth=1
	s_wait_loadcnt 0x0
	s_delay_alu instid0(VALU_DEP_1)
	v_mov_b64_e32 v[0:1], v[4:5]
	s_mov_b32 s20, s29
	s_mov_b32 s36, s21
	;; [unrolled: 1-line block ×3, first 2 shown]
	s_branch .LBB29_9
.LBB29_21:
                                        ; implicit-def: $sgpr20_sgpr21
	s_branch .LBB29_2
.LBB29_22:
                                        ; implicit-def: $sgpr24_sgpr25
	s_load_b96 s[12:14], s[0:1], 0x44
	s_branch .LBB29_5
.LBB29_23:
	s_delay_alu instid0(VALU_DEP_1) | instskip(SKIP_1) | instid1(VALU_DEP_1)
	v_div_scale_f32 v0, null, v4, v4, v5
	s_wait_loadcnt 0x0
	v_rcp_f32_e32 v1, v0
	v_nop
	s_delay_alu instid0(TRANS32_DEP_1) | instskip(NEXT) | instid1(VALU_DEP_1)
	v_fma_f32 v6, -v0, v1, 1.0
	v_fmac_f32_e32 v1, v6, v1
	v_div_scale_f32 v6, vcc_lo, v5, v4, v5
	s_delay_alu instid0(VALU_DEP_1) | instskip(NEXT) | instid1(VALU_DEP_1)
	v_mul_f32_e32 v7, v6, v1
	v_fma_f32 v8, -v0, v7, v6
	s_delay_alu instid0(VALU_DEP_1) | instskip(NEXT) | instid1(VALU_DEP_1)
	v_fmac_f32_e32 v7, v8, v1
	v_fma_f32 v0, -v0, v7, v6
	s_delay_alu instid0(VALU_DEP_1) | instskip(NEXT) | instid1(VALU_DEP_1)
	v_div_fmas_f32 v0, v0, v1, v7
	v_div_fixup_f32 v0, v0, v4, v5
	global_store_b32 v[2:3], v0, off
.LBB29_24:
	s_endpgm
	.section	.rodata,"a",@progbits
	.p2align	6, 0x0
	.amdhsa_kernel _ZL33flash_attn_stream_k_fixup_generalILi64ELi2ELi4EEvPfPK15HIP_vector_typeIfLj2EEiiiiS1_IjLj3EES5_S5_S5_
		.amdhsa_group_segment_fixed_size 0
		.amdhsa_private_segment_fixed_size 0
		.amdhsa_kernarg_size 336
		.amdhsa_user_sgpr_count 2
		.amdhsa_user_sgpr_dispatch_ptr 0
		.amdhsa_user_sgpr_queue_ptr 0
		.amdhsa_user_sgpr_kernarg_segment_ptr 1
		.amdhsa_user_sgpr_dispatch_id 0
		.amdhsa_user_sgpr_kernarg_preload_length 0
		.amdhsa_user_sgpr_kernarg_preload_offset 0
		.amdhsa_user_sgpr_private_segment_size 0
		.amdhsa_wavefront_size32 1
		.amdhsa_uses_dynamic_stack 0
		.amdhsa_enable_private_segment 0
		.amdhsa_system_sgpr_workgroup_id_x 1
		.amdhsa_system_sgpr_workgroup_id_y 1
		.amdhsa_system_sgpr_workgroup_id_z 1
		.amdhsa_system_sgpr_workgroup_info 0
		.amdhsa_system_vgpr_workitem_id 0
		.amdhsa_next_free_vgpr 12
		.amdhsa_next_free_sgpr 46
		.amdhsa_named_barrier_count 0
		.amdhsa_reserve_vcc 1
		.amdhsa_float_round_mode_32 0
		.amdhsa_float_round_mode_16_64 0
		.amdhsa_float_denorm_mode_32 3
		.amdhsa_float_denorm_mode_16_64 3
		.amdhsa_fp16_overflow 0
		.amdhsa_memory_ordered 1
		.amdhsa_forward_progress 1
		.amdhsa_inst_pref_size 27
		.amdhsa_round_robin_scheduling 0
		.amdhsa_exception_fp_ieee_invalid_op 0
		.amdhsa_exception_fp_denorm_src 0
		.amdhsa_exception_fp_ieee_div_zero 0
		.amdhsa_exception_fp_ieee_overflow 0
		.amdhsa_exception_fp_ieee_underflow 0
		.amdhsa_exception_fp_ieee_inexact 0
		.amdhsa_exception_int_div_zero 0
	.end_amdhsa_kernel
	.section	.text._ZL33flash_attn_stream_k_fixup_generalILi64ELi2ELi4EEvPfPK15HIP_vector_typeIfLj2EEiiiiS1_IjLj3EES5_S5_S5_,"axG",@progbits,_ZL33flash_attn_stream_k_fixup_generalILi64ELi2ELi4EEvPfPK15HIP_vector_typeIfLj2EEiiiiS1_IjLj3EES5_S5_S5_,comdat
.Lfunc_end29:
	.size	_ZL33flash_attn_stream_k_fixup_generalILi64ELi2ELi4EEvPfPK15HIP_vector_typeIfLj2EEiiiiS1_IjLj3EES5_S5_S5_, .Lfunc_end29-_ZL33flash_attn_stream_k_fixup_generalILi64ELi2ELi4EEvPfPK15HIP_vector_typeIfLj2EEiiiiS1_IjLj3EES5_S5_S5_
                                        ; -- End function
	.set _ZL33flash_attn_stream_k_fixup_generalILi64ELi2ELi4EEvPfPK15HIP_vector_typeIfLj2EEiiiiS1_IjLj3EES5_S5_S5_.num_vgpr, 12
	.set _ZL33flash_attn_stream_k_fixup_generalILi64ELi2ELi4EEvPfPK15HIP_vector_typeIfLj2EEiiiiS1_IjLj3EES5_S5_S5_.num_agpr, 0
	.set _ZL33flash_attn_stream_k_fixup_generalILi64ELi2ELi4EEvPfPK15HIP_vector_typeIfLj2EEiiiiS1_IjLj3EES5_S5_S5_.numbered_sgpr, 46
	.set _ZL33flash_attn_stream_k_fixup_generalILi64ELi2ELi4EEvPfPK15HIP_vector_typeIfLj2EEiiiiS1_IjLj3EES5_S5_S5_.num_named_barrier, 0
	.set _ZL33flash_attn_stream_k_fixup_generalILi64ELi2ELi4EEvPfPK15HIP_vector_typeIfLj2EEiiiiS1_IjLj3EES5_S5_S5_.private_seg_size, 0
	.set _ZL33flash_attn_stream_k_fixup_generalILi64ELi2ELi4EEvPfPK15HIP_vector_typeIfLj2EEiiiiS1_IjLj3EES5_S5_S5_.uses_vcc, 1
	.set _ZL33flash_attn_stream_k_fixup_generalILi64ELi2ELi4EEvPfPK15HIP_vector_typeIfLj2EEiiiiS1_IjLj3EES5_S5_S5_.uses_flat_scratch, 0
	.set _ZL33flash_attn_stream_k_fixup_generalILi64ELi2ELi4EEvPfPK15HIP_vector_typeIfLj2EEiiiiS1_IjLj3EES5_S5_S5_.has_dyn_sized_stack, 0
	.set _ZL33flash_attn_stream_k_fixup_generalILi64ELi2ELi4EEvPfPK15HIP_vector_typeIfLj2EEiiiiS1_IjLj3EES5_S5_S5_.has_recursion, 0
	.set _ZL33flash_attn_stream_k_fixup_generalILi64ELi2ELi4EEvPfPK15HIP_vector_typeIfLj2EEiiiiS1_IjLj3EES5_S5_S5_.has_indirect_call, 0
	.section	.AMDGPU.csdata,"",@progbits
; Kernel info:
; codeLenInByte = 3360
; TotalNumSgprs: 48
; NumVgprs: 12
; ScratchSize: 0
; MemoryBound: 0
; FloatMode: 240
; IeeeMode: 1
; LDSByteSize: 0 bytes/workgroup (compile time only)
; SGPRBlocks: 0
; VGPRBlocks: 0
; NumSGPRsForWavesPerEU: 48
; NumVGPRsForWavesPerEU: 12
; NamedBarCnt: 0
; Occupancy: 16
; WaveLimiterHint : 0
; COMPUTE_PGM_RSRC2:SCRATCH_EN: 0
; COMPUTE_PGM_RSRC2:USER_SGPR: 2
; COMPUTE_PGM_RSRC2:TRAP_HANDLER: 0
; COMPUTE_PGM_RSRC2:TGID_X_EN: 1
; COMPUTE_PGM_RSRC2:TGID_Y_EN: 1
; COMPUTE_PGM_RSRC2:TGID_Z_EN: 1
; COMPUTE_PGM_RSRC2:TIDIG_COMP_CNT: 0
	.section	.text._ZL15flash_attn_tileILi64ELi64ELi1ELi4ELb0EEvPKcS1_S1_S1_S1_PKiPfP15HIP_vector_typeIfLj2EEffffjfiS5_IjLj3EEiiiiiiiiiiiliiliiiiil,"axG",@progbits,_ZL15flash_attn_tileILi64ELi64ELi1ELi4ELb0EEvPKcS1_S1_S1_S1_PKiPfP15HIP_vector_typeIfLj2EEffffjfiS5_IjLj3EEiiiiiiiiiiiliiliiiiil,comdat
	.globl	_ZL15flash_attn_tileILi64ELi64ELi1ELi4ELb0EEvPKcS1_S1_S1_S1_PKiPfP15HIP_vector_typeIfLj2EEffffjfiS5_IjLj3EEiiiiiiiiiiiliiliiiiil ; -- Begin function _ZL15flash_attn_tileILi64ELi64ELi1ELi4ELb0EEvPKcS1_S1_S1_S1_PKiPfP15HIP_vector_typeIfLj2EEffffjfiS5_IjLj3EEiiiiiiiiiiiliiliiiiil
	.p2align	8
	.type	_ZL15flash_attn_tileILi64ELi64ELi1ELi4ELb0EEvPKcS1_S1_S1_S1_PKiPfP15HIP_vector_typeIfLj2EEffffjfiS5_IjLj3EEiiiiiiiiiiiliiliiiiil,@function
_ZL15flash_attn_tileILi64ELi64ELi1ELi4ELb0EEvPKcS1_S1_S1_S1_PKiPfP15HIP_vector_typeIfLj2EEffffjfiS5_IjLj3EEiiiiiiiiiiiliiliiiiil: ; @_ZL15flash_attn_tileILi64ELi64ELi1ELi4ELb0EEvPKcS1_S1_S1_S1_PKiPfP15HIP_vector_typeIfLj2EEffffjfiS5_IjLj3EEiiiiiiiiiiiliiliiiiil
; %bb.0:
	s_clause 0x1
	s_load_b128 s[20:23], s[0:1], 0x5c
	s_load_b64 s[30:31], s[0:1], 0x80
	s_bfe_u32 s5, ttmp6, 0x40014
	s_lshr_b32 s4, ttmp7, 16
	s_add_co_i32 s5, s5, 1
	s_bfe_u32 s6, ttmp6, 0x40008
	s_mul_i32 s5, s4, s5
	s_getreg_b32 s24, hwreg(HW_REG_IB_STS2, 6, 4)
	s_add_co_i32 s6, s6, s5
	s_load_b64 s[36:37], s[0:1], 0xb8
	s_mov_b64 s[34:35], 0
	s_wait_kmcnt 0x0
	s_ashr_i32 s2, s23, 31
	s_delay_alu instid0(SALU_CYCLE_1) | instskip(NEXT) | instid1(SALU_CYCLE_1)
	s_lshr_b32 s2, s2, 30
	s_add_co_i32 s2, s23, s2
	s_delay_alu instid0(SALU_CYCLE_1) | instskip(NEXT) | instid1(SALU_CYCLE_1)
	s_ashr_i32 s2, s2, 2
	s_cvt_f32_u32 s3, s2
	s_sub_co_i32 s7, 0, s2
	s_delay_alu instid0(SALU_CYCLE_2) | instskip(SKIP_1) | instid1(TRANS32_DEP_1)
	v_rcp_iflag_f32_e32 v1, s3
	v_nop
	v_readfirstlane_b32 s3, v1
	s_mul_f32 s3, s3, 0x4f7ffffe
	s_delay_alu instid0(SALU_CYCLE_3) | instskip(NEXT) | instid1(SALU_CYCLE_3)
	s_cvt_u32_f32 s3, s3
	s_mul_i32 s7, s7, s3
	s_delay_alu instid0(SALU_CYCLE_1) | instskip(NEXT) | instid1(SALU_CYCLE_1)
	s_mul_hi_u32 s7, s3, s7
	s_add_co_i32 s3, s3, s7
	s_cmp_eq_u32 s24, 0
	s_cselect_b32 s4, s4, s6
	s_delay_alu instid0(SALU_CYCLE_1) | instskip(NEXT) | instid1(SALU_CYCLE_1)
	s_mul_hi_u32 s3, s4, s3
	s_mul_i32 s5, s3, s2
	s_add_co_i32 s6, s3, 1
	s_sub_co_i32 s5, s4, s5
	s_delay_alu instid0(SALU_CYCLE_1)
	s_sub_co_i32 s7, s5, s2
	s_cmp_ge_u32 s5, s2
	s_cselect_b32 s3, s6, s3
	s_cselect_b32 s5, s7, s5
	s_add_co_i32 s6, s3, 1
	s_cmp_ge_u32 s5, s2
	s_cselect_b32 s28, s6, s3
	s_abs_i32 s2, s31
	s_abs_i32 s7, s23
	s_cvt_f32_u32 s3, s2
	s_sub_co_i32 s5, 0, s2
	s_lshl_b32 s4, s4, 2
	s_mul_i32 s6, s28, s23
	v_rcp_iflag_f32_e32 v1, s3
	s_sub_co_i32 s33, s4, s6
	s_xor_b32 s4, s23, s31
	s_delay_alu instid0(SALU_CYCLE_1) | instskip(SKIP_1) | instid1(TRANS32_DEP_1)
	s_ashr_i32 s25, s4, 31
	v_nop
	v_readfirstlane_b32 s3, v1
	s_mul_f32 s3, s3, 0x4f7ffffe
	s_delay_alu instid0(SALU_CYCLE_3) | instskip(NEXT) | instid1(SALU_CYCLE_3)
	s_cvt_u32_f32 s3, s3
	s_mul_i32 s5, s5, s3
	s_delay_alu instid0(SALU_CYCLE_1) | instskip(NEXT) | instid1(SALU_CYCLE_1)
	s_mul_hi_u32 s5, s3, s5
	s_add_co_i32 s3, s3, s5
	s_delay_alu instid0(SALU_CYCLE_1) | instskip(NEXT) | instid1(SALU_CYCLE_1)
	s_mul_hi_u32 s3, s7, s3
	s_mul_i32 s5, s3, s2
	s_delay_alu instid0(SALU_CYCLE_1)
	s_sub_co_i32 s4, s7, s5
	s_add_co_i32 s5, s3, 1
	s_sub_co_i32 s6, s4, s2
	s_cmp_ge_u32 s4, s2
	s_cselect_b32 s3, s5, s3
	s_cselect_b32 s4, s6, s4
	s_add_co_i32 s5, s3, 1
	s_cmp_ge_u32 s4, s2
	s_cselect_b32 s2, s5, s3
	s_load_b512 s[4:19], s[0:1], 0x0
	s_xor_b32 s2, s2, s25
	s_mov_b32 s3, 0
	s_sub_co_i32 s29, s2, s25
	s_delay_alu instid0(SALU_CYCLE_1) | instskip(NEXT) | instid1(SALU_CYCLE_1)
	s_abs_i32 s31, s29
	s_cvt_f32_u32 s2, s31
	s_delay_alu instid0(SALU_CYCLE_3) | instskip(SKIP_1) | instid1(TRANS32_DEP_1)
	v_rcp_iflag_f32_e32 v1, s2
	v_nop
	v_readfirstlane_b32 s2, v1
	s_wait_kmcnt 0x0
	s_cmp_eq_u64 s[10:11], 0
	s_cbranch_scc1 .LBB30_2
; %bb.1:
	s_abs_i32 s25, s36
	s_abs_i32 s34, s28
	s_cvt_f32_u32 s26, s25
	s_sub_co_i32 s27, 0, s25
	s_delay_alu instid0(SALU_CYCLE_2) | instskip(SKIP_1) | instid1(TRANS32_DEP_1)
	v_rcp_iflag_f32_e32 v1, s26
	v_nop
	v_readfirstlane_b32 s26, v1
	s_mul_f32 s26, s26, 0x4f7ffffe
	s_delay_alu instid0(SALU_CYCLE_3) | instskip(NEXT) | instid1(SALU_CYCLE_3)
	s_cvt_u32_f32 s26, s26
	s_mul_i32 s27, s27, s26
	s_delay_alu instid0(SALU_CYCLE_1) | instskip(NEXT) | instid1(SALU_CYCLE_1)
	s_mul_hi_u32 s27, s26, s27
	s_add_co_i32 s26, s26, s27
	s_delay_alu instid0(SALU_CYCLE_1) | instskip(SKIP_2) | instid1(SALU_CYCLE_1)
	s_mul_hi_u32 s35, s34, s26
	s_load_b64 s[26:27], s[0:1], 0xc8
	s_mul_i32 s35, s35, s25
	s_sub_co_i32 s34, s34, s35
	s_ashr_i32 s35, s28, 31
	s_sub_co_i32 s36, s34, s25
	s_cmp_ge_u32 s34, s25
	s_cselect_b32 s34, s36, s34
	s_delay_alu instid0(SALU_CYCLE_1) | instskip(SKIP_2) | instid1(SALU_CYCLE_1)
	s_sub_co_i32 s36, s34, s25
	s_cmp_ge_u32 s34, s25
	s_cselect_b32 s25, s36, s34
	s_xor_b32 s25, s25, s35
	s_delay_alu instid0(SALU_CYCLE_1) | instskip(NEXT) | instid1(SALU_CYCLE_1)
	s_sub_co_i32 s34, s25, s35
	s_ashr_i32 s35, s34, 31
	s_wait_kmcnt 0x0
	s_mul_u64 s[26:27], s[26:27], s[34:35]
	s_delay_alu instid0(SALU_CYCLE_1)
	s_add_nc_u64 s[34:35], s[10:11], s[26:27]
.LBB30_2:
	s_bfe_u32 s10, ttmp6, 0x4000c
	v_dual_lshrrev_b32 v1, 10, v0 :: v_dual_mov_b32 v3, 0
	s_add_co_i32 s10, s10, 1
	s_and_b32 s11, ttmp6, 15
	s_mul_i32 s10, ttmp9, s10
	s_delay_alu instid0(VALU_DEP_1) | instskip(SKIP_4) | instid1(SALU_CYCLE_1)
	v_bfe_u32 v1, v1, 1, 9
	s_add_co_i32 s11, s11, s10
	s_cmp_eq_u32 s24, 0
	s_load_b96 s[40:42], s[0:1], 0x70
	s_cselect_b32 s10, ttmp9, s11
	v_dual_mov_b32 v17, v3 :: v_dual_add_nc_u32 v64, s10, v1
	v_dual_mov_b32 v7, v3 :: v_dual_mov_b32 v11, v3
	s_delay_alu instid0(VALU_DEP_2) | instskip(NEXT) | instid1(VALU_DEP_1)
	v_mul_hi_u32 v1, s20, v64
	v_add_nc_u32_e32 v1, v64, v1
	s_wait_kmcnt 0x0
	s_mul_i32 s20, s33, s41
	s_ashr_i32 s27, s41, 31
	s_mov_b32 s26, s41
	s_ashr_i32 s41, s40, 31
	v_lshrrev_b32_e32 v1, s21, v1
	s_lshr_b64 s[38:39], s[40:41], 2
	s_lshr_b64 s[26:27], s[26:27], 2
	s_ashr_i32 s21, s20, 31
	s_delay_alu instid0(VALU_DEP_1) | instskip(NEXT) | instid1(VALU_DEP_1)
	v_mul_lo_u32 v1, v1, s22
	v_sub_nc_u32_e32 v2, v64, v1
	v_bfe_u32 v1, v0, 10, 10
	s_delay_alu instid0(VALU_DEP_1) | instskip(NEXT) | instid1(VALU_DEP_3)
	v_lshlrev_b32_e32 v12, 1, v1
	v_mul_u64_e32 v[4:5], s[38:39], v[2:3]
	s_delay_alu instid0(VALU_DEP_2) | instskip(SKIP_1) | instid1(VALU_DEP_2)
	v_and_b32_e32 v16, 2, v12
	v_bitop3_b32 v6, v12, 3, 1 bitop3:0xc8
	v_mul_u64_e32 v[8:9], s[26:27], v[16:17]
	s_delay_alu instid0(VALU_DEP_2)
	v_mul_u64_e32 v[6:7], s[26:27], v[6:7]
	s_mul_i32 s26, s28, s42
	v_and_b32_e32 v17, 0x3ff, v0
	s_ashr_i32 s27, s26, 31
	v_lshlrev_b32_e32 v0, 8, v1
	s_add_nc_u64 s[4:5], s[4:5], s[26:27]
	s_cmp_eq_u64 s[14:15], 0
	s_add_nc_u64 s[4:5], s[4:5], s[20:21]
	v_lshlrev_b32_e32 v10, 3, v17
	v_lshl_add_u32 v3, v17, 2, 0x1200
	v_lshl_add_u64 v[4:5], v[4:5], 2, s[4:5]
	s_load_b32 s4, s[0:1], 0x40
	s_delay_alu instid0(VALU_DEP_1) | instskip(NEXT) | instid1(VALU_DEP_1)
	v_add_nc_u64_e32 v[4:5], v[4:5], v[10:11]
	v_lshl_add_u64 v[8:9], v[8:9], 2, v[4:5]
	v_lshl_add_u64 v[4:5], v[6:7], 2, v[4:5]
	s_clause 0x1
	global_load_b64 v[6:7], v[8:9], off
	global_load_b64 v[10:11], v[4:5], off
	s_wait_xcnt 0x1
	v_or_b32_e32 v8, 1, v12
	s_wait_loadcnt 0x1
	s_wait_kmcnt 0x0
	v_fma_mixlo_f16 v4, s4, v7, 0
	v_fma_mixlo_f16 v5, s4, v6, 0
	s_wait_loadcnt 0x0
	v_fma_mixlo_f16 v6, s4, v11, 0
	v_fma_mixlo_f16 v7, s4, v10, 0
	v_lshlrev_b32_e32 v4, 16, v4
	v_and_b32_e32 v5, 0xffff, v5
	s_delay_alu instid0(VALU_DEP_4) | instskip(NEXT) | instid1(VALU_DEP_4)
	v_lshlrev_b32_e32 v6, 16, v6
	v_and_b32_e32 v7, 0xffff, v7
	v_add_nc_u32_e32 v9, v3, v0
	v_lshl_add_u32 v3, v8, 7, v3
	v_or_b32_e32 v4, v4, v5
	s_delay_alu instid0(VALU_DEP_4)
	v_or_b32_e32 v5, v6, v7
	ds_store_b32 v9, v4
	ds_store_b32 v3, v5
	s_wait_dscnt 0x0
	s_barrier_signal -1
	s_barrier_wait -1
	s_cbranch_scc1 .LBB30_4
; %bb.3:
	s_load_b32 s4, s[0:1], 0xd0
	s_wait_kmcnt 0x0
	s_mul_i32 s4, s4, s28
	s_delay_alu instid0(SALU_CYCLE_1)
	s_add_co_i32 s4, s4, s10
	s_load_b32 s30, s[14:15], s4 offset:0x0 scale_offset
.LBB30_4:
	s_wait_xcnt 0x0
	s_bfe_u32 s4, ttmp6, 0x40010
	s_and_b32 s5, ttmp7, 0xffff
	s_add_co_i32 s4, s4, 1
	s_bfe_u32 s10, ttmp6, 0x40004
	s_mul_i32 s4, s5, s4
	v_mbcnt_lo_u32_b32 v65, -1, 0
	s_add_co_i32 s10, s10, s4
	s_cmp_eq_u32 s24, 0
	s_mov_b32 s4, 0
	s_cselect_b32 s5, s5, s10
	s_delay_alu instid0(SALU_CYCLE_1)
	s_lshl_b32 s10, s5, 5
	s_wait_kmcnt 0x0
	s_cmp_lt_i32 s10, s30
	s_cbranch_scc1 .LBB30_7
; %bb.5:
	v_mbcnt_lo_u32_b32 v3, -1, 0
	s_delay_alu instid0(VALU_DEP_1)
	v_dual_mov_b32 v66, 32 :: v_dual_bitop2_b32 v72, 16, v3 bitop3:0x14
	v_xor_b32_e32 v70, 8, v3
	v_xor_b32_e32 v69, 4, v3
	;; [unrolled: 1-line block ×4, first 2 shown]
	s_and_not1_b32 vcc_lo, exec_lo, s4
	s_cbranch_vccz .LBB30_8
; %bb.6:
	v_dual_mov_b32 v25, 0 :: v_dual_mov_b32 v45, 0
	v_dual_mov_b32 v19, 0xfeffffff :: v_dual_mov_b32 v18, 0xfeffffff
	s_delay_alu instid0(VALU_DEP_2)
	v_dual_lshlrev_b32 v6, 1, v17 :: v_dual_mov_b32 v24, v25
	v_mov_b32_e32 v44, 0
	s_branch .LBB30_11
.LBB30_7:
                                        ; implicit-def: $vgpr3
                                        ; implicit-def: $vgpr66
                                        ; implicit-def: $vgpr72
                                        ; implicit-def: $vgpr70
                                        ; implicit-def: $vgpr69
                                        ; implicit-def: $vgpr68
                                        ; implicit-def: $vgpr67
.LBB30_8:
	s_clause 0x1
	s_load_b64 s[20:21], s[0:1], 0x8c
	s_load_b128 s[24:27], s[0:1], 0x98
	s_mul_f32 s2, s2, 0x4f7ffffe
	s_sub_co_i32 s4, 0, s31
	s_mov_b32 s15, s3
	v_dual_lshrrev_b32 v3, 3, v17 :: v_dual_lshlrev_b32 v71, 2, v17
	s_cvt_u32_f32 s11, s2
	s_abs_i32 s2, s33
	s_ashr_i32 s36, s33, 31
	s_ashr_i32 s40, s29, 31
	s_mul_i32 s4, s4, s11
	s_ashr_i32 s29, s28, 31
	s_mul_hi_u32 s4, s11, s4
	v_lshl_add_u32 v3, v1, 2, v3
	s_add_co_i32 s14, s11, s4
	s_ashr_i32 s4, s37, 1
	s_mul_u64 s[14:15], s[2:3], s[14:15]
	s_xor_b32 s11, s36, s40
	s_mul_i32 s3, s15, s31
	s_wait_kmcnt 0x0
	s_ashr_i32 s20, s20, 2
	s_sub_co_i32 s2, s2, s3
	s_ashr_i32 s14, s26, 2
	s_add_co_i32 s3, s15, 1
	s_sub_co_i32 s26, s2, s31
	s_cmp_ge_u32 s2, s31
	s_load_b64 s[38:39], s[0:1], 0xa8
	s_cselect_b32 s3, s3, s15
	s_cselect_b32 s2, s26, s2
	s_add_co_i32 s15, s3, 1
	v_mul_lo_u32 v20, s20, v3
	s_cmp_ge_u32 s2, s31
	v_mul_lo_u32 v26, s14, v3
	s_cselect_b32 s2, s15, s3
	v_mad_u32 v79, v2, s4, v17
	s_xor_b32 s15, s2, s11
	s_mul_u64 s[2:3], s[24:25], s[28:29]
	s_sub_co_i32 s11, s15, s11
	s_add_nc_u64 s[2:3], s[6:7], s[2:3]
	s_mul_i32 s24, s11, s21
	s_mul_i32 s26, s11, s27
	s_lshl_b32 s11, s20, 3
	s_delay_alu instid0(SALU_CYCLE_1) | instskip(SKIP_2) | instid1(VALU_DEP_2)
	v_dual_add_nc_u32 v22, s11, v20 :: v_dual_bitop2_b32 v4, 28, v71 bitop3:0x40
	s_ashr_i32 s25, s24, 31
	v_dual_mov_b32 v31, 0 :: v_dual_ashrrev_i32 v21, 31, v20
	v_dual_lshlrev_b32 v5, 2, v4 :: v_dual_add_nc_u32 v28, s11, v22
	s_wait_kmcnt 0x0
	s_mul_u64 s[6:7], s[38:39], s[28:29]
	v_ashrrev_i32_e32 v23, 31, v22
	s_add_nc_u64 s[8:9], s[8:9], s[6:7]
	s_add_nc_u64 s[6:7], s[2:3], s[24:25]
	s_lshl_b32 s2, s14, 3
	v_dual_add_nc_u32 v32, s11, v28 :: v_dual_ashrrev_i32 v29, 31, v28
	v_add_nc_u32_e32 v34, s2, v26
	v_mad_u32_u24 v73, 0x90, v3, v5
	v_lshl_or_b32 v78, v3, 7, v5
	s_delay_alu instid0(VALU_DEP_4)
	v_ashrrev_i32_e32 v33, 31, v32
	v_lshl_add_u32 v80, v1, 7, 0x1400
	v_add_nc_u32_e32 v36, s2, v34
	v_ashrrev_i32_e32 v27, 31, v26
	v_dual_mov_b32 v45, v31 :: v_dual_add_nc_u32 v74, 0x900, v73
	v_dual_mov_b32 v66, 32 :: v_dual_add_nc_u32 v75, 0xd80, v73
	s_delay_alu instid0(VALU_DEP_4)
	v_add_nc_u32_e32 v38, s2, v36
	v_mul_u32_u24_e32 v76, 0x90, v17
	v_dual_mov_b32 v44, v31 :: v_dual_add_nc_u32 v77, 0x1200, v0
	v_dual_mov_b32 v24, v31 :: v_dual_add_nc_u32 v81, 0x400, v78
	v_dual_ashrrev_i32 v35, 31, v34 :: v_dual_ashrrev_i32 v37, 31, v36
	v_dual_mov_b32 v25, v31 :: v_dual_add_nc_u32 v82, 0x800, v78
	v_add_nc_u32_e32 v83, 0xc00, v78
	v_dual_mov_b32 v18, 0xfeffffff :: v_dual_ashrrev_i32 v39, 31, v38
	v_dual_lshlrev_b32 v30, 2, v4 :: v_dual_bitop2_b32 v72, 16, v65 bitop3:0x14
	v_dual_add_nc_u32 v84, v80, v71 :: v_dual_bitop2_b32 v70, 8, v65 bitop3:0x14
	v_xor_b32_e32 v69, 4, v65
	v_xor_b32_e32 v68, 2, v65
	;; [unrolled: 1-line block ×3, first 2 shown]
	v_add_nc_u32_e32 v85, 0x400, v71
	v_add_nc_u32_e32 v86, 0x800, v71
	;; [unrolled: 1-line block ×3, first 2 shown]
	v_mov_b32_e32 v19, 0xfeffffff
	s_ashr_i32 s27, s26, 31
	s_ashr_i32 s21, s20, 31
	s_add_nc_u64 s[8:9], s[8:9], s[26:27]
	s_ashr_i32 s15, s14, 31
	s_add_nc_u64 s[24:25], s[0:1], 0xd0
.LBB30_9:                               ; =>This Inner Loop Header: Depth=1
	s_ashr_i32 s11, s10, 31
	v_dual_mov_b32 v41, 0 :: v_dual_mov_b32 v42, 0
	s_mul_u64 s[2:3], s[10:11], s[20:21]
	v_dual_mov_b32 v43, v18 :: v_dual_add_nc_u32 v40, s10, v79
	s_lshl_b64 s[2:3], s[2:3], 2
	v_cmp_gt_i32_e32 vcc_lo, 32, v72
	s_add_nc_u64 s[2:3], s[6:7], s[2:3]
	s_delay_alu instid0(SALU_CYCLE_1)
	v_lshl_add_u64 v[0:1], v[20:21], 2, s[2:3]
	v_lshl_add_u64 v[2:3], v[22:23], 2, s[2:3]
	;; [unrolled: 1-line block ×4, first 2 shown]
	s_mul_u64 s[2:3], s[10:11], s[14:15]
	v_add_nc_u64_e32 v[0:1], v[0:1], v[30:31]
	v_add_nc_u64_e32 v[8:9], v[2:3], v[30:31]
	v_add_nc_u64_e32 v[10:11], v[4:5], v[30:31]
	v_add_nc_u64_e32 v[12:13], v[6:7], v[30:31]
	s_lshl_b64 s[2:3], s[2:3], 2
	s_clause 0x3
	global_load_b128 v[0:3], v[0:1], off
	global_load_b128 v[4:7], v[8:9], off
	;; [unrolled: 1-line block ×4, first 2 shown]
	s_add_nc_u64 s[2:3], s[8:9], s[2:3]
	s_wait_loadcnt 0x3
	ds_store_b128 v73, v[0:3]
	v_add_nc_u32_e32 v0, 0x480, v73
	s_wait_loadcnt 0x2
	ds_store_b128 v0, v[4:7]
	s_wait_loadcnt 0x1
	ds_store_b128 v74, v[8:11]
	;; [unrolled: 2-line block ×3, first 2 shown]
	s_wait_dscnt 0x0
	s_barrier_signal -1
	s_barrier_wait -1
	ds_load_b128 v[0:3], v76
	ds_load_b128 v[4:7], v77
	ds_load_b128 v[8:11], v77 offset:128
	s_wait_dscnt 0x1
	;;#ASMSTART
	v_dot2_f32_f16 v41, v0, v4, v41
	;;#ASMEND
	;;#ASMSTART
	v_dot2_f32_f16 v41, v1, v5, v41
	;;#ASMEND
	;;#ASMSTART
	v_dot2_f32_f16 v41, v2, v6, v41
	;;#ASMEND
	;;#ASMSTART
	v_dot2_f32_f16 v41, v3, v7, v41
	;;#ASMEND
	s_wait_dscnt 0x0
	;;#ASMSTART
	v_dot2_f32_f16 v42, v0, v8, v42
	;;#ASMEND
	;;#ASMSTART
	v_dot2_f32_f16 v42, v1, v9, v42
	;;#ASMEND
	;;#ASMSTART
	v_dot2_f32_f16 v42, v2, v10, v42
	;;#ASMEND
	;;#ASMSTART
	v_dot2_f32_f16 v42, v3, v11, v42
	;;#ASMEND
	ds_load_b128 v[0:3], v76 offset:16
	ds_load_b128 v[4:7], v77 offset:16
	ds_load_b128 v[8:11], v77 offset:144
	s_wait_dscnt 0x1
	;;#ASMSTART
	v_dot2_f32_f16 v41, v0, v4, v41
	;;#ASMEND
	;;#ASMSTART
	v_dot2_f32_f16 v41, v1, v5, v41
	;;#ASMEND
	;;#ASMSTART
	v_dot2_f32_f16 v41, v2, v6, v41
	;;#ASMEND
	;;#ASMSTART
	v_dot2_f32_f16 v41, v3, v7, v41
	;;#ASMEND
	s_wait_dscnt 0x0
	;;#ASMSTART
	v_dot2_f32_f16 v42, v0, v8, v42
	;;#ASMEND
	;;#ASMSTART
	v_dot2_f32_f16 v42, v1, v9, v42
	;;#ASMEND
	;;#ASMSTART
	v_dot2_f32_f16 v42, v2, v10, v42
	;;#ASMEND
	;;#ASMSTART
	v_dot2_f32_f16 v42, v3, v11, v42
	;;#ASMEND
	ds_load_b128 v[0:3], v76 offset:32
	ds_load_b128 v[4:7], v77 offset:32
	;; [unrolled: 29-line block ×7, first 2 shown]
	ds_load_b128 v[8:11], v77 offset:240
	s_wait_dscnt 0x1
	;;#ASMSTART
	v_dot2_f32_f16 v41, v0, v4, v41
	;;#ASMEND
	;;#ASMSTART
	v_dot2_f32_f16 v41, v1, v5, v41
	;;#ASMEND
	;; [unrolled: 3-line block ×4, first 2 shown]
	s_wait_dscnt 0x0
	;;#ASMSTART
	v_dot2_f32_f16 v42, v0, v8, v42
	;;#ASMEND
	;;#ASMSTART
	v_dot2_f32_f16 v42, v1, v9, v42
	;;#ASMEND
	;; [unrolled: 3-line block ×4, first 2 shown]
	global_load_u16 v46, v40, s[34:35] scale_offset
	s_wait_xcnt 0x0
	v_dual_mov_b32 v40, v19 :: v_dual_cndmask_b32 v0, v65, v72, vcc_lo
	v_cmp_gt_i32_e32 vcc_lo, 32, v70
	v_max_num_f32_e32 v18, v43, v43
	v_lshl_add_u64 v[6:7], v[38:39], 2, s[2:3]
	s_delay_alu instid0(VALU_DEP_4) | instskip(SKIP_2) | instid1(VALU_DEP_4)
	v_max_num_f32_e32 v19, v40, v40
	v_dual_lshlrev_b32 v47, 2, v0 :: v_dual_cndmask_b32 v1, v65, v70, vcc_lo
	v_cmp_gt_i32_e32 vcc_lo, 32, v69
	v_add_nc_u64_e32 v[12:13], v[6:7], v[30:31]
	s_wait_loadcnt 0x0
	s_barrier_signal -1
	s_barrier_wait -1
	v_cndmask_b32_e32 v2, v65, v69, vcc_lo
	v_cmp_gt_i32_e32 vcc_lo, 32, v68
	v_cndmask_b32_e32 v3, v65, v68, vcc_lo
	v_cmp_gt_i32_e32 vcc_lo, 32, v67
	s_delay_alu instid0(VALU_DEP_4) | instskip(SKIP_4) | instid1(VALU_DEP_4)
	v_dual_lshlrev_b32 v48, 2, v1 :: v_dual_lshlrev_b32 v49, 2, v2
	v_lshl_add_u64 v[0:1], v[26:27], 2, s[2:3]
	v_cndmask_b32_e32 v4, v65, v67, vcc_lo
	v_lshlrev_b32_e32 v50, 2, v3
	v_lshl_add_u64 v[2:3], v[34:35], 2, s[2:3]
	v_add_nc_u64_e32 v[0:1], v[0:1], v[30:31]
	s_delay_alu instid0(VALU_DEP_4) | instskip(SKIP_1) | instid1(VALU_DEP_4)
	v_lshlrev_b32_e32 v51, 2, v4
	v_lshl_add_u64 v[4:5], v[36:37], 2, s[2:3]
	v_add_nc_u64_e32 v[8:9], v[2:3], v[30:31]
	s_delay_alu instid0(VALU_DEP_2)
	v_add_nc_u64_e32 v[10:11], v[4:5], v[30:31]
	s_clause 0x3
	global_load_b128 v[0:3], v[0:1], off
	global_load_b128 v[4:7], v[8:9], off
	;; [unrolled: 1-line block ×4, first 2 shown]
	v_cvt_f32_f16_e32 v46, v46
	s_delay_alu instid0(VALU_DEP_1) | instskip(NEXT) | instid1(VALU_DEP_1)
	v_dual_add_f32 v42, v42, v46 :: v_dual_add_f32 v41, v41, v46
	v_add_f32_e32 v46, 0x40051340, v42
	s_delay_alu instid0(VALU_DEP_1) | instskip(SKIP_3) | instid1(VALU_DEP_1)
	v_dual_add_f32 v52, 0x40051340, v41 :: v_dual_max_num_f32 v19, v19, v46
	ds_bpermute_b32 v46, v47, v19
	s_wait_dscnt 0x0
	v_max_num_f32_e32 v46, v46, v46
	v_dual_max_num_f32 v18, v18, v52 :: v_dual_max_num_f32 v19, v19, v46
	ds_bpermute_b32 v47, v47, v18
	ds_bpermute_b32 v46, v48, v19
	s_wait_dscnt 0x0
	v_dual_max_num_f32 v47, v47, v47 :: v_dual_max_num_f32 v46, v46, v46
	s_delay_alu instid0(VALU_DEP_1) | instskip(SKIP_4) | instid1(VALU_DEP_1)
	v_dual_max_num_f32 v18, v18, v47 :: v_dual_max_num_f32 v19, v19, v46
	ds_bpermute_b32 v47, v48, v18
	ds_bpermute_b32 v46, v49, v19
	s_wait_dscnt 0x0
	v_dual_max_num_f32 v47, v47, v47 :: v_dual_max_num_f32 v46, v46, v46
	v_dual_max_num_f32 v18, v18, v47 :: v_dual_max_num_f32 v19, v19, v46
	ds_bpermute_b32 v47, v49, v18
	ds_bpermute_b32 v46, v50, v19
	s_wait_dscnt 0x0
	v_dual_max_num_f32 v47, v47, v47 :: v_dual_max_num_f32 v46, v46, v46
	s_delay_alu instid0(VALU_DEP_1) | instskip(SKIP_4) | instid1(VALU_DEP_1)
	v_dual_max_num_f32 v18, v18, v47 :: v_dual_max_num_f32 v19, v19, v46
	ds_bpermute_b32 v47, v50, v18
	ds_bpermute_b32 v46, v51, v19
	s_wait_dscnt 0x0
	v_dual_max_num_f32 v47, v47, v47 :: v_dual_max_num_f32 v46, v46, v46
	v_dual_max_num_f32 v18, v18, v47 :: v_dual_max_num_f32 v19, v19, v46
	ds_bpermute_b32 v47, v51, v18
	v_sub_f32_e32 v40, v40, v19
	s_delay_alu instid0(VALU_DEP_1) | instskip(SKIP_1) | instid1(VALU_DEP_2)
	v_mul_f32_e32 v49, 0x3fb8aa3b, v40
	v_cmp_ngt_f32_e64 s3, 0xc2ce8ed0, v40
	v_fma_f32 v56, 0x3fb8aa3b, v40, -v49
	v_rndne_f32_e32 v57, v49
	s_wait_dscnt 0x0
	s_delay_alu instid0(VALU_DEP_1) | instskip(SKIP_1) | instid1(VALU_DEP_2)
	v_dual_max_num_f32 v47, v47, v47 :: v_dual_sub_f32 v49, v49, v57
	v_cvt_i32_f32_e32 v57, v57
	v_max_num_f32_e32 v18, v18, v47
	s_delay_alu instid0(VALU_DEP_1) | instskip(NEXT) | instid1(VALU_DEP_1)
	v_dual_sub_f32 v42, v42, v19 :: v_dual_sub_f32 v41, v41, v18
	v_mul_f32_e32 v46, 0x3fb8aa3b, v42
	v_cmp_ngt_f32_e64 s4, 0xc2ce8ed0, v42
	s_delay_alu instid0(VALU_DEP_3) | instskip(NEXT) | instid1(VALU_DEP_3)
	v_mul_f32_e32 v47, 0x3fb8aa3b, v41
	v_rndne_f32_e32 v53, v46
	v_sub_f32_e32 v43, v43, v18
	v_fma_f32 v50, 0x3fb8aa3b, v42, -v46
	v_cmp_ngt_f32_e32 vcc_lo, 0xc2ce8ed0, v41
	v_rndne_f32_e32 v52, v47
	v_sub_f32_e32 v46, v46, v53
	v_mul_f32_e32 v48, 0x3fb8aa3b, v43
	v_fma_f32 v51, 0x3fb8aa3b, v41, -v47
	s_delay_alu instid0(VALU_DEP_4) | instskip(SKIP_1) | instid1(VALU_DEP_4)
	v_dual_fmac_f32 v50, 0x32a5705f, v42 :: v_dual_sub_f32 v47, v47, v52
	v_cvt_i32_f32_e32 v53, v53
	v_fma_f32 v54, 0x3fb8aa3b, v43, -v48
	v_rndne_f32_e32 v55, v48
	v_dual_fmac_f32 v51, 0x32a5705f, v41 :: v_dual_fmac_f32 v56, 0x32a5705f, v40
	v_add_f32_e32 v46, v46, v50
	s_delay_alu instid0(VALU_DEP_4) | instskip(NEXT) | instid1(VALU_DEP_4)
	v_fmac_f32_e32 v54, 0x32a5705f, v43
	v_sub_f32_e32 v48, v48, v55
	s_delay_alu instid0(VALU_DEP_4) | instskip(NEXT) | instid1(VALU_DEP_4)
	v_dual_add_f32 v47, v47, v51 :: v_dual_add_f32 v49, v49, v56
	v_exp_f32_e32 v46, v46
	v_cvt_i32_f32_e32 v52, v52
	s_delay_alu instid0(VALU_DEP_3) | instskip(NEXT) | instid1(VALU_DEP_3)
	v_add_f32_e32 v48, v48, v54
	v_exp_f32_e32 v47, v47
	v_exp_f32_e32 v49, v49
	v_cvt_i32_f32_e32 v55, v55
	v_cmp_ngt_f32_e64 s2, 0xc2ce8ed0, v43
	v_exp_f32_e32 v48, v48
	v_ldexp_f32 v46, v46, v53
	s_delay_alu instid0(TRANS32_DEP_3) | instskip(NEXT) | instid1(TRANS32_DEP_2)
	v_ldexp_f32 v47, v47, v52
	v_ldexp_f32 v49, v49, v57
	s_delay_alu instid0(VALU_DEP_3) | instskip(NEXT) | instid1(TRANS32_DEP_1)
	v_cndmask_b32_e64 v46, 0, v46, s4
	v_ldexp_f32 v48, v48, v55
	v_cmp_nlt_f32_e64 s4, 0x42b17218, v42
	v_cndmask_b32_e32 v42, 0, v47, vcc_lo
	v_cmp_nlt_f32_e32 vcc_lo, 0x42b17218, v43
	s_delay_alu instid0(VALU_DEP_4) | instskip(SKIP_3) | instid1(VALU_DEP_3)
	v_dual_cndmask_b32 v43, 0, v49, s3 :: v_dual_cndmask_b32 v47, 0, v48, s2
	v_cmp_nlt_f32_e64 s3, 0x42b17218, v41
	v_cmp_nlt_f32_e64 s2, 0x42b17218, v40
	v_cndmask_b32_e64 v41, 0x7f800000, v46, s4
	v_cndmask_b32_e64 v40, 0x7f800000, v42, s3
	s_delay_alu instid0(VALU_DEP_3) | instskip(NEXT) | instid1(VALU_DEP_2)
	v_cndmask_b32_e64 v43, 0x7f800000, v43, s2
	v_cvt_pk_f16_f32 v46, v40, v41
	ds_store_b32 v84, v46
	s_wait_loadcnt 0x3
	ds_store_b128 v78, v[0:3]
	s_wait_loadcnt 0x2
	ds_store_b128 v81, v[4:7]
	;; [unrolled: 2-line block ×4, first 2 shown]
	s_wait_dscnt 0x0
	s_barrier_signal -1
	s_barrier_wait -1
	ds_load_b128 v[4:7], v80
	ds_load_b128 v[8:11], v80 offset:16
	ds_load_b128 v[12:15], v80 offset:32
	;; [unrolled: 1-line block ×5, first 2 shown]
	ds_load_2addr_b32 v[48:49], v71 offset1:32
	v_cndmask_b32_e32 v42, 0x7f800000, v47, vcc_lo
	v_cvt_f16_f32_e32 v50, v43
	s_delay_alu instid0(VALU_DEP_1)
	v_and_b32_e32 v61, 0xffff, v50
	s_wait_dscnt 0x6
	v_dual_lshrrev_b32 v62, 16, v4 :: v_dual_lshrrev_b32 v109, 16, v6
	v_and_b32_e32 v4, 0xffff, v4
	v_lshrrev_b32_e32 v63, 16, v5
	v_cvt_f16_f32_e32 v47, v42
	v_and_b32_e32 v110, 0xffff, v6
	s_wait_dscnt 0x5
	v_dual_lshrrev_b32 v111, 16, v7 :: v_dual_lshrrev_b32 v113, 16, v8
	v_mul_u32_u24_e32 v4, 0x10001, v4
	v_and_b32_e32 v60, 0xffff, v47
	v_and_b32_e32 v112, 0xffff, v7
	v_mul_u32_u24_e32 v7, 0x10001, v62
	ds_load_2addr_b32 v[46:47], v71 offset0:64 offset1:96
	ds_load_2addr_b32 v[50:51], v71 offset0:128 offset1:160
	s_wait_dscnt 0x2
	v_pk_mul_f16 v4, v48, v4
	v_mul_u32_u24_e32 v6, 0x10001, v60
	v_and_b32_e32 v5, 0xffff, v5
	v_pk_mul_f16 v7, v48, v7
	v_dual_lshrrev_b32 v119, 16, v11 :: v_dual_lshrrev_b32 v121, 16, v12
	s_delay_alu instid0(VALU_DEP_4)
	v_pk_fma_f16 v4, v45, v6, v4
	v_mul_u32_u24_e32 v6, 0x10001, v61
	v_and_b32_e32 v122, 0xffff, v12
	v_dual_lshrrev_b32 v108, 16, v13 :: v_dual_lshrrev_b32 v106, 16, v14
	v_and_b32_e32 v107, 0xffff, v14
	v_mul_u32_u24_e32 v5, 0x10001, v5
	v_pk_fma_f16 v12, v44, v6, v7
	v_mul_u32_u24_e32 v14, 0x10001, v63
	v_and_b32_e32 v123, 0xffff, v13
	v_dual_lshrrev_b32 v104, 16, v15 :: v_dual_lshrrev_b32 v102, 16, v52
	v_pk_fma_f16 v13, v49, v5, v4
	s_delay_alu instid0(VALU_DEP_4)
	v_pk_fma_f16 v14, v49, v14, v12
	v_mul_u32_u24_e32 v12, 0x10001, v110
	v_and_b32_e32 v105, 0xffff, v15
	v_mul_u32_u24_e32 v48, 0x10001, v109
	v_mul_u32_u24_e32 v49, 0x10001, v112
	v_and_b32_e32 v114, 0xffff, v8
	s_wait_dscnt 0x1
	v_pk_fma_f16 v15, v46, v12, v13
	v_and_b32_e32 v116, 0xffff, v9
	v_pk_fma_f16 v46, v46, v48, v14
	v_and_b32_e32 v103, 0xffff, v52
	v_dual_lshrrev_b32 v100, 16, v53 :: v_dual_lshrrev_b32 v98, 16, v54
	v_pk_fma_f16 v48, v47, v49, v15
	v_mul_u32_u24_e32 v49, 0x10001, v111
	v_and_b32_e32 v99, 0xffff, v54
	v_dual_lshrrev_b32 v96, 16, v55 :: v_dual_lshrrev_b32 v94, 16, v56
	v_and_b32_e32 v97, 0xffff, v55
	ds_load_2addr_b32 v[54:55], v71 offset0:192 offset1:224
	v_pk_fma_f16 v52, v47, v49, v46
	v_mul_u32_u24_e32 v49, 0x10001, v114
	v_dual_lshrrev_b32 v115, 16, v9 :: v_dual_lshrrev_b32 v117, 16, v10
	v_and_b32_e32 v101, 0xffff, v53
	v_and_b32_e32 v95, 0xffff, v56
	v_dual_lshrrev_b32 v92, 16, v57 :: v_dual_lshrrev_b32 v90, 16, v58
	v_and_b32_e32 v93, 0xffff, v57
	s_wait_dscnt 0x1
	v_pk_fma_f16 v53, v50, v49, v48
	v_mul_u32_u24_e32 v56, 0x10001, v113
	v_mul_u32_u24_e32 v57, 0x10001, v116
	v_and_b32_e32 v118, 0xffff, v10
	v_and_b32_e32 v120, 0xffff, v11
	;; [unrolled: 1-line block ×3, first 2 shown]
	v_pk_fma_f16 v50, v50, v56, v52
	v_pk_fma_f16 v56, v51, v57, v53
	v_mul_u32_u24_e32 v57, 0x10001, v115
	ds_load_2addr_b32 v[44:45], v85 offset1:32
	v_lshrrev_b32_e32 v88, 16, v59
	v_and_b32_e32 v89, 0xffff, v59
	v_mul_u32_u24_e32 v60, 0x10001, v117
	v_pk_fma_f16 v58, v51, v57, v50
	v_mul_u32_u24_e32 v57, 0x10001, v118
	v_mul_u32_u24_e32 v61, 0x10001, v120
	ds_load_2addr_b32 v[12:13], v85 offset0:64 offset1:96
	v_mul_u32_u24_e32 v109, 0x10001, v121
	ds_load_2addr_b32 v[14:15], v85 offset0:128 offset1:160
	s_wait_dscnt 0x3
	v_pk_fma_f16 v59, v54, v57, v56
	v_pk_fma_f16 v54, v54, v60, v58
	v_mul_u32_u24_e32 v110, 0x10001, v123
	v_mul_u32_u24_e32 v108, 0x10001, v108
	;; [unrolled: 1-line block ×3, first 2 shown]
	v_pk_fma_f16 v60, v55, v61, v59
	v_mul_u32_u24_e32 v61, 0x10001, v119
	v_mul_u32_u24_e32 v106, 0x10001, v106
	ds_load_2addr_b32 v[46:47], v85 offset0:192 offset1:224
	v_mul_u32_u24_e32 v105, 0x10001, v105
	v_mul_u32_u24_e32 v104, 0x10001, v104
	v_pk_fma_f16 v62, v55, v61, v54
	v_mul_u32_u24_e32 v61, 0x10001, v122
	v_mul_u32_u24_e32 v103, 0x10001, v103
	;; [unrolled: 1-line block ×3, first 2 shown]
	ds_load_2addr_b32 v[48:49], v86 offset1:32
	v_mul_u32_u24_e32 v101, 0x10001, v101
	s_wait_dscnt 0x4
	v_pk_fma_f16 v63, v44, v61, v60
	v_pk_fma_f16 v44, v44, v109, v62
	v_mul_u32_u24_e32 v100, 0x10001, v100
	v_mul_u32_u24_e32 v98, 0x10001, v98
	ds_load_2addr_b32 v[52:53], v86 offset0:64 offset1:96
	v_pk_fma_f16 v109, v45, v110, v63
	v_pk_fma_f16 v44, v45, v108, v44
	v_mul_u32_u24_e32 v97, 0x10001, v97
	v_mul_u32_u24_e32 v96, 0x10001, v96
	;; [unrolled: 1-line block ×3, first 2 shown]
	s_wait_dscnt 0x4
	v_pk_fma_f16 v107, v12, v107, v109
	v_pk_fma_f16 v12, v12, v106, v44
	ds_load_2addr_b32 v[50:51], v86 offset0:128 offset1:160
	v_mul_u32_u24_e32 v93, 0x10001, v93
	v_mul_u32_u24_e32 v92, 0x10001, v92
	v_pk_fma_f16 v105, v13, v105, v107
	v_pk_fma_f16 v12, v13, v104, v12
	ds_load_b128 v[8:11], v80 offset:96
	ds_load_b128 v[4:7], v80 offset:112
	ds_load_2addr_b32 v[56:57], v86 offset0:192 offset1:224
	s_wait_dscnt 0x7
	v_pk_fma_f16 v103, v14, v103, v105
	v_pk_fma_f16 v12, v14, v102, v12
	v_mul_u32_u24_e32 v14, 0x10001, v99
	v_lshrrev_b32_e32 v45, 16, v0
	v_and_b32_e32 v0, 0xffff, v0
	v_pk_fma_f16 v99, v15, v101, v103
	v_pk_fma_f16 v12, v15, v100, v12
	v_mul_u32_u24_e32 v89, 0x10001, v89
	v_mul_u32_u24_e32 v88, 0x10001, v88
	v_dual_lshrrev_b32 v108, 16, v1 :: v_dual_lshrrev_b32 v44, 16, v2
	s_wait_dscnt 0x6
	v_pk_fma_f16 v14, v46, v14, v99
	v_pk_fma_f16 v12, v46, v98, v12
	v_mul_u32_u24_e32 v46, 0x10001, v95
	v_and_b32_e32 v1, 0xffff, v1
	v_mul_u32_u24_e32 v0, 0x10001, v0
	v_pk_fma_f16 v14, v47, v97, v14
	v_pk_fma_f16 v12, v47, v96, v12
	v_mul_u32_u24_e32 v45, 0x10001, v45
	ds_load_2addr_b32 v[58:59], v87 offset1:32
	v_and_b32_e32 v2, 0xffff, v2
	s_wait_dscnt 0x6
	v_pk_fma_f16 v14, v48, v46, v14
	v_pk_fma_f16 v12, v48, v94, v12
	v_mul_u32_u24_e32 v46, 0x10001, v91
	v_mul_u32_u24_e32 v48, 0x10001, v90
	v_mul_u32_u24_e32 v1, 0x10001, v1
	v_pk_fma_f16 v14, v49, v93, v14
	v_pk_fma_f16 v12, v49, v92, v12
	s_wait_dscnt 0x3
	v_dual_lshrrev_b32 v13, 16, v3 :: v_dual_lshrrev_b32 v15, 16, v8
	v_and_b32_e32 v3, 0xffff, v3
	v_pk_fma_f16 v14, v52, v46, v14
	v_pk_fma_f16 v12, v52, v48, v12
	v_mul_u32_u24_e32 v48, 0x10001, v108
	v_mul_u32_u24_e32 v2, 0x10001, v2
	ds_load_2addr_b32 v[54:55], v87 offset0:64 offset1:96
	v_pk_fma_f16 v14, v53, v89, v14
	v_pk_fma_f16 v12, v53, v88, v12
	v_and_b32_e32 v8, 0xffff, v8
	v_mul_u32_u24_e32 v3, 0x10001, v3
	v_mul_u32_u24_e32 v13, 0x10001, v13
	v_pk_fma_f16 v0, v50, v0, v14
	v_pk_fma_f16 v12, v50, v45, v12
	v_mul_u32_u24_e32 v14, 0x10001, v44
	v_dual_lshrrev_b32 v47, 16, v9 :: v_dual_lshrrev_b32 v49, 16, v10
	s_delay_alu instid0(VALU_DEP_4) | instskip(NEXT) | instid1(VALU_DEP_4)
	v_pk_fma_f16 v0, v51, v1, v0
	v_pk_fma_f16 v1, v51, v48, v12
	v_and_b32_e32 v9, 0xffff, v9
	s_wait_dscnt 0x3
	v_dual_lshrrev_b32 v46, 16, v11 :: v_dual_lshrrev_b32 v12, 16, v4
	s_wait_dscnt 0x2
	v_pk_fma_f16 v0, v56, v2, v0
	v_pk_fma_f16 v1, v56, v14, v1
	v_and_b32_e32 v2, 0xffff, v4
	v_mul_u32_u24_e32 v4, 0x10001, v8
	v_mul_u32_u24_e32 v8, 0x10001, v15
	v_pk_fma_f16 v0, v57, v3, v0
	v_pk_fma_f16 v1, v57, v13, v1
	ds_load_2addr_b32 v[60:61], v87 offset0:128 offset1:160
	v_and_b32_e32 v10, 0xffff, v10
	v_mul_u32_u24_e32 v9, 0x10001, v9
	v_mul_u32_u24_e32 v13, 0x10001, v47
	s_wait_dscnt 0x2
	v_pk_fma_f16 v0, v58, v4, v0
	v_pk_fma_f16 v1, v58, v8, v1
	v_and_b32_e32 v11, 0xffff, v11
	v_lshrrev_b32_e32 v3, 16, v5
	v_and_b32_e32 v4, 0xffff, v5
	v_mul_u32_u24_e32 v5, 0x10001, v10
	v_mul_u32_u24_e32 v8, 0x10001, v49
	v_pk_fma_f16 v0, v59, v9, v0
	v_pk_fma_f16 v1, v59, v13, v1
	ds_load_2addr_b32 v[62:63], v87 offset0:192 offset1:224
	v_mul_u32_u24_e32 v10, 0x10001, v11
	v_mul_u32_u24_e32 v11, 0x10001, v46
	s_wait_dscnt 0x2
	v_pk_fma_f16 v0, v54, v5, v0
	v_pk_fma_f16 v1, v54, v8, v1
	s_wait_dscnt 0x0
	s_barrier_signal -1
	s_barrier_wait -1
	s_load_b32 s2, s[24:25], 0x4
	v_lshrrev_b32_e32 v9, 16, v6
	v_and_b32_e32 v5, 0xffff, v6
	v_mul_u32_u24_e32 v2, 0x10001, v2
	v_mul_u32_u24_e32 v6, 0x10001, v12
	v_pk_fma_f16 v0, v55, v10, v0
	v_pk_fma_f16 v1, v55, v11, v1
	v_mul_u32_u24_e32 v4, 0x10001, v4
	v_mul_u32_u24_e32 v3, 0x10001, v3
	v_lshrrev_b32_e32 v8, 16, v7
	v_pk_fma_f16 v0, v60, v2, v0
	v_pk_fma_f16 v1, v60, v6, v1
	v_and_b32_e32 v2, 0xffff, v7
	v_mul_u32_u24_e32 v5, 0x10001, v5
	v_mul_u32_u24_e32 v6, 0x10001, v9
	v_pk_fma_f16 v0, v61, v4, v0
	v_pk_fma_f16 v1, v61, v3, v1
	v_mul_u32_u24_e32 v2, 0x10001, v2
	v_mul_u32_u24_e32 v3, 0x10001, v8
	v_pk_fma_f32 v[24:25], v[24:25], v[42:43], v[40:41]
	v_pk_fma_f16 v0, v62, v5, v0
	v_pk_fma_f16 v1, v62, v6, v1
	s_wait_kmcnt 0x0
	s_lshl_b32 s2, s2, 5
	s_delay_alu instid0(SALU_CYCLE_1)
	s_add_co_i32 s10, s2, s10
	v_pk_fma_f16 v45, v63, v2, v0
	v_pk_fma_f16 v44, v63, v3, v1
	s_cmp_ge_i32 s10, s30
	s_cbranch_scc0 .LBB30_9
; %bb.10:
	v_dual_mov_b32 v3, v65 :: v_dual_lshlrev_b32 v6, 1, v17
.LBB30_11:
	v_cmp_lt_i32_e32 vcc_lo, v72, v66
	s_cmp_lg_u64 s[12:13], 0
	s_cselect_b32 s2, -1, 0
	s_cmp_eq_u32 s5, 0
	v_cndmask_b32_e32 v0, v3, v72, vcc_lo
	v_cmp_lt_i32_e32 vcc_lo, v70, v66
	s_cselect_b32 s3, -1, 0
	s_delay_alu instid0(SALU_CYCLE_1) | instskip(NEXT) | instid1(VALU_DEP_2)
	s_and_b32 s2, s3, s2
	v_dual_cndmask_b32 v2, v3, v70 :: v_dual_lshlrev_b32 v1, 2, v0
	v_cmp_lt_i32_e32 vcc_lo, v69, v66
	s_delay_alu instid0(VALU_DEP_2)
	v_lshlrev_b32_e32 v2, 2, v2
	ds_bpermute_b32 v0, v1, v24
	ds_bpermute_b32 v1, v1, v25
	s_wait_dscnt 0x0
	v_pk_add_f32 v[0:1], v[24:25], v[0:1]
	ds_bpermute_b32 v4, v2, v0
	ds_bpermute_b32 v5, v2, v1
	v_cndmask_b32_e32 v2, v3, v69, vcc_lo
	v_cmp_lt_i32_e32 vcc_lo, v68, v66
	s_delay_alu instid0(VALU_DEP_2)
	v_lshlrev_b32_e32 v2, 2, v2
	s_wait_dscnt 0x0
	v_pk_add_f32 v[0:1], v[0:1], v[4:5]
	ds_bpermute_b32 v4, v2, v0
	ds_bpermute_b32 v5, v2, v1
	v_cndmask_b32_e32 v2, v3, v68, vcc_lo
	v_cmp_lt_i32_e32 vcc_lo, v67, v66
	s_delay_alu instid0(VALU_DEP_2)
	v_lshlrev_b32_e32 v2, 2, v2
	s_wait_dscnt 0x0
	v_pk_add_f32 v[0:1], v[0:1], v[4:5]
	ds_bpermute_b32 v4, v2, v0
	ds_bpermute_b32 v5, v2, v1
	v_cndmask_b32_e32 v2, v3, v67, vcc_lo
	s_and_b32 vcc_lo, exec_lo, s2
	s_mov_b32 s2, 0
	s_delay_alu instid0(VALU_DEP_1)
	v_lshlrev_b32_e32 v2, 2, v2
	s_wait_dscnt 0x0
	v_pk_add_f32 v[0:1], v[0:1], v[4:5]
	ds_bpermute_b32 v4, v2, v0
	ds_bpermute_b32 v5, v2, v1
	v_add_nc_u32_e32 v2, s33, v16
	s_cbranch_vccnz .LBB30_14
; %bb.12:
	v_add_nc_u32_e32 v3, s33, v16
	s_wait_dscnt 0x0
	v_pk_add_f32 v[0:1], v[0:1], v[4:5]
	s_and_not1_b32 vcc_lo, exec_lo, s2
	s_cbranch_vccz .LBB30_15
; %bb.13:
	v_mov_b32_e32 v2, v3
	s_branch .LBB30_16
.LBB30_14:
                                        ; implicit-def: $vgpr3
	s_wait_dscnt 0x0
	v_pk_add_f32 v[0:1], v[0:1], v[4:5]
.LBB30_15:
	s_delay_alu instid0(VALU_DEP_2) | instskip(NEXT) | instid1(VALU_DEP_1)
	v_dual_ashrrev_i32 v3, 31, v2 :: v_dual_max_num_f32 v9, v19, v19
	v_lshl_add_u64 v[4:5], v[2:3], 2, s[12:13]
	v_max_num_f32_e32 v3, v18, v18
	global_load_b64 v[4:5], v[4:5], off
	s_wait_loadcnt 0x0
	v_dual_max_num_f32 v7, v4, v4 :: v_dual_max_num_f32 v10, v5, v5
	s_delay_alu instid0(VALU_DEP_1) | instskip(NEXT) | instid1(VALU_DEP_1)
	v_dual_max_num_f32 v8, v3, v7 :: v_dual_max_num_f32 v9, v9, v10
	v_dual_sub_f32 v3, v18, v8 :: v_dual_sub_f32 v7, v4, v8
	s_delay_alu instid0(VALU_DEP_2) | instskip(NEXT) | instid1(VALU_DEP_2)
	v_dual_sub_f32 v10, v19, v9 :: v_dual_sub_f32 v11, v5, v9
	v_mul_f32_e32 v4, 0x3fb8aa3b, v3
	s_delay_alu instid0(VALU_DEP_2) | instskip(SKIP_1) | instid1(VALU_DEP_3)
	v_dual_mul_f32 v5, 0x3fb8aa3b, v7 :: v_dual_mul_f32 v12, 0x3fb8aa3b, v10
	v_cmp_ngt_f32_e32 vcc_lo, 0xc2ce8ed0, v3
	v_fma_f32 v14, 0x3fb8aa3b, v3, -v4
	v_rndne_f32_e32 v15, v4
	s_delay_alu instid0(VALU_DEP_4)
	v_rndne_f32_e32 v18, v5
	v_fma_f32 v19, 0x3fb8aa3b, v10, -v12
	v_rndne_f32_e32 v20, v12
	v_mul_f32_e32 v13, 0x3fb8aa3b, v11
	v_fmac_f32_e32 v14, 0x32a5705f, v3
	v_sub_f32_e32 v4, v4, v15
	v_fma_f32 v16, 0x3fb8aa3b, v7, -v5
	v_dual_fmac_f32 v19, 0x32a5705f, v10 :: v_dual_sub_f32 v12, v12, v20
	v_fma_f32 v21, 0x3fb8aa3b, v11, -v13
	v_rndne_f32_e32 v22, v13
	v_sub_f32_e32 v5, v5, v18
	v_add_f32_e32 v4, v4, v14
	v_fmac_f32_e32 v16, 0x32a5705f, v7
	v_fmac_f32_e32 v21, 0x32a5705f, v11
	v_dual_sub_f32 v13, v13, v22 :: v_dual_add_f32 v12, v12, v19
	s_delay_alu instid0(VALU_DEP_4)
	v_exp_f32_e32 v4, v4
	v_cvt_i32_f32_e32 v15, v15
	v_add_f32_e32 v5, v5, v16
	v_cvt_i32_f32_e32 v14, v18
	v_exp_f32_e32 v12, v12
	v_cvt_i32_f32_e32 v18, v20
	v_cvt_i32_f32_e32 v16, v22
	v_ldexp_f32 v4, v4, v15
	v_add_f32_e32 v13, v13, v21
	v_exp_f32_e32 v15, v5
	s_delay_alu instid0(TRANS32_DEP_2) | instskip(NEXT) | instid1(VALU_DEP_3)
	v_ldexp_f32 v12, v12, v18
	v_cndmask_b32_e32 v4, 0, v4, vcc_lo
	v_cmp_ngt_f32_e32 vcc_lo, 0xc2ce8ed0, v10
	v_mov_b64_e32 v[18:19], v[8:9]
	s_delay_alu instid0(VALU_DEP_4)
	v_cndmask_b32_e32 v5, 0, v12, vcc_lo
	v_cmp_nlt_f32_e32 vcc_lo, 0x42b17218, v3
	v_exp_f32_e32 v12, v13
	v_ldexp_f32 v3, v15, v14
	v_cndmask_b32_e32 v4, 0x7f800000, v4, vcc_lo
	v_cmp_nlt_f32_e32 vcc_lo, 0x42b17218, v10
	s_delay_alu instid0(TRANS32_DEP_1) | instskip(NEXT) | instid1(VALU_DEP_3)
	v_ldexp_f32 v10, v12, v16
	v_cvt_f16_f32_e32 v12, v4
	v_cndmask_b32_e32 v5, 0x7f800000, v5, vcc_lo
	v_cmp_ngt_f32_e32 vcc_lo, 0xc2ce8ed0, v7
	s_delay_alu instid0(VALU_DEP_3) | instskip(NEXT) | instid1(VALU_DEP_3)
	v_and_b32_e32 v12, 0xffff, v12
	v_cvt_f16_f32_e32 v13, v5
	v_cndmask_b32_e32 v3, 0, v3, vcc_lo
	v_cmp_ngt_f32_e32 vcc_lo, 0xc2ce8ed0, v11
	s_delay_alu instid0(VALU_DEP_3) | instskip(SKIP_2) | instid1(VALU_DEP_3)
	v_and_b32_e32 v13, 0xffff, v13
	v_cndmask_b32_e32 v14, 0, v10, vcc_lo
	v_cmp_nlt_f32_e32 vcc_lo, 0x42b17218, v7
	v_mul_u32_u24_e32 v7, 0x10001, v13
	v_cndmask_b32_e32 v10, 0x7f800000, v3, vcc_lo
	v_cmp_nlt_f32_e32 vcc_lo, 0x42b17218, v11
	v_mul_u32_u24_e32 v3, 0x10001, v12
	s_delay_alu instid0(VALU_DEP_4) | instskip(SKIP_1) | instid1(VALU_DEP_3)
	v_pk_mul_f16 v44, v44, v7
	v_cndmask_b32_e32 v11, 0x7f800000, v14, vcc_lo
	v_pk_mul_f16 v45, v45, v3
	s_delay_alu instid0(VALU_DEP_2)
	v_pk_fma_f32 v[0:1], v[0:1], v[4:5], v[10:11]
.LBB30_16:
	s_load_b32 s0, s[0:1], 0xd4
	v_mov_b32_e32 v4, 1.0
	s_wait_kmcnt 0x0
	s_cmp_lg_u32 s0, 1
	s_cselect_b32 s2, -1, 0
	s_cmp_eq_u32 s0, 1
	s_cselect_b32 s1, -1, 0
	s_and_b32 vcc_lo, exec_lo, s2
	s_cbranch_vccnz .LBB30_18
; %bb.17:
	v_div_scale_f32 v3, null, v0, v0, 1.0
	s_delay_alu instid0(VALU_DEP_1) | instskip(SKIP_1) | instid1(TRANS32_DEP_1)
	v_rcp_f32_e32 v4, v3
	v_nop
	v_fma_f32 v5, -v3, v4, 1.0
	s_delay_alu instid0(VALU_DEP_1) | instskip(SKIP_1) | instid1(VALU_DEP_1)
	v_fmac_f32_e32 v4, v5, v4
	v_div_scale_f32 v5, vcc_lo, 1.0, v0, 1.0
	v_mul_f32_e32 v7, v5, v4
	s_delay_alu instid0(VALU_DEP_1) | instskip(NEXT) | instid1(VALU_DEP_1)
	v_fma_f32 v8, -v3, v7, v5
	v_fmac_f32_e32 v7, v8, v4
	s_delay_alu instid0(VALU_DEP_1) | instskip(NEXT) | instid1(VALU_DEP_1)
	v_fma_f32 v3, -v3, v7, v5
	v_div_fmas_f32 v3, v3, v4, v7
	s_delay_alu instid0(VALU_DEP_1)
	v_div_fixup_f32 v4, v3, v0, 1.0
.LBB30_18:
	v_mad_u32 v3, s28, s22, v64
	v_cvt_f32_f16_e32 v10, v45
	v_cmp_eq_u32_e32 vcc_lo, 0, v17
	v_mov_b32_e32 v9, 0
	s_and_b32 s2, vcc_lo, s2
	s_delay_alu instid0(VALU_DEP_4) | instskip(SKIP_1) | instid1(VALU_DEP_1)
	v_mad_u32 v2, v3, s23, v2
	v_lshrrev_b32_e32 v3, 16, v45
	v_cvt_f32_f16_e32 v11, v3
	s_delay_alu instid0(VALU_DEP_1) | instskip(NEXT) | instid1(VALU_DEP_4)
	v_pk_mul_f32 v[4:5], v[4:5], v[10:11] op_sel_hi:[0,1]
	v_mad_u32 v2, s0, v2, s5
	s_delay_alu instid0(VALU_DEP_1) | instskip(NEXT) | instid1(VALU_DEP_1)
	v_lshl_add_u32 v8, v2, 6, v6
	v_lshl_add_u64 v[8:9], v[8:9], 2, s[16:17]
	global_store_b64 v[8:9], v[4:5], off
	s_wait_xcnt 0x0
	s_and_saveexec_b32 s3, s2
	s_cbranch_execz .LBB30_20
; %bb.19:
	v_dual_mov_b32 v4, v18 :: v_dual_mov_b32 v5, v0
	global_store_b64 v2, v[4:5], s[18:19] scale_offset
.LBB30_20:
	s_wait_xcnt 0x0
	s_or_b32 exec_lo, exec_lo, s3
	v_mov_b32_e32 v0, 1.0
	s_and_not1_b32 vcc_lo, exec_lo, s1
	s_cbranch_vccnz .LBB30_22
; %bb.21:
	v_div_scale_f32 v0, null, v1, v1, 1.0
	s_delay_alu instid0(VALU_DEP_1) | instskip(SKIP_1) | instid1(TRANS32_DEP_1)
	v_rcp_f32_e32 v3, v0
	v_nop
	v_fma_f32 v4, -v0, v3, 1.0
	s_delay_alu instid0(VALU_DEP_1) | instskip(SKIP_1) | instid1(VALU_DEP_1)
	v_fmac_f32_e32 v3, v4, v3
	v_div_scale_f32 v4, vcc_lo, 1.0, v1, 1.0
	v_mul_f32_e32 v5, v4, v3
	s_delay_alu instid0(VALU_DEP_1) | instskip(NEXT) | instid1(VALU_DEP_1)
	v_fma_f32 v7, -v0, v5, v4
	v_fmac_f32_e32 v5, v7, v3
	s_delay_alu instid0(VALU_DEP_1) | instskip(NEXT) | instid1(VALU_DEP_1)
	v_fma_f32 v0, -v0, v5, v4
	v_div_fmas_f32 v0, v0, v3, v5
	s_delay_alu instid0(VALU_DEP_1)
	v_div_fixup_f32 v0, v0, v1, 1.0
.LBB30_22:
	v_dual_add_nc_u32 v2, s0, v2 :: v_dual_lshrrev_b32 v3, 16, v44
	v_mov_b32_e32 v5, 0
	v_cvt_f32_f16_e32 v8, v44
	s_delay_alu instid0(VALU_DEP_3) | instskip(NEXT) | instid1(VALU_DEP_4)
	v_lshl_add_u32 v4, v2, 6, v6
	v_cvt_f32_f16_e32 v9, v3
	s_delay_alu instid0(VALU_DEP_2) | instskip(NEXT) | instid1(VALU_DEP_2)
	v_lshl_add_u64 v[4:5], v[4:5], 2, s[16:17]
	v_pk_mul_f32 v[6:7], v[0:1], v[8:9] op_sel_hi:[0,1]
	global_store_b64 v[4:5], v[6:7], off
	s_wait_xcnt 0x0
	s_and_saveexec_b32 s0, s2
	s_cbranch_execz .LBB30_24
; %bb.23:
	v_mov_b32_e32 v0, v19
	global_store_b64 v2, v[0:1], s[18:19] scale_offset
.LBB30_24:
	s_sendmsg sendmsg(MSG_DEALLOC_VGPRS)
	s_endpgm
	.section	.rodata,"a",@progbits
	.p2align	6, 0x0
	.amdhsa_kernel _ZL15flash_attn_tileILi64ELi64ELi1ELi4ELb0EEvPKcS1_S1_S1_S1_PKiPfP15HIP_vector_typeIfLj2EEffffjfiS5_IjLj3EEiiiiiiiiiiiliiliiiiil
		.amdhsa_group_segment_fixed_size 5376
		.amdhsa_private_segment_fixed_size 0
		.amdhsa_kernarg_size 464
		.amdhsa_user_sgpr_count 2
		.amdhsa_user_sgpr_dispatch_ptr 0
		.amdhsa_user_sgpr_queue_ptr 0
		.amdhsa_user_sgpr_kernarg_segment_ptr 1
		.amdhsa_user_sgpr_dispatch_id 0
		.amdhsa_user_sgpr_kernarg_preload_length 0
		.amdhsa_user_sgpr_kernarg_preload_offset 0
		.amdhsa_user_sgpr_private_segment_size 0
		.amdhsa_wavefront_size32 1
		.amdhsa_uses_dynamic_stack 0
		.amdhsa_enable_private_segment 0
		.amdhsa_system_sgpr_workgroup_id_x 1
		.amdhsa_system_sgpr_workgroup_id_y 1
		.amdhsa_system_sgpr_workgroup_id_z 1
		.amdhsa_system_sgpr_workgroup_info 0
		.amdhsa_system_vgpr_workitem_id 1
		.amdhsa_next_free_vgpr 124
		.amdhsa_next_free_sgpr 43
		.amdhsa_named_barrier_count 0
		.amdhsa_reserve_vcc 1
		.amdhsa_float_round_mode_32 0
		.amdhsa_float_round_mode_16_64 0
		.amdhsa_float_denorm_mode_32 3
		.amdhsa_float_denorm_mode_16_64 3
		.amdhsa_fp16_overflow 0
		.amdhsa_memory_ordered 1
		.amdhsa_forward_progress 1
		.amdhsa_inst_pref_size 50
		.amdhsa_round_robin_scheduling 0
		.amdhsa_exception_fp_ieee_invalid_op 0
		.amdhsa_exception_fp_denorm_src 0
		.amdhsa_exception_fp_ieee_div_zero 0
		.amdhsa_exception_fp_ieee_overflow 0
		.amdhsa_exception_fp_ieee_underflow 0
		.amdhsa_exception_fp_ieee_inexact 0
		.amdhsa_exception_int_div_zero 0
	.end_amdhsa_kernel
	.section	.text._ZL15flash_attn_tileILi64ELi64ELi1ELi4ELb0EEvPKcS1_S1_S1_S1_PKiPfP15HIP_vector_typeIfLj2EEffffjfiS5_IjLj3EEiiiiiiiiiiiliiliiiiil,"axG",@progbits,_ZL15flash_attn_tileILi64ELi64ELi1ELi4ELb0EEvPKcS1_S1_S1_S1_PKiPfP15HIP_vector_typeIfLj2EEffffjfiS5_IjLj3EEiiiiiiiiiiiliiliiiiil,comdat
.Lfunc_end30:
	.size	_ZL15flash_attn_tileILi64ELi64ELi1ELi4ELb0EEvPKcS1_S1_S1_S1_PKiPfP15HIP_vector_typeIfLj2EEffffjfiS5_IjLj3EEiiiiiiiiiiiliiliiiiil, .Lfunc_end30-_ZL15flash_attn_tileILi64ELi64ELi1ELi4ELb0EEvPKcS1_S1_S1_S1_PKiPfP15HIP_vector_typeIfLj2EEffffjfiS5_IjLj3EEiiiiiiiiiiiliiliiiiil
                                        ; -- End function
	.set _ZL15flash_attn_tileILi64ELi64ELi1ELi4ELb0EEvPKcS1_S1_S1_S1_PKiPfP15HIP_vector_typeIfLj2EEffffjfiS5_IjLj3EEiiiiiiiiiiiliiliiiiil.num_vgpr, 124
	.set _ZL15flash_attn_tileILi64ELi64ELi1ELi4ELb0EEvPKcS1_S1_S1_S1_PKiPfP15HIP_vector_typeIfLj2EEffffjfiS5_IjLj3EEiiiiiiiiiiiliiliiiiil.num_agpr, 0
	.set _ZL15flash_attn_tileILi64ELi64ELi1ELi4ELb0EEvPKcS1_S1_S1_S1_PKiPfP15HIP_vector_typeIfLj2EEffffjfiS5_IjLj3EEiiiiiiiiiiiliiliiiiil.numbered_sgpr, 43
	.set _ZL15flash_attn_tileILi64ELi64ELi1ELi4ELb0EEvPKcS1_S1_S1_S1_PKiPfP15HIP_vector_typeIfLj2EEffffjfiS5_IjLj3EEiiiiiiiiiiiliiliiiiil.num_named_barrier, 0
	.set _ZL15flash_attn_tileILi64ELi64ELi1ELi4ELb0EEvPKcS1_S1_S1_S1_PKiPfP15HIP_vector_typeIfLj2EEffffjfiS5_IjLj3EEiiiiiiiiiiiliiliiiiil.private_seg_size, 0
	.set _ZL15flash_attn_tileILi64ELi64ELi1ELi4ELb0EEvPKcS1_S1_S1_S1_PKiPfP15HIP_vector_typeIfLj2EEffffjfiS5_IjLj3EEiiiiiiiiiiiliiliiiiil.uses_vcc, 1
	.set _ZL15flash_attn_tileILi64ELi64ELi1ELi4ELb0EEvPKcS1_S1_S1_S1_PKiPfP15HIP_vector_typeIfLj2EEffffjfiS5_IjLj3EEiiiiiiiiiiiliiliiiiil.uses_flat_scratch, 0
	.set _ZL15flash_attn_tileILi64ELi64ELi1ELi4ELb0EEvPKcS1_S1_S1_S1_PKiPfP15HIP_vector_typeIfLj2EEffffjfiS5_IjLj3EEiiiiiiiiiiiliiliiiiil.has_dyn_sized_stack, 0
	.set _ZL15flash_attn_tileILi64ELi64ELi1ELi4ELb0EEvPKcS1_S1_S1_S1_PKiPfP15HIP_vector_typeIfLj2EEffffjfiS5_IjLj3EEiiiiiiiiiiiliiliiiiil.has_recursion, 0
	.set _ZL15flash_attn_tileILi64ELi64ELi1ELi4ELb0EEvPKcS1_S1_S1_S1_PKiPfP15HIP_vector_typeIfLj2EEffffjfiS5_IjLj3EEiiiiiiiiiiiliiliiiiil.has_indirect_call, 0
	.section	.AMDGPU.csdata,"",@progbits
; Kernel info:
; codeLenInByte = 6372
; TotalNumSgprs: 45
; NumVgprs: 124
; ScratchSize: 0
; MemoryBound: 0
; FloatMode: 240
; IeeeMode: 1
; LDSByteSize: 5376 bytes/workgroup (compile time only)
; SGPRBlocks: 0
; VGPRBlocks: 7
; NumSGPRsForWavesPerEU: 45
; NumVGPRsForWavesPerEU: 124
; NamedBarCnt: 0
; Occupancy: 8
; WaveLimiterHint : 1
; COMPUTE_PGM_RSRC2:SCRATCH_EN: 0
; COMPUTE_PGM_RSRC2:USER_SGPR: 2
; COMPUTE_PGM_RSRC2:TRAP_HANDLER: 0
; COMPUTE_PGM_RSRC2:TGID_X_EN: 1
; COMPUTE_PGM_RSRC2:TGID_Y_EN: 1
; COMPUTE_PGM_RSRC2:TGID_Z_EN: 1
; COMPUTE_PGM_RSRC2:TIDIG_COMP_CNT: 1
	.section	.text._ZL33flash_attn_stream_k_fixup_uniformILi64ELi1ELi4EEvPfPK15HIP_vector_typeIfLj2EEiiiiiiS1_IjLj3EES5_S5_,"axG",@progbits,_ZL33flash_attn_stream_k_fixup_uniformILi64ELi1ELi4EEvPfPK15HIP_vector_typeIfLj2EEiiiiiiS1_IjLj3EES5_S5_,comdat
	.globl	_ZL33flash_attn_stream_k_fixup_uniformILi64ELi1ELi4EEvPfPK15HIP_vector_typeIfLj2EEiiiiiiS1_IjLj3EES5_S5_ ; -- Begin function _ZL33flash_attn_stream_k_fixup_uniformILi64ELi1ELi4EEvPfPK15HIP_vector_typeIfLj2EEiiiiiiS1_IjLj3EES5_S5_
	.p2align	8
	.type	_ZL33flash_attn_stream_k_fixup_uniformILi64ELi1ELi4EEvPfPK15HIP_vector_typeIfLj2EEiiiiiiS1_IjLj3EES5_S5_,@function
_ZL33flash_attn_stream_k_fixup_uniformILi64ELi1ELi4EEvPfPK15HIP_vector_typeIfLj2EEiiiiiiS1_IjLj3EES5_S5_: ; @_ZL33flash_attn_stream_k_fixup_uniformILi64ELi1ELi4EEvPfPK15HIP_vector_typeIfLj2EEiiiiiiS1_IjLj3EES5_S5_
; %bb.0:
	s_load_b256 s[4:11], s[0:1], 0x1c
	s_bfe_u32 s2, ttmp6, 0x40014
	s_lshr_b32 s3, ttmp7, 16
	s_add_co_i32 s2, s2, 1
	s_bfe_u32 s13, ttmp6, 0x40010
	s_mul_i32 s2, s3, s2
	s_bfe_u32 s12, ttmp6, 0x40008
	s_and_b32 s15, ttmp7, 0xffff
	s_add_co_i32 s13, s13, 1
	s_bfe_u32 s14, ttmp6, 0x4000c
	s_add_co_i32 s12, s12, s2
	s_mul_i32 s2, s15, s13
	s_bfe_u32 s13, ttmp6, 0x40004
	s_add_co_i32 s14, s14, 1
	s_add_co_i32 s13, s13, s2
	s_and_b32 s2, ttmp6, 15
	s_mul_i32 s14, ttmp9, s14
	s_getreg_b32 s20, hwreg(HW_REG_IB_STS2, 6, 4)
	s_add_co_i32 s2, s2, s14
	s_load_b128 s[16:19], s[0:1], 0x3c
	s_cmp_eq_u32 s20, 0
	s_cselect_b32 s14, ttmp9, s2
	s_cselect_b32 s13, s15, s13
	s_wait_kmcnt 0x0
	s_mul_hi_u32 s2, s7, s14
	s_cselect_b32 s12, s3, s12
	s_add_co_i32 s2, s14, s2
	s_delay_alu instid0(SALU_CYCLE_1) | instskip(NEXT) | instid1(SALU_CYCLE_1)
	s_lshr_b32 s7, s2, s8
	s_mul_i32 s2, s7, s9
	s_delay_alu instid0(SALU_CYCLE_1) | instskip(SKIP_2) | instid1(SALU_CYCLE_1)
	s_sub_co_i32 s8, s14, s2
	s_load_b64 s[2:3], s[0:1], 0x10
	s_mul_hi_u32 s9, s8, s10
	s_add_co_i32 s9, s8, s9
	s_delay_alu instid0(SALU_CYCLE_1) | instskip(NEXT) | instid1(SALU_CYCLE_1)
	s_lshr_b32 s15, s9, s11
	s_mul_i32 s9, s15, s16
	s_delay_alu instid0(SALU_CYCLE_1) | instskip(NEXT) | instid1(SALU_CYCLE_1)
	s_sub_co_i32 s8, s8, s9
	s_mul_hi_u32 s9, s8, s17
	s_delay_alu instid0(SALU_CYCLE_1) | instskip(NEXT) | instid1(SALU_CYCLE_1)
	s_add_co_i32 s9, s8, s9
	s_lshr_b32 s9, s9, s18
	s_delay_alu instid0(SALU_CYCLE_1) | instskip(SKIP_2) | instid1(SALU_CYCLE_1)
	s_mul_i32 s10, s9, s19
	s_lshl_b32 s17, s9, 2
	s_sub_co_i32 s16, s8, s10
	s_add_co_i32 s16, s16, s13
	s_wait_kmcnt 0x0
	s_cmp_lt_i32 s16, s2
	s_cselect_b32 s8, -1, 0
	s_add_co_i32 s17, s17, s12
	s_delay_alu instid0(SALU_CYCLE_1) | instskip(SKIP_1) | instid1(SALU_CYCLE_1)
	s_cmp_lt_i32 s17, s5
	s_cselect_b32 s9, -1, 0
	s_and_b32 s8, s8, s9
	s_delay_alu instid0(SALU_CYCLE_1)
	s_and_not1_b32 vcc_lo, exec_lo, s8
	s_cbranch_vccnz .LBB31_6
; %bb.1:
	s_load_b128 s[8:11], s[0:1], 0x0
	s_mul_i32 s7, s7, s2
	s_mul_i32 s15, s15, s5
	s_wait_xcnt 0x0
	s_add_co_i32 s0, s16, s7
	s_add_co_i32 s1, s17, s15
	s_mul_i32 s0, s0, s3
	s_mul_i32 s7, s6, s14
	s_add_co_i32 s1, s1, s0
	s_add_co_i32 s5, s7, s6
	v_lshl_or_b32 v4, s1, 6, v0
	s_add_co_i32 s0, s13, s5
	s_add_co_i32 s2, s5, -2
	s_lshl_b32 s0, s0, 2
	s_delay_alu instid0(SALU_CYCLE_1) | instskip(SKIP_2) | instid1(SALU_CYCLE_1)
	s_add_co_i32 s0, s0, s12
	v_ashrrev_i32_e32 v5, 31, v4
	s_add_co_i32 s0, s0, -4
	s_ashr_i32 s1, s0, 31
	s_delay_alu instid0(SALU_CYCLE_1)
	s_lshl_b64 s[0:1], s[0:1], 3
	s_wait_kmcnt 0x0
	global_load_b32 v3, v4, s[8:9] scale_offset
	s_add_nc_u64 s[0:1], s[10:11], s[0:1]
	s_cmp_lt_i32 s2, s7
	s_load_b32 s15, s[0:1], 0x4
	s_cbranch_scc1 .LBB31_4
; %bb.2:
	s_wait_xcnt 0x0
	s_load_b32 s0, s[0:1], 0x0
	s_add_co_i32 s14, s14, 1
	s_wait_xcnt 0x0
	s_lshl_b32 s1, s12, 6
	s_mul_i32 s3, s6, s14
	s_lshl_b32 s6, s13, 8
	s_lshl_b32 s14, s3, 8
	s_add_co_i32 s1, s1, s6
	s_lshl_b32 s2, s4, 4
	s_add_co_i32 s1, s1, s14
	s_add_co_i32 s4, s13, s4
	s_wait_kmcnt 0x0
	v_dual_mov_b32 v2, s15 :: v_dual_bitop2_b32 v0, s1, v0 bitop3:0x54
	s_add_co_i32 s4, s4, s5
	s_ashr_i32 s3, s2, 31
	s_lshl_b32 s1, s4, 2
	s_delay_alu instid0(VALU_DEP_1)
	v_add_nc_u32_e32 v0, 0xfffffe00, v0
	s_lshl_b64 s[2:3], s[2:3], 2
	s_add_co_i32 s4, s12, s1
	s_add_nc_u64 s[2:3], s[10:11], s[2:3]
	s_add_co_i32 s1, s5, -1
	s_add_co_i32 s4, s4, -8
.LBB31_3:                               ; =>This Inner Loop Header: Depth=1
	global_load_b32 v7, v0, s[2:3] scale_offset
	s_ashr_i32 s5, s4, 31
	v_max_num_f32_e64 v1, s0, s0
	s_lshl_b64 s[12:13], s[4:5], 3
	s_delay_alu instid0(SALU_CYCLE_1) | instskip(SKIP_1) | instid1(VALU_DEP_1)
	s_add_nc_u64 s[12:13], s[10:11], s[12:13]
	s_load_b64 s[12:13], s[12:13], 0x0
	v_readfirstlane_b32 s5, v1
	v_add_nc_u32_e32 v0, 0xffffff00, v0
	s_wait_kmcnt 0x0
	v_max_num_f32_e64 v1, s12, s12
	s_delay_alu instid0(VALU_DEP_1) | instskip(SKIP_1) | instid1(SALU_CYCLE_3)
	v_readfirstlane_b32 s6, v1
	s_max_num_f32 s5, s5, s6
	s_sub_f32 s0, s0, s5
	s_sub_f32 s6, s12, s5
	s_delay_alu instid0(SALU_CYCLE_2) | instskip(NEXT) | instid1(SALU_CYCLE_2)
	s_mul_f32 s12, s0, 0x3fb8aa3b
	s_mul_f32 s14, s6, 0x3fb8aa3b
	s_delay_alu instid0(SALU_CYCLE_2)
	s_xor_b32 s15, s12, 0x80000000
	s_rndne_f32 s16, s12
	s_fmamk_f32 s15, s0, 0x3fb8aa3b, s15
	s_cmp_nlt_f32 s0, 0xc2ce8ed0
	s_rndne_f32 s17, s14
	s_sub_f32 s12, s12, s16
	s_fmamk_f32 s15, s0, 0x32a5705f, s15
	s_cselect_b32 vcc_lo, -1, 0
	s_cmp_ngt_f32 s0, 0x42b17218
	s_delay_alu instid0(SALU_CYCLE_1) | instskip(SKIP_2) | instid1(SALU_CYCLE_1)
	s_add_f32 s12, s12, s15
	s_cvt_i32_f32 s15, s16
	s_sub_f32 s16, s14, s17
	v_s_exp_f32 s12, s12
	v_nop
	s_delay_alu instid0(TRANS32_DEP_1) | instskip(SKIP_1) | instid1(VALU_DEP_1)
	v_ldexp_f32 v1, s12, s15
	s_cvt_i32_f32 s12, s17
	v_cndmask_b32_e32 v1, 0, v1, vcc_lo
	s_cselect_b32 vcc_lo, -1, 0
	s_cmp_ge_f32 s0, 0xc1a00000
	s_delay_alu instid0(VALU_DEP_1)
	v_cndmask_b32_e32 v1, 0x7f800000, v1, vcc_lo
	s_cselect_b32 vcc_lo, -1, 0
	s_xor_b32 s0, s14, 0x80000000
	s_cmp_nlt_f32 s6, 0xc2ce8ed0
	s_fmamk_f32 s0, s6, 0x3fb8aa3b, s0
	v_cndmask_b32_e32 v10, 0, v1, vcc_lo
	s_delay_alu instid0(SALU_CYCLE_2) | instskip(NEXT) | instid1(SALU_CYCLE_3)
	s_fmamk_f32 s0, s6, 0x32a5705f, s0
	s_add_f32 s0, s16, s0
	s_delay_alu instid0(SALU_CYCLE_3) | instskip(SKIP_1) | instid1(TRANS32_DEP_1)
	v_s_exp_f32 s0, s0
	v_nop
	v_ldexp_f32 v6, s0, s12
	s_cselect_b32 s0, -1, 0
	s_cmp_ngt_f32 s6, 0x42b17218
	s_delay_alu instid0(VALU_DEP_1) | instskip(SKIP_2) | instid1(VALU_DEP_1)
	v_cndmask_b32_e64 v6, 0, v6, s0
	s_cselect_b32 s0, -1, 0
	s_cmp_ge_f32 s6, 0xc1a00000
	v_cndmask_b32_e64 v8, 0x7f800000, v6, s0
	s_cselect_b32 s0, -1, 0
	v_mov_b32_e32 v6, s13
	s_add_co_i32 s1, s1, -1
	s_add_co_i32 s4, s4, -4
	v_cndmask_b32_e64 v8, 0, v8, s0
	s_cmp_le_i32 s1, s7
	s_mov_b32 s0, s5
	s_wait_loadcnt 0x0
	s_delay_alu instid0(VALU_DEP_1) | instskip(NEXT) | instid1(VALU_DEP_1)
	v_pk_mul_f32 v[6:7], v[6:7], v[8:9] op_sel_hi:[1,0]
	v_pk_fma_f32 v[2:3], v[2:3], v[10:11], v[6:7] op_sel_hi:[1,0,1]
	s_cbranch_scc0 .LBB31_3
	s_branch .LBB31_5
.LBB31_4:
	s_wait_kmcnt 0x0
	v_mov_b32_e32 v2, s15
.LBB31_5:
	v_lshl_add_u64 v[0:1], v[4:5], 2, s[8:9]
	s_wait_loadcnt 0x0
	s_delay_alu instid0(VALU_DEP_2) | instskip(NEXT) | instid1(VALU_DEP_1)
	v_div_scale_f32 v4, null, v2, v2, v3
	v_rcp_f32_e32 v5, v4
	v_nop
	s_delay_alu instid0(TRANS32_DEP_1) | instskip(NEXT) | instid1(VALU_DEP_1)
	v_fma_f32 v6, -v4, v5, 1.0
	v_fmac_f32_e32 v5, v6, v5
	v_div_scale_f32 v6, vcc_lo, v3, v2, v3
	s_delay_alu instid0(VALU_DEP_1) | instskip(NEXT) | instid1(VALU_DEP_1)
	v_mul_f32_e32 v7, v6, v5
	v_fma_f32 v8, -v4, v7, v6
	s_delay_alu instid0(VALU_DEP_1) | instskip(NEXT) | instid1(VALU_DEP_1)
	v_fmac_f32_e32 v7, v8, v5
	v_fma_f32 v4, -v4, v7, v6
	s_delay_alu instid0(VALU_DEP_1) | instskip(NEXT) | instid1(VALU_DEP_1)
	v_div_fmas_f32 v4, v4, v5, v7
	v_div_fixup_f32 v2, v4, v2, v3
	global_store_b32 v[0:1], v2, off
.LBB31_6:
	s_endpgm
	.section	.rodata,"a",@progbits
	.p2align	6, 0x0
	.amdhsa_kernel _ZL33flash_attn_stream_k_fixup_uniformILi64ELi1ELi4EEvPfPK15HIP_vector_typeIfLj2EEiiiiiiS1_IjLj3EES5_S5_
		.amdhsa_group_segment_fixed_size 0
		.amdhsa_private_segment_fixed_size 0
		.amdhsa_kernarg_size 76
		.amdhsa_user_sgpr_count 2
		.amdhsa_user_sgpr_dispatch_ptr 0
		.amdhsa_user_sgpr_queue_ptr 0
		.amdhsa_user_sgpr_kernarg_segment_ptr 1
		.amdhsa_user_sgpr_dispatch_id 0
		.amdhsa_user_sgpr_kernarg_preload_length 0
		.amdhsa_user_sgpr_kernarg_preload_offset 0
		.amdhsa_user_sgpr_private_segment_size 0
		.amdhsa_wavefront_size32 1
		.amdhsa_uses_dynamic_stack 0
		.amdhsa_enable_private_segment 0
		.amdhsa_system_sgpr_workgroup_id_x 1
		.amdhsa_system_sgpr_workgroup_id_y 1
		.amdhsa_system_sgpr_workgroup_id_z 1
		.amdhsa_system_sgpr_workgroup_info 0
		.amdhsa_system_vgpr_workitem_id 0
		.amdhsa_next_free_vgpr 12
		.amdhsa_next_free_sgpr 21
		.amdhsa_named_barrier_count 0
		.amdhsa_reserve_vcc 1
		.amdhsa_float_round_mode_32 0
		.amdhsa_float_round_mode_16_64 0
		.amdhsa_float_denorm_mode_32 3
		.amdhsa_float_denorm_mode_16_64 3
		.amdhsa_fp16_overflow 0
		.amdhsa_memory_ordered 1
		.amdhsa_forward_progress 1
		.amdhsa_inst_pref_size 9
		.amdhsa_round_robin_scheduling 0
		.amdhsa_exception_fp_ieee_invalid_op 0
		.amdhsa_exception_fp_denorm_src 0
		.amdhsa_exception_fp_ieee_div_zero 0
		.amdhsa_exception_fp_ieee_overflow 0
		.amdhsa_exception_fp_ieee_underflow 0
		.amdhsa_exception_fp_ieee_inexact 0
		.amdhsa_exception_int_div_zero 0
	.end_amdhsa_kernel
	.section	.text._ZL33flash_attn_stream_k_fixup_uniformILi64ELi1ELi4EEvPfPK15HIP_vector_typeIfLj2EEiiiiiiS1_IjLj3EES5_S5_,"axG",@progbits,_ZL33flash_attn_stream_k_fixup_uniformILi64ELi1ELi4EEvPfPK15HIP_vector_typeIfLj2EEiiiiiiS1_IjLj3EES5_S5_,comdat
.Lfunc_end31:
	.size	_ZL33flash_attn_stream_k_fixup_uniformILi64ELi1ELi4EEvPfPK15HIP_vector_typeIfLj2EEiiiiiiS1_IjLj3EES5_S5_, .Lfunc_end31-_ZL33flash_attn_stream_k_fixup_uniformILi64ELi1ELi4EEvPfPK15HIP_vector_typeIfLj2EEiiiiiiS1_IjLj3EES5_S5_
                                        ; -- End function
	.set _ZL33flash_attn_stream_k_fixup_uniformILi64ELi1ELi4EEvPfPK15HIP_vector_typeIfLj2EEiiiiiiS1_IjLj3EES5_S5_.num_vgpr, 12
	.set _ZL33flash_attn_stream_k_fixup_uniformILi64ELi1ELi4EEvPfPK15HIP_vector_typeIfLj2EEiiiiiiS1_IjLj3EES5_S5_.num_agpr, 0
	.set _ZL33flash_attn_stream_k_fixup_uniformILi64ELi1ELi4EEvPfPK15HIP_vector_typeIfLj2EEiiiiiiS1_IjLj3EES5_S5_.numbered_sgpr, 21
	.set _ZL33flash_attn_stream_k_fixup_uniformILi64ELi1ELi4EEvPfPK15HIP_vector_typeIfLj2EEiiiiiiS1_IjLj3EES5_S5_.num_named_barrier, 0
	.set _ZL33flash_attn_stream_k_fixup_uniformILi64ELi1ELi4EEvPfPK15HIP_vector_typeIfLj2EEiiiiiiS1_IjLj3EES5_S5_.private_seg_size, 0
	.set _ZL33flash_attn_stream_k_fixup_uniformILi64ELi1ELi4EEvPfPK15HIP_vector_typeIfLj2EEiiiiiiS1_IjLj3EES5_S5_.uses_vcc, 1
	.set _ZL33flash_attn_stream_k_fixup_uniformILi64ELi1ELi4EEvPfPK15HIP_vector_typeIfLj2EEiiiiiiS1_IjLj3EES5_S5_.uses_flat_scratch, 0
	.set _ZL33flash_attn_stream_k_fixup_uniformILi64ELi1ELi4EEvPfPK15HIP_vector_typeIfLj2EEiiiiiiS1_IjLj3EES5_S5_.has_dyn_sized_stack, 0
	.set _ZL33flash_attn_stream_k_fixup_uniformILi64ELi1ELi4EEvPfPK15HIP_vector_typeIfLj2EEiiiiiiS1_IjLj3EES5_S5_.has_recursion, 0
	.set _ZL33flash_attn_stream_k_fixup_uniformILi64ELi1ELi4EEvPfPK15HIP_vector_typeIfLj2EEiiiiiiS1_IjLj3EES5_S5_.has_indirect_call, 0
	.section	.AMDGPU.csdata,"",@progbits
; Kernel info:
; codeLenInByte = 1072
; TotalNumSgprs: 23
; NumVgprs: 12
; ScratchSize: 0
; MemoryBound: 0
; FloatMode: 240
; IeeeMode: 1
; LDSByteSize: 0 bytes/workgroup (compile time only)
; SGPRBlocks: 0
; VGPRBlocks: 0
; NumSGPRsForWavesPerEU: 23
; NumVGPRsForWavesPerEU: 12
; NamedBarCnt: 0
; Occupancy: 16
; WaveLimiterHint : 0
; COMPUTE_PGM_RSRC2:SCRATCH_EN: 0
; COMPUTE_PGM_RSRC2:USER_SGPR: 2
; COMPUTE_PGM_RSRC2:TRAP_HANDLER: 0
; COMPUTE_PGM_RSRC2:TGID_X_EN: 1
; COMPUTE_PGM_RSRC2:TGID_Y_EN: 1
; COMPUTE_PGM_RSRC2:TGID_Z_EN: 1
; COMPUTE_PGM_RSRC2:TIDIG_COMP_CNT: 0
	.section	.text._ZL33flash_attn_stream_k_fixup_generalILi64ELi1ELi4EEvPfPK15HIP_vector_typeIfLj2EEiiiiS1_IjLj3EES5_S5_S5_,"axG",@progbits,_ZL33flash_attn_stream_k_fixup_generalILi64ELi1ELi4EEvPfPK15HIP_vector_typeIfLj2EEiiiiS1_IjLj3EES5_S5_S5_,comdat
	.globl	_ZL33flash_attn_stream_k_fixup_generalILi64ELi1ELi4EEvPfPK15HIP_vector_typeIfLj2EEiiiiS1_IjLj3EES5_S5_S5_ ; -- Begin function _ZL33flash_attn_stream_k_fixup_generalILi64ELi1ELi4EEvPfPK15HIP_vector_typeIfLj2EEiiiiS1_IjLj3EES5_S5_S5_
	.p2align	8
	.type	_ZL33flash_attn_stream_k_fixup_generalILi64ELi1ELi4EEvPfPK15HIP_vector_typeIfLj2EEiiiiS1_IjLj3EES5_S5_S5_,@function
_ZL33flash_attn_stream_k_fixup_generalILi64ELi1ELi4EEvPfPK15HIP_vector_typeIfLj2EEiiiiS1_IjLj3EES5_S5_S5_: ; @_ZL33flash_attn_stream_k_fixup_generalILi64ELi1ELi4EEvPfPK15HIP_vector_typeIfLj2EEiiiiS1_IjLj3EES5_S5_S5_
; %bb.0:
	s_clause 0x1
	s_load_b128 s[4:7], s[0:1], 0x10
	s_load_b32 s16, s[0:1], 0x50
	s_bfe_u32 s2, ttmp6, 0x4000c
	s_and_b32 s3, ttmp6, 15
	s_add_co_i32 s2, s2, 1
	s_getreg_b32 s15, hwreg(HW_REG_IB_STS2, 6, 4)
	s_mul_i32 s2, ttmp9, s2
	s_mov_b32 s17, 0
	s_add_co_i32 s3, s3, s2
	s_cmp_eq_u32 s15, 0
	s_cselect_b32 s2, ttmp9, s3
	s_delay_alu instid0(SALU_CYCLE_1) | instskip(SKIP_3) | instid1(SALU_CYCLE_1)
	s_ashr_i32 s3, s2, 31
	s_wait_kmcnt 0x0
	s_ashr_i32 s19, s7, 31
	s_mov_b32 s18, s7
	s_mul_u64 s[8:9], s[18:19], s[2:3]
	s_delay_alu instid0(SALU_CYCLE_1) | instskip(NEXT) | instid1(SALU_CYCLE_1)
	s_and_b64 s[10:11], s[8:9], 0xffffffff00000000
	s_cmp_lg_u64 s[10:11], 0
	s_cbranch_scc0 .LBB32_21
; %bb.1:
	s_add_nc_u64 s[10:11], s[16:17], 0
	s_mov_b32 s23, s17
	s_xor_b64 s[10:11], s[10:11], 0
	s_mov_b32 s27, s17
	s_cvt_f32_u32 s3, s10
	s_cvt_f32_u32 s7, s11
	s_sub_nc_u64 s[20:21], 0, s[10:11]
	s_delay_alu instid0(SALU_CYCLE_2) | instskip(NEXT) | instid1(SALU_CYCLE_3)
	s_fmamk_f32 s3, s7, 0x4f800000, s3
	v_s_rcp_f32 s3, s3
	s_delay_alu instid0(TRANS32_DEP_1) | instskip(NEXT) | instid1(SALU_CYCLE_3)
	s_mul_f32 s3, s3, 0x5f7ffffc
	s_mul_f32 s7, s3, 0x2f800000
	s_delay_alu instid0(SALU_CYCLE_3) | instskip(NEXT) | instid1(SALU_CYCLE_3)
	s_trunc_f32 s7, s7
	s_fmamk_f32 s3, s7, 0xcf800000, s3
	s_cvt_u32_f32 s13, s7
	s_delay_alu instid0(SALU_CYCLE_2) | instskip(NEXT) | instid1(SALU_CYCLE_3)
	s_cvt_u32_f32 s12, s3
	s_mul_u64 s[24:25], s[20:21], s[12:13]
	s_delay_alu instid0(SALU_CYCLE_1)
	s_mul_hi_u32 s29, s12, s25
	s_mul_i32 s28, s12, s25
	s_mul_hi_u32 s22, s12, s24
	s_mul_i32 s7, s13, s24
	s_add_nc_u64 s[22:23], s[22:23], s[28:29]
	s_mul_hi_u32 s3, s13, s24
	s_mul_hi_u32 s14, s13, s25
	s_add_co_u32 s7, s22, s7
	s_add_co_ci_u32 s26, s23, s3
	s_mul_i32 s24, s13, s25
	s_add_co_ci_u32 s25, s14, 0
	s_delay_alu instid0(SALU_CYCLE_1) | instskip(SKIP_3) | instid1(SALU_CYCLE_1)
	s_add_nc_u64 s[22:23], s[26:27], s[24:25]
	s_mov_b32 s25, s17
	s_add_co_u32 s12, s12, s22
	s_cselect_b32 s3, -1, 0
	s_cmp_lg_u32 s3, 0
	s_add_co_ci_u32 s13, s13, s23
	s_mov_b32 s23, s17
	s_mul_u64 s[20:21], s[20:21], s[12:13]
	s_delay_alu instid0(SALU_CYCLE_1)
	s_mul_hi_u32 s27, s12, s21
	s_mul_i32 s26, s12, s21
	s_mul_hi_u32 s22, s12, s20
	s_mul_i32 s7, s13, s20
	s_add_nc_u64 s[22:23], s[22:23], s[26:27]
	s_mul_hi_u32 s3, s13, s20
	s_mul_hi_u32 s14, s13, s21
	s_add_co_u32 s7, s22, s7
	s_add_co_ci_u32 s24, s23, s3
	s_mul_i32 s20, s13, s21
	s_add_co_ci_u32 s21, s14, 0
	s_mov_b32 s23, s17
	s_add_nc_u64 s[20:21], s[24:25], s[20:21]
	s_delay_alu instid0(SALU_CYCLE_1) | instskip(SKIP_1) | instid1(SALU_CYCLE_1)
	s_add_co_u32 s3, s12, s20
	s_cselect_b32 s7, -1, 0
	s_cmp_lg_u32 s7, 0
	s_add_co_ci_u32 s7, s13, s21
	s_ashr_i32 s12, s9, 31
	s_delay_alu instid0(SALU_CYCLE_1) | instskip(NEXT) | instid1(SALU_CYCLE_1)
	s_mov_b32 s13, s12
	s_add_nc_u64 s[20:21], s[8:9], s[12:13]
	s_delay_alu instid0(SALU_CYCLE_1) | instskip(NEXT) | instid1(SALU_CYCLE_1)
	s_xor_b64 s[20:21], s[20:21], s[12:13]
	s_mul_hi_u32 s27, s20, s7
	s_mul_i32 s26, s20, s7
	s_mul_hi_u32 s22, s20, s3
	s_mul_hi_u32 s14, s21, s3
	s_mul_i32 s3, s21, s3
	s_add_nc_u64 s[22:23], s[22:23], s[26:27]
	s_mul_hi_u32 s9, s21, s7
	s_add_co_u32 s3, s22, s3
	s_add_co_ci_u32 s24, s23, s14
	s_mul_i32 s26, s21, s7
	s_add_co_ci_u32 s27, s9, 0
	s_delay_alu instid0(SALU_CYCLE_1) | instskip(NEXT) | instid1(SALU_CYCLE_1)
	s_add_nc_u64 s[22:23], s[24:25], s[26:27]
	s_and_b64 s[24:25], s[22:23], 0xffffffff00000000
	s_delay_alu instid0(SALU_CYCLE_1) | instskip(NEXT) | instid1(SALU_CYCLE_1)
	s_or_b32 s24, s24, s22
	s_mul_u64 s[22:23], s[10:11], s[24:25]
	s_add_nc_u64 s[26:27], s[24:25], 1
	s_sub_co_u32 s3, s20, s22
	s_cselect_b32 s7, -1, 0
	s_sub_co_i32 s9, s21, s23
	s_cmp_lg_u32 s7, 0
	s_add_nc_u64 s[28:29], s[24:25], 2
	s_sub_co_ci_u32 s9, s9, s11
	s_sub_co_u32 s14, s3, s10
	s_cselect_b32 s20, -1, 0
	s_delay_alu instid0(SALU_CYCLE_1) | instskip(SKIP_1) | instid1(SALU_CYCLE_1)
	s_cmp_lg_u32 s20, 0
	s_sub_co_ci_u32 s9, s9, 0
	s_cmp_ge_u32 s9, s11
	s_cselect_b32 s20, -1, 0
	s_cmp_ge_u32 s14, s10
	s_cselect_b32 s14, -1, 0
	s_cmp_eq_u32 s9, s11
	s_cselect_b32 s9, s14, s20
	s_delay_alu instid0(SALU_CYCLE_1) | instskip(SKIP_4) | instid1(SALU_CYCLE_1)
	s_cmp_lg_u32 s9, 0
	s_cselect_b32 s9, s28, s26
	s_cselect_b32 s14, s29, s27
	s_cmp_lg_u32 s7, 0
	s_sub_co_ci_u32 s7, s21, s23
	s_cmp_ge_u32 s7, s11
	s_cselect_b32 s20, -1, 0
	s_cmp_ge_u32 s3, s10
	s_cselect_b32 s3, -1, 0
	s_cmp_eq_u32 s7, s11
	s_cselect_b32 s3, s3, s20
	s_delay_alu instid0(SALU_CYCLE_1) | instskip(SKIP_4) | instid1(SALU_CYCLE_1)
	s_cmp_lg_u32 s3, 0
	s_mov_b32 s3, s17
	s_cselect_b32 s11, s14, s25
	s_cselect_b32 s10, s9, s24
	s_xor_b64 s[12:13], s[12:13], 0
	s_xor_b64 s[10:11], s[10:11], s[12:13]
	s_delay_alu instid0(SALU_CYCLE_1)
	s_sub_nc_u64 s[20:21], s[10:11], s[12:13]
	s_and_not1_b32 vcc_lo, exec_lo, s3
	s_cbranch_vccnz .LBB32_3
.LBB32_2:
	v_cvt_f32_u32_e32 v1, s16
	s_sub_co_i32 s7, 0, s16
	s_mov_b32 s21, 0
	s_delay_alu instid0(VALU_DEP_1) | instskip(SKIP_1) | instid1(TRANS32_DEP_1)
	v_rcp_iflag_f32_e32 v1, v1
	v_nop
	v_mul_f32_e32 v1, 0x4f7ffffe, v1
	s_delay_alu instid0(VALU_DEP_1) | instskip(NEXT) | instid1(VALU_DEP_1)
	v_cvt_u32_f32_e32 v1, v1
	v_readfirstlane_b32 s3, v1
	s_mul_i32 s7, s7, s3
	s_delay_alu instid0(SALU_CYCLE_1) | instskip(NEXT) | instid1(SALU_CYCLE_1)
	s_mul_hi_u32 s7, s3, s7
	s_add_co_i32 s3, s3, s7
	s_delay_alu instid0(SALU_CYCLE_1) | instskip(NEXT) | instid1(SALU_CYCLE_1)
	s_mul_hi_u32 s3, s8, s3
	s_mul_i32 s7, s3, s16
	s_delay_alu instid0(SALU_CYCLE_1)
	s_sub_co_i32 s7, s8, s7
	s_add_co_i32 s8, s3, 1
	s_sub_co_i32 s9, s7, s16
	s_cmp_ge_u32 s7, s16
	s_cselect_b32 s3, s8, s3
	s_cselect_b32 s7, s9, s7
	s_add_co_i32 s8, s3, 1
	s_cmp_ge_u32 s7, s16
	s_cselect_b32 s20, s8, s3
.LBB32_3:
	s_add_co_i32 s8, s2, 1
	s_delay_alu instid0(SALU_CYCLE_1) | instskip(NEXT) | instid1(SALU_CYCLE_1)
	s_ashr_i32 s9, s8, 31
	s_mul_u64 s[8:9], s[18:19], s[8:9]
	s_delay_alu instid0(SALU_CYCLE_1) | instskip(NEXT) | instid1(SALU_CYCLE_1)
	s_and_b64 s[10:11], s[8:9], 0xffffffff00000000
	s_cmp_lg_u64 s[10:11], 0
	s_cbranch_scc0 .LBB32_22
; %bb.4:
	s_add_nc_u64 s[10:11], s[16:17], 0
	s_delay_alu instid0(SALU_CYCLE_1) | instskip(SKIP_4) | instid1(SALU_CYCLE_2)
	s_xor_b64 s[12:13], s[10:11], 0
	s_mov_b32 s11, 0
	s_cvt_f32_u32 s3, s12
	s_cvt_f32_u32 s7, s13
	s_sub_nc_u64 s[24:25], 0, s[12:13]
	s_fmamk_f32 s3, s7, 0x4f800000, s3
	s_delay_alu instid0(SALU_CYCLE_3) | instskip(NEXT) | instid1(TRANS32_DEP_1)
	v_s_rcp_f32 s3, s3
	s_mul_f32 s3, s3, 0x5f7ffffc
	s_delay_alu instid0(SALU_CYCLE_3) | instskip(NEXT) | instid1(SALU_CYCLE_3)
	s_mul_f32 s7, s3, 0x2f800000
	s_trunc_f32 s7, s7
	s_delay_alu instid0(SALU_CYCLE_3) | instskip(SKIP_1) | instid1(SALU_CYCLE_2)
	s_fmamk_f32 s3, s7, 0xcf800000, s3
	s_cvt_u32_f32 s23, s7
	s_cvt_u32_f32 s22, s3
	s_delay_alu instid0(SALU_CYCLE_3) | instskip(NEXT) | instid1(SALU_CYCLE_1)
	s_mul_u64 s[26:27], s[24:25], s[22:23]
	s_mul_hi_u32 s29, s22, s27
	s_mul_i32 s28, s22, s27
	s_mul_hi_u32 s10, s22, s26
	s_mul_i32 s7, s23, s26
	s_add_nc_u64 s[28:29], s[10:11], s[28:29]
	s_mul_hi_u32 s3, s23, s26
	s_mul_hi_u32 s14, s23, s27
	s_add_co_u32 s7, s28, s7
	s_add_co_ci_u32 s10, s29, s3
	s_mul_i32 s26, s23, s27
	s_add_co_ci_u32 s27, s14, 0
	s_delay_alu instid0(SALU_CYCLE_1) | instskip(NEXT) | instid1(SALU_CYCLE_1)
	s_add_nc_u64 s[26:27], s[10:11], s[26:27]
	s_add_co_u32 s22, s22, s26
	s_cselect_b32 s3, -1, 0
	s_delay_alu instid0(SALU_CYCLE_1) | instskip(SKIP_1) | instid1(SALU_CYCLE_1)
	s_cmp_lg_u32 s3, 0
	s_add_co_ci_u32 s23, s23, s27
	s_mul_u64 s[24:25], s[24:25], s[22:23]
	s_delay_alu instid0(SALU_CYCLE_1)
	s_mul_hi_u32 s27, s22, s25
	s_mul_i32 s26, s22, s25
	s_mul_hi_u32 s10, s22, s24
	s_mul_i32 s7, s23, s24
	s_add_nc_u64 s[26:27], s[10:11], s[26:27]
	s_mul_hi_u32 s3, s23, s24
	s_mul_hi_u32 s14, s23, s25
	s_add_co_u32 s7, s26, s7
	s_add_co_ci_u32 s10, s27, s3
	s_mul_i32 s24, s23, s25
	s_add_co_ci_u32 s25, s14, 0
	s_delay_alu instid0(SALU_CYCLE_1) | instskip(NEXT) | instid1(SALU_CYCLE_1)
	s_add_nc_u64 s[24:25], s[10:11], s[24:25]
	s_add_co_u32 s3, s22, s24
	s_cselect_b32 s7, -1, 0
	s_delay_alu instid0(SALU_CYCLE_1) | instskip(SKIP_2) | instid1(SALU_CYCLE_1)
	s_cmp_lg_u32 s7, 0
	s_add_co_ci_u32 s7, s23, s25
	s_ashr_i32 s22, s9, 31
	s_mov_b32 s23, s22
	s_delay_alu instid0(SALU_CYCLE_1) | instskip(NEXT) | instid1(SALU_CYCLE_1)
	s_add_nc_u64 s[24:25], s[8:9], s[22:23]
	s_xor_b64 s[24:25], s[24:25], s[22:23]
	s_delay_alu instid0(SALU_CYCLE_1)
	s_mul_hi_u32 s27, s24, s7
	s_mul_i32 s26, s24, s7
	s_mul_hi_u32 s10, s24, s3
	s_mul_hi_u32 s14, s25, s3
	s_mul_i32 s3, s25, s3
	s_add_nc_u64 s[26:27], s[10:11], s[26:27]
	s_mul_hi_u32 s9, s25, s7
	s_add_co_u32 s3, s26, s3
	s_add_co_ci_u32 s10, s27, s14
	s_mul_i32 s28, s25, s7
	s_add_co_ci_u32 s29, s9, 0
	s_delay_alu instid0(SALU_CYCLE_1) | instskip(NEXT) | instid1(SALU_CYCLE_1)
	s_add_nc_u64 s[26:27], s[10:11], s[28:29]
	s_and_b64 s[28:29], s[26:27], 0xffffffff00000000
	s_delay_alu instid0(SALU_CYCLE_1) | instskip(NEXT) | instid1(SALU_CYCLE_1)
	s_or_b32 s28, s28, s26
	s_mul_u64 s[26:27], s[12:13], s[28:29]
	s_add_nc_u64 s[30:31], s[28:29], 1
	s_sub_co_u32 s3, s24, s26
	s_cselect_b32 s7, -1, 0
	s_sub_co_i32 s9, s25, s27
	s_cmp_lg_u32 s7, 0
	s_add_nc_u64 s[34:35], s[28:29], 2
	s_sub_co_ci_u32 s9, s9, s13
	s_sub_co_u32 s10, s3, s12
	s_cselect_b32 s14, -1, 0
	s_delay_alu instid0(SALU_CYCLE_1) | instskip(SKIP_1) | instid1(SALU_CYCLE_1)
	s_cmp_lg_u32 s14, 0
	s_sub_co_ci_u32 s9, s9, 0
	s_cmp_ge_u32 s9, s13
	s_cselect_b32 s14, -1, 0
	s_cmp_ge_u32 s10, s12
	s_cselect_b32 s10, -1, 0
	s_cmp_eq_u32 s9, s13
	s_cselect_b32 s9, s10, s14
	s_delay_alu instid0(SALU_CYCLE_1) | instskip(SKIP_4) | instid1(SALU_CYCLE_1)
	s_cmp_lg_u32 s9, 0
	s_cselect_b32 s9, s34, s30
	s_cselect_b32 s10, s35, s31
	s_cmp_lg_u32 s7, 0
	s_sub_co_ci_u32 s7, s25, s27
	s_cmp_ge_u32 s7, s13
	s_cselect_b32 s14, -1, 0
	s_cmp_ge_u32 s3, s12
	s_cselect_b32 s3, -1, 0
	s_cmp_eq_u32 s7, s13
	s_cselect_b32 s3, s3, s14
	s_delay_alu instid0(SALU_CYCLE_1) | instskip(SKIP_3) | instid1(SALU_CYCLE_1)
	s_cmp_lg_u32 s3, 0
	s_cselect_b32 s13, s10, s29
	s_cselect_b32 s12, s9, s28
	s_xor_b64 s[22:23], s[22:23], 0
	s_xor_b64 s[12:13], s[12:13], s[22:23]
	s_delay_alu instid0(SALU_CYCLE_1)
	s_sub_nc_u64 s[24:25], s[12:13], s[22:23]
	s_load_b96 s[12:14], s[0:1], 0x44
	s_cbranch_execnz .LBB32_6
.LBB32_5:
	v_cvt_f32_u32_e32 v1, s16
	s_sub_co_i32 s7, 0, s16
	s_delay_alu instid0(VALU_DEP_1) | instskip(SKIP_1) | instid1(TRANS32_DEP_1)
	v_rcp_iflag_f32_e32 v1, v1
	v_nop
	v_mul_f32_e32 v1, 0x4f7ffffe, v1
	s_delay_alu instid0(VALU_DEP_1) | instskip(NEXT) | instid1(VALU_DEP_1)
	v_cvt_u32_f32_e32 v1, v1
	v_readfirstlane_b32 s3, v1
	s_mul_i32 s7, s7, s3
	s_delay_alu instid0(SALU_CYCLE_1) | instskip(NEXT) | instid1(SALU_CYCLE_1)
	s_mul_hi_u32 s7, s3, s7
	s_add_co_i32 s3, s3, s7
	s_delay_alu instid0(SALU_CYCLE_1) | instskip(NEXT) | instid1(SALU_CYCLE_1)
	s_mul_hi_u32 s3, s8, s3
	s_mul_i32 s7, s3, s16
	s_delay_alu instid0(SALU_CYCLE_1)
	s_sub_co_i32 s7, s8, s7
	s_add_co_i32 s8, s3, 1
	s_sub_co_i32 s9, s7, s16
	s_cmp_ge_u32 s7, s16
	s_cselect_b32 s3, s8, s3
	s_cselect_b32 s7, s9, s7
	s_add_co_i32 s8, s3, 1
	s_cmp_ge_u32 s7, s16
	s_cselect_b32 s24, s8, s3
.LBB32_6:
	s_delay_alu instid0(SALU_CYCLE_1)
	s_cmp_eq_u32 s20, s24
	s_mov_b64 s[8:9], 0xffffffff
	s_cselect_b32 s3, -1, 0
	s_and_b64 s[8:9], s[20:21], s[8:9]
	s_mov_b32 s23, 0
	s_wait_kmcnt 0x0
	s_mov_b32 s22, s12
	s_mov_b32 s25, s23
	s_mul_u64 s[10:11], s[8:9], s[22:23]
	s_delay_alu instid0(SALU_CYCLE_1) | instskip(SKIP_2) | instid1(SALU_CYCLE_1)
	s_add_co_i32 s7, s11, s20
	s_mul_u64 s[10:11], s[24:25], s[22:23]
	s_lshr_b32 s12, s7, s13
	s_mul_i32 s7, s12, s14
	s_delay_alu instid0(SALU_CYCLE_1) | instskip(SKIP_2) | instid1(SALU_CYCLE_1)
	s_cmp_eq_u32 s7, s20
	s_cselect_b32 s7, -1, 0
	s_add_co_i32 s10, s11, s24
	s_lshr_b32 s10, s10, s13
	s_delay_alu instid0(SALU_CYCLE_1)
	s_cmp_eq_u32 s12, s10
	s_mul_i32 s10, s10, s14
	s_cselect_b32 s11, -1, 0
	s_cmp_lg_u32 s10, s24
	s_cselect_b32 s10, -1, 0
	s_or_b32 s3, s3, s7
	s_and_b32 s10, s11, s10
	s_delay_alu instid0(SALU_CYCLE_1) | instskip(NEXT) | instid1(SALU_CYCLE_1)
	s_or_b32 s3, s3, s10
	s_and_b32 vcc_lo, exec_lo, s3
	s_cbranch_vccnz .LBB32_24
; %bb.7:
	s_load_b256 s[24:31], s[0:1], 0x20
	s_bfe_u32 s7, ttmp6, 0x40014
	s_bfe_u32 s33, ttmp6, 0x40010
	s_lshr_b32 s3, ttmp7, 16
	s_add_co_i32 s7, s7, 1
	s_and_b32 s21, ttmp7, 0xffff
	s_add_co_i32 s33, s33, 1
	s_bfe_u32 s10, ttmp6, 0x40008
	s_mul_i32 s7, s3, s7
	s_bfe_u32 s34, ttmp6, 0x40004
	s_mul_i32 s33, s21, s33
	s_mov_b32 s11, s23
	s_add_co_i32 s7, s10, s7
	s_add_co_i32 s34, s34, s33
	s_cmp_eq_u32 s15, 0
	s_cselect_b32 s15, s21, s34
	s_cselect_b32 s21, s3, s7
	s_wait_kmcnt 0x0
	s_mov_b32 s10, s24
	s_delay_alu instid0(SALU_CYCLE_1) | instskip(SKIP_2) | instid1(SALU_CYCLE_1)
	s_mul_u64 s[8:9], s[8:9], s[10:11]
	s_load_b32 s8, s[0:1], 0x40
	s_add_co_i32 s3, s9, s20
	s_lshr_b32 s3, s3, s25
	s_delay_alu instid0(SALU_CYCLE_1) | instskip(NEXT) | instid1(SALU_CYCLE_1)
	s_mul_i32 s7, s3, s26
	s_sub_co_i32 s9, s20, s7
	s_delay_alu instid0(SALU_CYCLE_1) | instskip(NEXT) | instid1(SALU_CYCLE_1)
	s_mul_hi_u32 s7, s9, s27
	s_add_co_i32 s7, s9, s7
	s_delay_alu instid0(SALU_CYCLE_1) | instskip(NEXT) | instid1(SALU_CYCLE_1)
	s_lshr_b32 s7, s7, s28
	s_mul_i32 s10, s7, s29
	s_delay_alu instid0(SALU_CYCLE_1) | instskip(NEXT) | instid1(SALU_CYCLE_1)
	s_sub_co_i32 s10, s9, s10
	s_mul_hi_u32 s9, s10, s30
	s_delay_alu instid0(SALU_CYCLE_1) | instskip(NEXT) | instid1(SALU_CYCLE_1)
	s_add_co_i32 s9, s10, s9
	s_lshr_b32 s25, s9, s31
	s_mov_b32 s9, s23
	s_wait_kmcnt 0x0
	s_mul_i32 s8, s25, s8
	s_lshl_b32 s25, s25, 2
	s_sub_co_i32 s8, s10, s8
	s_delay_alu instid0(SALU_CYCLE_1) | instskip(NEXT) | instid1(SALU_CYCLE_1)
	s_mul_u64 s[10:11], s[8:9], s[22:23]
	s_add_co_i32 s8, s8, s11
	s_delay_alu instid0(SALU_CYCLE_1) | instskip(NEXT) | instid1(SALU_CYCLE_1)
	s_lshr_b32 s24, s8, s13
	s_add_co_i32 s24, s24, s15
	s_delay_alu instid0(SALU_CYCLE_1) | instskip(SKIP_2) | instid1(SALU_CYCLE_1)
	s_cmp_lt_i32 s24, s4
	s_cselect_b32 s8, -1, 0
	s_add_co_i32 s25, s25, s21
	s_cmp_lt_i32 s25, s6
	s_cselect_b32 s9, -1, 0
	s_delay_alu instid0(SALU_CYCLE_1) | instskip(NEXT) | instid1(SALU_CYCLE_1)
	s_and_b32 s8, s8, s9
	s_and_not1_b32 vcc_lo, exec_lo, s8
	s_cbranch_vccnz .LBB32_24
; %bb.8:
	s_load_b128 s[8:11], s[0:1], 0x0
	s_mul_i32 s3, s3, s4
	s_mul_i32 s7, s7, s6
	s_wait_xcnt 0x0
	s_add_co_i32 s0, s24, s3
	s_add_co_i32 s1, s25, s7
	s_mul_i32 s0, s0, s5
	s_add_co_i32 s3, s15, s2
	s_add_co_i32 s1, s1, s0
	v_cvt_f32_u32_e32 v4, s16
	v_lshl_or_b32 v2, s1, 6, v0
	s_add_nc_u64 s[0:1], s[16:17], 0
	s_lshl_b32 s24, s16, 4
	s_xor_b64 s[6:7], s[0:1], 0
	s_lshl_b32 s0, s3, 2
	s_cvt_f32_u32 s3, s6
	s_cvt_f32_u32 s4, s7
	s_add_co_i32 s0, s0, s21
	v_rcp_iflag_f32_e32 v4, v4
	s_ashr_i32 s1, s0, 31
	s_fmamk_f32 s3, s4, 0x4f800000, s3
	s_wait_kmcnt 0x0
	global_load_b32 v1, v2, s[8:9] scale_offset
	s_lshl_b64 s[0:1], s[0:1], 3
	s_mov_b32 s25, 0
	v_s_rcp_f32 s3, s3
	s_add_nc_u64 s[0:1], s[10:11], s[0:1]
	v_dual_mul_f32 v4, 0x4f7ffffe, v4 :: v_dual_ashrrev_i32 v3, 31, v2
	s_load_b64 s[28:29], s[0:1], 0x0
	s_wait_xcnt 0x0
	s_lshl_b64 s[0:1], s[24:25], 2
	v_lshl_or_b32 v6, s21, 6, v0
	s_add_nc_u64 s[26:27], s[10:11], s[0:1]
	s_mul_f32 s3, s3, 0x5f7ffffc
	v_lshl_add_u64 v[2:3], v[2:3], 2, s[8:9]
	v_cvt_u32_f32_e32 v7, v4
	s_mov_b64 s[8:9], 0xffffffff
	s_mul_f32 s4, s3, 0x2f800000
	s_add_co_i32 s36, s2, -1
	s_sub_nc_u64 s[34:35], 0, s[6:7]
	s_delay_alu instid0(SALU_CYCLE_1) | instskip(NEXT) | instid1(SALU_CYCLE_3)
	s_trunc_f32 s4, s4
	s_fmamk_f32 s0, s4, 0xcf800000, s3
	s_cvt_u32_f32 s31, s4
	s_wait_kmcnt 0x0
	v_mov_b32_e32 v0, s29
	s_cvt_u32_f32 s30, s0
.LBB32_9:                               ; =>This Inner Loop Header: Depth=1
	s_ashr_i32 s37, s36, 31
                                        ; implicit-def: $sgpr40_sgpr41
	s_delay_alu instid0(SALU_CYCLE_1) | instskip(NEXT) | instid1(SALU_CYCLE_1)
	s_mul_u64 s[0:1], s[36:37], s[18:19]
	s_and_b64 s[2:3], s[0:1], 0xffffffff00000000
	s_delay_alu instid0(SALU_CYCLE_1)
	s_cmp_lg_u64 s[2:3], 0
	s_mov_b32 s2, -1
	s_cbranch_scc0 .LBB32_11
; %bb.10:                               ;   in Loop: Header=BB32_9 Depth=1
	s_mul_u64 s[2:3], s[34:35], s[30:31]
	s_delay_alu instid0(SALU_CYCLE_1)
	s_mul_hi_u32 s5, s30, s3
	s_mul_i32 s4, s30, s3
	s_mul_hi_u32 s24, s30, s2
	s_mul_hi_u32 s17, s31, s2
	s_add_nc_u64 s[4:5], s[24:25], s[4:5]
	s_mul_i32 s2, s31, s2
	s_mul_hi_u32 s29, s31, s3
	s_add_co_u32 s2, s4, s2
	s_add_co_ci_u32 s24, s5, s17
	s_add_co_ci_u32 s5, s29, 0
	s_mul_i32 s4, s31, s3
	s_delay_alu instid0(SALU_CYCLE_1) | instskip(NEXT) | instid1(SALU_CYCLE_1)
	s_add_nc_u64 s[2:3], s[24:25], s[4:5]
	s_add_co_u32 s2, s30, s2
	s_cselect_b32 s4, -1, 0
	s_delay_alu instid0(SALU_CYCLE_1) | instskip(SKIP_1) | instid1(SALU_CYCLE_1)
	s_cmp_lg_u32 s4, 0
	s_add_co_ci_u32 s3, s31, s3
	s_mul_u64 s[4:5], s[34:35], s[2:3]
	s_delay_alu instid0(SALU_CYCLE_1)
	s_mul_hi_u32 s39, s2, s5
	s_mul_i32 s38, s2, s5
	s_mul_hi_u32 s24, s2, s4
	s_mul_hi_u32 s17, s3, s4
	s_mul_i32 s4, s3, s4
	s_add_nc_u64 s[38:39], s[24:25], s[38:39]
	s_mul_hi_u32 s29, s3, s5
	s_add_co_u32 s4, s38, s4
	s_add_co_ci_u32 s24, s39, s17
	s_mul_i32 s4, s3, s5
	s_add_co_ci_u32 s5, s29, 0
	s_delay_alu instid0(SALU_CYCLE_1) | instskip(NEXT) | instid1(SALU_CYCLE_1)
	s_add_nc_u64 s[4:5], s[24:25], s[4:5]
	s_add_co_u32 s17, s2, s4
	s_cselect_b32 s2, -1, 0
	s_delay_alu instid0(SALU_CYCLE_1) | instskip(SKIP_2) | instid1(SALU_CYCLE_1)
	s_cmp_lg_u32 s2, 0
	s_add_co_ci_u32 s29, s3, s5
	s_ashr_i32 s2, s1, 31
	s_mov_b32 s3, s2
	s_delay_alu instid0(SALU_CYCLE_1) | instskip(NEXT) | instid1(SALU_CYCLE_1)
	s_add_nc_u64 s[4:5], s[0:1], s[2:3]
	s_xor_b64 s[4:5], s[4:5], s[2:3]
	s_delay_alu instid0(SALU_CYCLE_1)
	s_mul_hi_u32 s39, s4, s29
	s_mul_i32 s38, s4, s29
	s_mul_hi_u32 s24, s4, s17
	s_mul_hi_u32 s33, s5, s17
	s_mul_i32 s17, s5, s17
	s_add_nc_u64 s[38:39], s[24:25], s[38:39]
	s_mul_hi_u32 s1, s5, s29
	s_add_co_u32 s17, s38, s17
	s_add_co_ci_u32 s24, s39, s33
	s_mul_i32 s40, s5, s29
	s_add_co_ci_u32 s41, s1, 0
	s_delay_alu instid0(SALU_CYCLE_1) | instskip(NEXT) | instid1(SALU_CYCLE_1)
	s_add_nc_u64 s[38:39], s[24:25], s[40:41]
	s_and_b64 s[40:41], s[38:39], 0xffffffff00000000
	s_delay_alu instid0(SALU_CYCLE_1) | instskip(NEXT) | instid1(SALU_CYCLE_1)
	s_or_b32 s40, s40, s38
	s_mul_u64 s[38:39], s[6:7], s[40:41]
	s_add_nc_u64 s[42:43], s[40:41], 1
	s_sub_co_u32 s1, s4, s38
	s_cselect_b32 s4, -1, 0
	s_sub_co_i32 s17, s5, s39
	s_cmp_lg_u32 s4, 0
	s_add_nc_u64 s[44:45], s[40:41], 2
	s_sub_co_ci_u32 s17, s17, s7
	s_sub_co_u32 s24, s1, s6
	s_cselect_b32 s29, -1, 0
	s_delay_alu instid0(SALU_CYCLE_1) | instskip(SKIP_1) | instid1(SALU_CYCLE_1)
	s_cmp_lg_u32 s29, 0
	s_sub_co_ci_u32 s17, s17, 0
	s_cmp_ge_u32 s17, s7
	s_cselect_b32 s29, -1, 0
	s_cmp_ge_u32 s24, s6
	s_cselect_b32 s24, -1, 0
	s_cmp_eq_u32 s17, s7
	s_cselect_b32 s17, s24, s29
	s_delay_alu instid0(SALU_CYCLE_1) | instskip(SKIP_4) | instid1(SALU_CYCLE_1)
	s_cmp_lg_u32 s17, 0
	s_cselect_b32 s17, s44, s42
	s_cselect_b32 s24, s45, s43
	s_cmp_lg_u32 s4, 0
	s_sub_co_ci_u32 s4, s5, s39
	s_cmp_ge_u32 s4, s7
	s_cselect_b32 s5, -1, 0
	s_cmp_ge_u32 s1, s6
	s_cselect_b32 s1, -1, 0
	s_cmp_eq_u32 s4, s7
	s_cselect_b32 s1, s1, s5
	s_delay_alu instid0(SALU_CYCLE_1) | instskip(SKIP_3) | instid1(SALU_CYCLE_1)
	s_cmp_lg_u32 s1, 0
	s_cselect_b32 s5, s24, s41
	s_cselect_b32 s4, s17, s40
	s_xor_b64 s[2:3], s[2:3], 0
	s_xor_b64 s[4:5], s[4:5], s[2:3]
	s_delay_alu instid0(SALU_CYCLE_1)
	s_sub_nc_u64 s[40:41], s[4:5], s[2:3]
	s_mov_b32 s2, 0
.LBB32_11:                              ;   in Loop: Header=BB32_9 Depth=1
	s_delay_alu instid0(SALU_CYCLE_1)
	s_and_not1_b32 vcc_lo, exec_lo, s2
	s_cbranch_vccnz .LBB32_13
; %bb.12:                               ;   in Loop: Header=BB32_9 Depth=1
	v_readfirstlane_b32 s1, v7
	s_sub_co_i32 s2, 0, s16
	s_delay_alu instid0(SALU_CYCLE_1) | instskip(NEXT) | instid1(SALU_CYCLE_1)
	s_mul_i32 s2, s2, s1
	s_mul_hi_u32 s2, s1, s2
	s_delay_alu instid0(SALU_CYCLE_1) | instskip(NEXT) | instid1(SALU_CYCLE_1)
	s_add_co_i32 s1, s1, s2
	s_mul_hi_u32 s1, s0, s1
	s_delay_alu instid0(SALU_CYCLE_1) | instskip(NEXT) | instid1(SALU_CYCLE_1)
	s_mul_i32 s2, s1, s16
	s_sub_co_i32 s0, s0, s2
	s_add_co_i32 s2, s1, 1
	s_sub_co_i32 s3, s0, s16
	s_cmp_ge_u32 s0, s16
	s_cselect_b32 s1, s2, s1
	s_cselect_b32 s0, s3, s0
	s_add_co_i32 s2, s1, 1
	s_cmp_ge_u32 s0, s16
	s_cselect_b32 s24, s2, s1
	s_delay_alu instid0(SALU_CYCLE_1)
	s_mov_b64 s[40:41], s[24:25]
.LBB32_13:                              ;   in Loop: Header=BB32_9 Depth=1
	s_delay_alu instid0(SALU_CYCLE_1)
	s_cmp_lg_u32 s20, s40
	s_mov_b32 s0, -1
                                        ; implicit-def: $vgpr4_vgpr5
                                        ; implicit-def: $sgpr29
                                        ; implicit-def: $sgpr17
                                        ; implicit-def: $sgpr24
                                        ; implicit-def: $sgpr33
	s_cbranch_scc0 .LBB32_18
; %bb.14:                               ;   in Loop: Header=BB32_9 Depth=1
	s_add_co_i32 s42, s36, s15
	v_max_num_f32_e64 v4, s28, s28
	s_add_co_i32 s0, s42, s16
	s_mov_b32 s33, s20
	s_lshl_b32 s0, s0, 2
	s_delay_alu instid0(SALU_CYCLE_1)
	s_add_co_i32 s0, s0, s21
	s_load_b64 s[38:39], s[10:11], s0 offset:0x0 scale_offset
	s_wait_xcnt 0x0
	v_readfirstlane_b32 s0, v4
	s_wait_kmcnt 0x0
	v_max_num_f32_e64 v5, s38, s38
	s_delay_alu instid0(VALU_DEP_1) | instskip(SKIP_1) | instid1(SALU_CYCLE_3)
	v_readfirstlane_b32 s1, v5
	s_max_num_f32 s17, s0, s1
	s_sub_f32 s37, s28, s17
	s_sub_f32 s38, s38, s17
	s_delay_alu instid0(SALU_CYCLE_2)
	s_cmp_nlt_f32 s37, 0xc2ce8ed0
	s_cselect_b32 s1, -1, 0
	s_cmp_ngt_f32 s37, 0x42b17218
	s_cselect_b32 s2, -1, 0
	s_cmp_ge_f32 s37, 0xc1a00000
	s_cselect_b32 s0, -1, 0
	s_cmp_nlt_f32 s38, 0xc2ce8ed0
	s_cselect_b32 s3, -1, 0
	s_cmp_ngt_f32 s38, 0x42b17218
	s_cselect_b32 s4, -1, 0
	s_cmp_ge_f32 s38, 0xc1a00000
	s_cselect_b32 s5, -1, 0
	s_and_b64 s[44:45], s[40:41], s[8:9]
	s_delay_alu instid0(SALU_CYCLE_1) | instskip(NEXT) | instid1(SALU_CYCLE_1)
	s_mul_u64 s[44:45], s[44:45], s[22:23]
	s_add_co_i32 s24, s45, s40
	s_delay_alu instid0(SALU_CYCLE_1) | instskip(NEXT) | instid1(SALU_CYCLE_1)
	s_lshr_b32 s24, s24, s13
	s_mul_i32 s29, s24, s14
	s_delay_alu instid0(SALU_CYCLE_1) | instskip(SKIP_3) | instid1(SALU_CYCLE_1)
	s_cmp_eq_u32 s29, s40
	s_cselect_b32 s29, -1, 0
	s_cmp_lt_u32 s24, s12
	s_cselect_b32 s24, -1, 0
	s_or_b32 s24, s24, s29
	s_mov_b32 s29, -1
	s_and_b32 vcc_lo, exec_lo, s24
	s_mov_b32 s24, s36
	s_cbranch_vccnz .LBB32_16
; %bb.15:                               ;   in Loop: Header=BB32_9 Depth=1
	s_add_co_i32 s24, s36, -1
	s_mov_b32 s29, 0
	s_mov_b32 s33, s40
.LBB32_16:                              ;   in Loop: Header=BB32_9 Depth=1
	v_lshl_add_u32 v4, s42, 8, v6
	s_mul_f32 s41, s37, 0x3fb8aa3b
	s_mul_f32 s40, s38, 0x3fb8aa3b
	s_delay_alu instid0(SALU_CYCLE_2)
	s_xor_b32 s43, s41, 0x80000000
	global_load_b32 v5, v4, s[26:27] scale_offset
	s_fmamk_f32 s43, s37, 0x3fb8aa3b, s43
	s_rndne_f32 s45, s41
	s_xor_b32 s42, s40, 0x80000000
	s_rndne_f32 s44, s40
	s_fmamk_f32 s37, s37, 0x32a5705f, s43
	s_sub_f32 s41, s41, s45
	s_fmamk_f32 s42, s38, 0x3fb8aa3b, s42
	s_sub_f32 s40, s40, s44
	s_delay_alu instid0(SALU_CYCLE_1) | instskip(NEXT) | instid1(SALU_CYCLE_1)
	s_add_f32 s37, s41, s37
	s_fmamk_f32 s38, s38, 0x32a5705f, s42
	s_cvt_i32_f32 s41, s45
	s_delay_alu instid0(SALU_CYCLE_1) | instskip(NEXT) | instid1(SALU_CYCLE_1)
	v_s_exp_f32 s37, s37
	s_add_f32 s38, s40, s38
	s_cvt_i32_f32 s40, s44
	s_delay_alu instid0(SALU_CYCLE_2) | instskip(NEXT) | instid1(TRANS32_DEP_2)
	v_s_exp_f32 s38, s38
	v_ldexp_f32 v8, s37, s41
	s_wait_xcnt 0x0
	s_delay_alu instid0(TRANS32_DEP_1) | instskip(NEXT) | instid1(VALU_DEP_2)
	v_ldexp_f32 v4, s38, s40
	v_cndmask_b32_e64 v8, 0, v8, s1
	s_delay_alu instid0(VALU_DEP_1) | instskip(NEXT) | instid1(VALU_DEP_1)
	v_cndmask_b32_e64 v9, 0x7f800000, v8, s2
	v_dual_cndmask_b32 v4, 0, v4, s3 :: v_dual_cndmask_b32 v10, 0, v9, s0
	s_delay_alu instid0(VALU_DEP_1) | instskip(NEXT) | instid1(VALU_DEP_1)
	v_cndmask_b32_e64 v4, 0x7f800000, v4, s4
	v_dual_cndmask_b32 v8, 0, v4, s5 :: v_dual_mov_b32 v4, s39
	s_wait_loadcnt 0x0
	s_delay_alu instid0(VALU_DEP_1) | instskip(NEXT) | instid1(VALU_DEP_1)
	v_pk_mul_f32 v[4:5], v[4:5], v[8:9] op_sel_hi:[1,0]
	v_pk_fma_f32 v[4:5], v[0:1], v[10:11], v[4:5] op_sel_hi:[1,0,1]
	s_cbranch_execz .LBB32_19
.LBB32_17:                              ;   in Loop: Header=BB32_9 Depth=1
	s_and_not1_b32 vcc_lo, exec_lo, s29
	s_cbranch_vccnz .LBB32_20
	s_branch .LBB32_23
.LBB32_18:                              ;   in Loop: Header=BB32_9 Depth=1
	s_and_not1_b32 vcc_lo, exec_lo, s0
	s_cbranch_vccnz .LBB32_17
.LBB32_19:                              ;   in Loop: Header=BB32_9 Depth=1
	s_wait_loadcnt 0x0
	v_mov_b64_e32 v[4:5], v[0:1]
	s_add_co_i32 s24, s36, -1
	s_mov_b32 s33, s20
	s_mov_b32 s17, s28
	s_cbranch_execz .LBB32_23
.LBB32_20:                              ;   in Loop: Header=BB32_9 Depth=1
	s_wait_loadcnt 0x0
	s_delay_alu instid0(VALU_DEP_1)
	v_mov_b64_e32 v[0:1], v[4:5]
	s_mov_b32 s20, s33
	s_mov_b32 s36, s24
	;; [unrolled: 1-line block ×3, first 2 shown]
	s_branch .LBB32_9
.LBB32_21:
                                        ; implicit-def: $sgpr20_sgpr21
	s_branch .LBB32_2
.LBB32_22:
                                        ; implicit-def: $sgpr24_sgpr25
	s_load_b96 s[12:14], s[0:1], 0x44
	s_branch .LBB32_5
.LBB32_23:
	s_delay_alu instid0(VALU_DEP_1) | instskip(SKIP_1) | instid1(VALU_DEP_1)
	v_div_scale_f32 v0, null, v4, v4, v5
	s_wait_loadcnt 0x0
	v_rcp_f32_e32 v1, v0
	v_nop
	s_delay_alu instid0(TRANS32_DEP_1) | instskip(NEXT) | instid1(VALU_DEP_1)
	v_fma_f32 v6, -v0, v1, 1.0
	v_fmac_f32_e32 v1, v6, v1
	v_div_scale_f32 v6, vcc_lo, v5, v4, v5
	s_delay_alu instid0(VALU_DEP_1) | instskip(NEXT) | instid1(VALU_DEP_1)
	v_mul_f32_e32 v7, v6, v1
	v_fma_f32 v8, -v0, v7, v6
	s_delay_alu instid0(VALU_DEP_1) | instskip(NEXT) | instid1(VALU_DEP_1)
	v_fmac_f32_e32 v7, v8, v1
	v_fma_f32 v0, -v0, v7, v6
	s_delay_alu instid0(VALU_DEP_1) | instskip(NEXT) | instid1(VALU_DEP_1)
	v_div_fmas_f32 v0, v0, v1, v7
	v_div_fixup_f32 v0, v0, v4, v5
	global_store_b32 v[2:3], v0, off
.LBB32_24:
	s_endpgm
	.section	.rodata,"a",@progbits
	.p2align	6, 0x0
	.amdhsa_kernel _ZL33flash_attn_stream_k_fixup_generalILi64ELi1ELi4EEvPfPK15HIP_vector_typeIfLj2EEiiiiS1_IjLj3EES5_S5_S5_
		.amdhsa_group_segment_fixed_size 0
		.amdhsa_private_segment_fixed_size 0
		.amdhsa_kernarg_size 336
		.amdhsa_user_sgpr_count 2
		.amdhsa_user_sgpr_dispatch_ptr 0
		.amdhsa_user_sgpr_queue_ptr 0
		.amdhsa_user_sgpr_kernarg_segment_ptr 1
		.amdhsa_user_sgpr_dispatch_id 0
		.amdhsa_user_sgpr_kernarg_preload_length 0
		.amdhsa_user_sgpr_kernarg_preload_offset 0
		.amdhsa_user_sgpr_private_segment_size 0
		.amdhsa_wavefront_size32 1
		.amdhsa_uses_dynamic_stack 0
		.amdhsa_enable_private_segment 0
		.amdhsa_system_sgpr_workgroup_id_x 1
		.amdhsa_system_sgpr_workgroup_id_y 1
		.amdhsa_system_sgpr_workgroup_id_z 1
		.amdhsa_system_sgpr_workgroup_info 0
		.amdhsa_system_vgpr_workitem_id 0
		.amdhsa_next_free_vgpr 12
		.amdhsa_next_free_sgpr 46
		.amdhsa_named_barrier_count 0
		.amdhsa_reserve_vcc 1
		.amdhsa_float_round_mode_32 0
		.amdhsa_float_round_mode_16_64 0
		.amdhsa_float_denorm_mode_32 3
		.amdhsa_float_denorm_mode_16_64 3
		.amdhsa_fp16_overflow 0
		.amdhsa_memory_ordered 1
		.amdhsa_forward_progress 1
		.amdhsa_inst_pref_size 26
		.amdhsa_round_robin_scheduling 0
		.amdhsa_exception_fp_ieee_invalid_op 0
		.amdhsa_exception_fp_denorm_src 0
		.amdhsa_exception_fp_ieee_div_zero 0
		.amdhsa_exception_fp_ieee_overflow 0
		.amdhsa_exception_fp_ieee_underflow 0
		.amdhsa_exception_fp_ieee_inexact 0
		.amdhsa_exception_int_div_zero 0
	.end_amdhsa_kernel
	.section	.text._ZL33flash_attn_stream_k_fixup_generalILi64ELi1ELi4EEvPfPK15HIP_vector_typeIfLj2EEiiiiS1_IjLj3EES5_S5_S5_,"axG",@progbits,_ZL33flash_attn_stream_k_fixup_generalILi64ELi1ELi4EEvPfPK15HIP_vector_typeIfLj2EEiiiiS1_IjLj3EES5_S5_S5_,comdat
.Lfunc_end32:
	.size	_ZL33flash_attn_stream_k_fixup_generalILi64ELi1ELi4EEvPfPK15HIP_vector_typeIfLj2EEiiiiS1_IjLj3EES5_S5_S5_, .Lfunc_end32-_ZL33flash_attn_stream_k_fixup_generalILi64ELi1ELi4EEvPfPK15HIP_vector_typeIfLj2EEiiiiS1_IjLj3EES5_S5_S5_
                                        ; -- End function
	.set _ZL33flash_attn_stream_k_fixup_generalILi64ELi1ELi4EEvPfPK15HIP_vector_typeIfLj2EEiiiiS1_IjLj3EES5_S5_S5_.num_vgpr, 12
	.set _ZL33flash_attn_stream_k_fixup_generalILi64ELi1ELi4EEvPfPK15HIP_vector_typeIfLj2EEiiiiS1_IjLj3EES5_S5_S5_.num_agpr, 0
	.set _ZL33flash_attn_stream_k_fixup_generalILi64ELi1ELi4EEvPfPK15HIP_vector_typeIfLj2EEiiiiS1_IjLj3EES5_S5_S5_.numbered_sgpr, 46
	.set _ZL33flash_attn_stream_k_fixup_generalILi64ELi1ELi4EEvPfPK15HIP_vector_typeIfLj2EEiiiiS1_IjLj3EES5_S5_S5_.num_named_barrier, 0
	.set _ZL33flash_attn_stream_k_fixup_generalILi64ELi1ELi4EEvPfPK15HIP_vector_typeIfLj2EEiiiiS1_IjLj3EES5_S5_S5_.private_seg_size, 0
	.set _ZL33flash_attn_stream_k_fixup_generalILi64ELi1ELi4EEvPfPK15HIP_vector_typeIfLj2EEiiiiS1_IjLj3EES5_S5_S5_.uses_vcc, 1
	.set _ZL33flash_attn_stream_k_fixup_generalILi64ELi1ELi4EEvPfPK15HIP_vector_typeIfLj2EEiiiiS1_IjLj3EES5_S5_S5_.uses_flat_scratch, 0
	.set _ZL33flash_attn_stream_k_fixup_generalILi64ELi1ELi4EEvPfPK15HIP_vector_typeIfLj2EEiiiiS1_IjLj3EES5_S5_S5_.has_dyn_sized_stack, 0
	.set _ZL33flash_attn_stream_k_fixup_generalILi64ELi1ELi4EEvPfPK15HIP_vector_typeIfLj2EEiiiiS1_IjLj3EES5_S5_S5_.has_recursion, 0
	.set _ZL33flash_attn_stream_k_fixup_generalILi64ELi1ELi4EEvPfPK15HIP_vector_typeIfLj2EEiiiiS1_IjLj3EES5_S5_S5_.has_indirect_call, 0
	.section	.AMDGPU.csdata,"",@progbits
; Kernel info:
; codeLenInByte = 3328
; TotalNumSgprs: 48
; NumVgprs: 12
; ScratchSize: 0
; MemoryBound: 0
; FloatMode: 240
; IeeeMode: 1
; LDSByteSize: 0 bytes/workgroup (compile time only)
; SGPRBlocks: 0
; VGPRBlocks: 0
; NumSGPRsForWavesPerEU: 48
; NumVGPRsForWavesPerEU: 12
; NamedBarCnt: 0
; Occupancy: 16
; WaveLimiterHint : 0
; COMPUTE_PGM_RSRC2:SCRATCH_EN: 0
; COMPUTE_PGM_RSRC2:USER_SGPR: 2
; COMPUTE_PGM_RSRC2:TRAP_HANDLER: 0
; COMPUTE_PGM_RSRC2:TGID_X_EN: 1
; COMPUTE_PGM_RSRC2:TGID_Y_EN: 1
; COMPUTE_PGM_RSRC2:TGID_Z_EN: 1
; COMPUTE_PGM_RSRC2:TIDIG_COMP_CNT: 0
	.section	.text._ZL15flash_attn_tileILi64ELi64ELi32ELi2ELb0EEvPKcS1_S1_S1_S1_PKiPfP15HIP_vector_typeIfLj2EEffffjfiS5_IjLj3EEiiiiiiiiiiiliiliiiiil,"axG",@progbits,_ZL15flash_attn_tileILi64ELi64ELi32ELi2ELb0EEvPKcS1_S1_S1_S1_PKiPfP15HIP_vector_typeIfLj2EEffffjfiS5_IjLj3EEiiiiiiiiiiiliiliiiiil,comdat
	.globl	_ZL15flash_attn_tileILi64ELi64ELi32ELi2ELb0EEvPKcS1_S1_S1_S1_PKiPfP15HIP_vector_typeIfLj2EEffffjfiS5_IjLj3EEiiiiiiiiiiiliiliiiiil ; -- Begin function _ZL15flash_attn_tileILi64ELi64ELi32ELi2ELb0EEvPKcS1_S1_S1_S1_PKiPfP15HIP_vector_typeIfLj2EEffffjfiS5_IjLj3EEiiiiiiiiiiiliiliiiiil
	.p2align	8
	.type	_ZL15flash_attn_tileILi64ELi64ELi32ELi2ELb0EEvPKcS1_S1_S1_S1_PKiPfP15HIP_vector_typeIfLj2EEffffjfiS5_IjLj3EEiiiiiiiiiiiliiliiiiil,@function
_ZL15flash_attn_tileILi64ELi64ELi32ELi2ELb0EEvPKcS1_S1_S1_S1_PKiPfP15HIP_vector_typeIfLj2EEffffjfiS5_IjLj3EEiiiiiiiiiiiliiliiiiil: ; @_ZL15flash_attn_tileILi64ELi64ELi32ELi2ELb0EEvPKcS1_S1_S1_S1_PKiPfP15HIP_vector_typeIfLj2EEffffjfiS5_IjLj3EEiiiiiiiiiiiliiliiiiil
; %bb.0:
	s_clause 0x1
	s_load_b128 s[20:23], s[0:1], 0x5c
	s_load_b64 s[30:31], s[0:1], 0x80
	s_bfe_u32 s5, ttmp6, 0x40014
	s_lshr_b32 s4, ttmp7, 16
	s_add_co_i32 s5, s5, 1
	s_bfe_u32 s6, ttmp6, 0x40008
	s_mul_i32 s5, s4, s5
	s_getreg_b32 s33, hwreg(HW_REG_IB_STS2, 6, 4)
	s_add_co_i32 s6, s6, s5
	s_load_b64 s[38:39], s[0:1], 0xb8
	s_mov_b32 s37, 0
	s_mov_b64 s[34:35], 0
	s_wait_kmcnt 0x0
	s_lshr_b32 s2, s23, 31
	s_delay_alu instid0(SALU_CYCLE_1) | instskip(NEXT) | instid1(SALU_CYCLE_1)
	s_add_co_i32 s2, s23, s2
	s_ashr_i32 s2, s2, 1
	s_delay_alu instid0(SALU_CYCLE_1) | instskip(SKIP_1) | instid1(SALU_CYCLE_2)
	s_cvt_f32_u32 s3, s2
	s_sub_co_i32 s7, 0, s2
	v_rcp_iflag_f32_e32 v1, s3
	v_nop
	s_delay_alu instid0(TRANS32_DEP_1) | instskip(SKIP_1) | instid1(SALU_CYCLE_3)
	v_readfirstlane_b32 s3, v1
	s_mul_f32 s3, s3, 0x4f7ffffe
	s_cvt_u32_f32 s3, s3
	s_delay_alu instid0(SALU_CYCLE_3) | instskip(NEXT) | instid1(SALU_CYCLE_1)
	s_mul_i32 s7, s7, s3
	s_mul_hi_u32 s7, s3, s7
	s_delay_alu instid0(SALU_CYCLE_1) | instskip(SKIP_2) | instid1(SALU_CYCLE_1)
	s_add_co_i32 s3, s3, s7
	s_cmp_eq_u32 s33, 0
	s_cselect_b32 s4, s4, s6
	s_mul_hi_u32 s3, s4, s3
	s_delay_alu instid0(SALU_CYCLE_1) | instskip(SKIP_2) | instid1(SALU_CYCLE_1)
	s_mul_i32 s5, s3, s2
	s_add_co_i32 s6, s3, 1
	s_sub_co_i32 s5, s4, s5
	s_sub_co_i32 s7, s5, s2
	s_cmp_ge_u32 s5, s2
	s_cselect_b32 s3, s6, s3
	s_cselect_b32 s5, s7, s5
	s_add_co_i32 s6, s3, 1
	s_cmp_ge_u32 s5, s2
	s_cselect_b32 s28, s6, s3
	s_abs_i32 s3, s31
	s_lshl_b32 s4, s4, 1
	s_cvt_f32_u32 s2, s3
	s_sub_co_i32 s5, 0, s3
	s_mul_i32 s6, s28, s23
	s_abs_i32 s7, s23
	v_rcp_iflag_f32_e32 v1, s2
	v_nop
	s_delay_alu instid0(TRANS32_DEP_1) | instskip(SKIP_1) | instid1(SALU_CYCLE_3)
	v_readfirstlane_b32 s2, v1
	s_mul_f32 s2, s2, 0x4f7ffffe
	s_cvt_u32_f32 s2, s2
	s_delay_alu instid0(SALU_CYCLE_3) | instskip(NEXT) | instid1(SALU_CYCLE_1)
	s_mul_i32 s5, s5, s2
	s_mul_hi_u32 s5, s2, s5
	s_delay_alu instid0(SALU_CYCLE_1)
	s_add_co_i32 s5, s2, s5
	s_sub_co_i32 s2, s4, s6
	s_mul_hi_u32 s4, s7, s5
	s_xor_b32 s5, s23, s31
	s_mul_i32 s6, s4, s3
	s_ashr_i32 s24, s5, 31
	s_sub_co_i32 s5, s7, s6
	s_add_co_i32 s6, s4, 1
	s_sub_co_i32 s7, s5, s3
	s_cmp_ge_u32 s5, s3
	s_cselect_b32 s4, s6, s4
	s_cselect_b32 s5, s7, s5
	s_add_co_i32 s6, s4, 1
	s_cmp_ge_u32 s5, s3
	s_cselect_b32 s3, s6, s4
	s_load_b512 s[4:19], s[0:1], 0x0
	s_xor_b32 s3, s3, s24
	s_delay_alu instid0(SALU_CYCLE_1) | instskip(NEXT) | instid1(SALU_CYCLE_1)
	s_sub_co_i32 s29, s3, s24
	s_abs_i32 s3, s29
	s_delay_alu instid0(SALU_CYCLE_1) | instskip(NEXT) | instid1(SALU_CYCLE_3)
	s_cvt_f32_u32 s24, s3
	v_rcp_iflag_f32_e32 v1, s24
	v_nop
	s_delay_alu instid0(TRANS32_DEP_1)
	v_readfirstlane_b32 s36, v1
	s_wait_kmcnt 0x0
	s_cmp_eq_u64 s[10:11], 0
	s_cbranch_scc1 .LBB33_2
; %bb.1:
	s_abs_i32 s26, s38
	s_abs_i32 s27, s28
	s_cvt_f32_u32 s24, s26
	s_sub_co_i32 s25, 0, s26
	s_delay_alu instid0(SALU_CYCLE_2) | instskip(SKIP_1) | instid1(TRANS32_DEP_1)
	v_rcp_iflag_f32_e32 v1, s24
	v_nop
	v_readfirstlane_b32 s24, v1
	s_mul_f32 s24, s24, 0x4f7ffffe
	s_delay_alu instid0(SALU_CYCLE_3) | instskip(NEXT) | instid1(SALU_CYCLE_3)
	s_cvt_u32_f32 s24, s24
	s_mul_i32 s25, s25, s24
	s_delay_alu instid0(SALU_CYCLE_1) | instskip(NEXT) | instid1(SALU_CYCLE_1)
	s_mul_hi_u32 s25, s24, s25
	s_add_co_i32 s24, s24, s25
	s_delay_alu instid0(SALU_CYCLE_1) | instskip(SKIP_2) | instid1(SALU_CYCLE_1)
	s_mul_hi_u32 s31, s27, s24
	s_load_b64 s[24:25], s[0:1], 0xc8
	s_mul_i32 s31, s31, s26
	s_sub_co_i32 s27, s27, s31
	s_ashr_i32 s31, s28, 31
	s_sub_co_i32 s34, s27, s26
	s_cmp_ge_u32 s27, s26
	s_cselect_b32 s27, s34, s27
	s_delay_alu instid0(SALU_CYCLE_1) | instskip(SKIP_2) | instid1(SALU_CYCLE_1)
	s_sub_co_i32 s34, s27, s26
	s_cmp_ge_u32 s27, s26
	s_cselect_b32 s26, s34, s27
	s_xor_b32 s26, s26, s31
	s_delay_alu instid0(SALU_CYCLE_1) | instskip(NEXT) | instid1(SALU_CYCLE_1)
	s_sub_co_i32 s26, s26, s31
	s_ashr_i32 s27, s26, 31
	s_wait_kmcnt 0x0
	s_mul_u64 s[24:25], s[24:25], s[26:27]
	s_delay_alu instid0(SALU_CYCLE_1)
	s_add_nc_u64 s[34:35], s[10:11], s[24:25]
.LBB33_2:
	s_bfe_u32 s10, ttmp6, 0x4000c
	v_bfe_u32 v18, v0, 10, 10
	s_add_co_i32 s10, s10, 1
	s_and_b32 s11, ttmp6, 15
	s_mul_i32 s10, ttmp9, s10
	s_delay_alu instid0(VALU_DEP_1)
	v_dual_mov_b32 v17, 0 :: v_dual_lshlrev_b32 v156, 3, v18
	s_add_co_i32 s11, s11, s10
	s_cmp_eq_u32 s33, 0
	s_load_b96 s[24:26], s[0:1], 0x70
	s_cselect_b32 s38, ttmp9, s11
	v_dual_mov_b32 v3, v17 :: v_dual_mov_b32 v9, v17
	s_lshl_b32 s31, s38, 5
	s_delay_alu instid0(SALU_CYCLE_1) | instskip(SKIP_2) | instid1(VALU_DEP_3)
	v_dual_lshlrev_b32 v21, 4, v18 :: v_dual_add_nc_u32 v159, s31, v156
	v_mov_b32_e32 v13, v17
	v_and_b32_e32 v123, 0x3ff, v0
	v_dual_mov_b32 v1, v17 :: v_dual_bitop2_b32 v14, 2, v21 bitop3:0x54
	s_delay_alu instid0(VALU_DEP_4) | instskip(SKIP_2) | instid1(VALU_DEP_4)
	v_mul_hi_u32 v2, v159, s20
	v_or_b32_e32 v15, 3, v21
	v_or_b32_e32 v19, 4, v21
	v_dual_lshrrev_b32 v183, 1, v14 :: v_dual_bitop2_b32 v57, 13, v21 bitop3:0x54
	v_or_b32_e32 v22, 6, v21
	s_delay_alu instid0(VALU_DEP_3)
	v_dual_lshrrev_b32 v163, 1, v19 :: v_dual_bitop2_b32 v58, 14, v21 bitop3:0x54
	v_or_b32_e32 v25, 9, v21
	s_wait_kmcnt 0x0
	s_mul_i32 s40, s28, s26
	v_lshrrev_b32_e32 v158, 1, v22
	v_dual_add_nc_u32 v2, v159, v2 :: v_dual_bitop2_b32 v23, 7, v21 bitop3:0x54
	v_dual_lshrrev_b32 v165, 1, v15 :: v_dual_bitop2_b32 v20, 5, v21 bitop3:0x54
	s_delay_alu instid0(VALU_DEP_2) | instskip(NEXT) | instid1(VALU_DEP_3)
	v_dual_lshrrev_b32 v2, s21, v2 :: v_dual_bitop2_b32 v24, 8, v21 bitop3:0x54
	v_dual_lshrrev_b32 v153, 1, v23 :: v_dual_bitop2_b32 v26, 10, v21 bitop3:0x54
	s_delay_alu instid0(VALU_DEP_3) | instskip(NEXT) | instid1(VALU_DEP_3)
	v_dual_lshrrev_b32 v161, 1, v20 :: v_dual_add_nc_u32 v184, s31, v183
	v_mul_lo_u32 v2, v2, s22
	s_delay_alu instid0(VALU_DEP_3) | instskip(NEXT) | instid1(VALU_DEP_4)
	v_lshrrev_b32_e32 v135, 1, v26
	v_dual_add_nc_u32 v160, s31, v158 :: v_dual_add_nc_u32 v157, s31, v153
	v_dual_add_nc_u32 v182, s31, v165 :: v_dual_add_nc_u32 v164, s31, v163
	v_dual_lshrrev_b32 v145, 1, v24 :: v_dual_lshrrev_b32 v136, 1, v25
	s_delay_alu instid0(VALU_DEP_3) | instskip(SKIP_1) | instid1(VALU_DEP_4)
	v_mul_hi_u32 v8, v160, s20
	v_add_nc_u32_e32 v162, s31, v161
	v_mul_hi_u32 v10, v182, s20
	v_sub_nc_u32_e32 v16, v159, v2
	v_mul_hi_u32 v2, v184, s20
	v_mul_hi_u32 v6, v164, s20
	;; [unrolled: 1-line block ×3, first 2 shown]
	v_dual_add_nc_u32 v152, s31, v145 :: v_dual_add_nc_u32 v146, s31, v136
	v_mul_hi_u32 v11, v157, s20
	v_add_nc_u32_e32 v149, s31, v135
	s_mul_i32 s42, s2, s25
	s_delay_alu instid0(VALU_DEP_3)
	v_mul_hi_u32 v12, v152, s20
	v_mul_hi_u32 v30, v146, s20
	s_ashr_i32 s27, s25, 31
	v_add_nc_u32_e32 v2, v184, v2
	s_mov_b32 s26, s25
	v_dual_add_nc_u32 v7, v162, v7 :: v_dual_add_nc_u32 v8, v160, v8
	v_add_nc_u32_e32 v6, v164, v6
	s_delay_alu instid0(VALU_DEP_3) | instskip(NEXT) | instid1(VALU_DEP_3)
	v_lshrrev_b32_e32 v2, s21, v2
	v_dual_add_nc_u32 v10, v182, v10 :: v_dual_lshrrev_b32 v7, s21, v7
	s_delay_alu instid0(VALU_DEP_3) | instskip(SKIP_1) | instid1(VALU_DEP_4)
	v_dual_lshrrev_b32 v8, s21, v8 :: v_dual_lshrrev_b32 v6, s21, v6
	v_add_nc_u32_e32 v11, v157, v11
	v_mul_lo_u32 v2, v2, s22
	s_delay_alu instid0(VALU_DEP_4) | instskip(NEXT) | instid1(VALU_DEP_4)
	v_mul_lo_u32 v7, v7, s22
	v_mul_lo_u32 v27, v8, s22
	;; [unrolled: 1-line block ×3, first 2 shown]
	v_dual_lshrrev_b32 v8, s21, v11 :: v_dual_add_nc_u32 v11, v152, v12
	v_lshrrev_b32_e32 v40, s21, v10
	s_ashr_i32 s25, s24, 31
	s_ashr_i32 s41, s40, 31
	s_delay_alu instid0(VALU_DEP_2)
	v_mul_lo_u32 v31, v8, s22
	v_dual_sub_nc_u32 v2, v184, v2 :: v_dual_bitop2_b32 v56, 12, v21 bitop3:0x54
	v_dual_add_nc_u32 v30, v146, v30 :: v_dual_sub_nc_u32 v28, v160, v27
	v_dual_lshrrev_b32 v27, s21, v11 :: v_dual_sub_nc_u32 v8, v164, v6
	v_dual_mov_b32 v29, v17 :: v_dual_sub_nc_u32 v12, v162, v7
	s_lshr_b64 s[10:11], s[24:25], 2
	s_delay_alu instid0(VALU_DEP_2) | instskip(SKIP_4) | instid1(VALU_DEP_4)
	v_mul_lo_u32 v32, v27, s22
	v_or_b32_e32 v27, 11, v21
	v_mul_hi_u32 v33, v149, s20
	v_dual_lshrrev_b32 v34, s21, v30 :: v_dual_bitop2_b32 v21, 15, v21 bitop3:0x54
	v_mul_u64_e32 v[10:11], s[10:11], v[8:9]
	v_lshrrev_b32_e32 v150, 1, v27
	v_mul_u64_e32 v[8:9], s[10:11], v[12:13]
	v_mul_u64_e32 v[12:13], s[10:11], v[28:29]
	v_dual_sub_nc_u32 v28, v157, v31 :: v_dual_lshrrev_b32 v137, 1, v56
	v_dual_mov_b32 v31, v17 :: v_dual_sub_nc_u32 v30, v152, v32
	v_add_nc_u32_e32 v154, s31, v150
	v_mul_lo_u32 v32, v34, s22
	v_add_nc_u32_e32 v33, v149, v33
	v_lshrrev_b32_e32 v37, 1, v21
	v_mul_u64_e32 v[4:5], s[10:11], v[16:17]
	v_mul_hi_u32 v34, v154, s20
	v_lshrrev_b32_e32 v151, 1, v57
	v_mul_u64_e32 v[28:29], s[10:11], v[28:29]
	v_add_nc_u32_e32 v45, s31, v37
	v_mul_u64_e32 v[30:31], s[10:11], v[30:31]
	v_mul_lo_u32 v46, v40, s22
	v_mul_u64_e32 v[2:3], s[10:11], v[2:3]
	v_dual_sub_nc_u32 v32, v146, v32 :: v_dual_lshrrev_b32 v33, s21, v33
	s_ashr_i32 s43, s42, 31
	s_add_nc_u64 s[4:5], s[4:5], s[40:41]
	s_and_b64 s[24:25], s[26:27], -4
	s_add_nc_u64 s[4:5], s[4:5], s[42:43]
	v_mul_lo_u32 v36, v33, s22
	v_dual_add_nc_u32 v33, v154, v34 :: v_dual_add_nc_u32 v155, s31, v151
	v_dual_add_nc_u32 v147, s31, v137 :: v_dual_lshrrev_b32 v144, 1, v58
	s_add_nc_u64 s[24:25], s[4:5], s[24:25]
	v_lshlrev_b32_e32 v0, 3, v123
	s_delay_alu instid0(VALU_DEP_3) | instskip(NEXT) | instid1(VALU_DEP_3)
	v_mul_hi_u32 v34, v155, s20
	v_mul_hi_u32 v35, v147, s20
	v_add_nc_u32_e32 v148, s31, v144
	v_lshl_add_u64 v[10:11], v[10:11], 2, s[4:5]
	s_cmp_eq_u64 s[14:15], 0
	v_dual_mov_b32 v47, v17 :: v_dual_sub_nc_u32 v46, v182, v46
	s_delay_alu instid0(VALU_DEP_2)
	v_add_nc_u64_e32 v[10:11], v[10:11], v[0:1]
	v_lshlrev_b64_e32 v[4:5], 2, v[4:5]
	v_dual_add_nc_u32 v35, v147, v35 :: v_dual_lshrrev_b32 v38, s21, v33
	v_mov_b32_e32 v33, v17
	s_clause 0x1
	scratch_store_b32 off, v37, off offset:32
	scratch_store_b32 off, v45, off offset:28
	s_wait_xcnt 0x1
	v_mul_hi_u32 v37, v148, s20
	v_mul_hi_u32 v39, v45, s20
	v_dual_add_nc_u32 v41, v155, v34 :: v_dual_lshrrev_b32 v35, s21, v35
	v_mul_lo_u32 v38, v38, s22
	v_mul_u64_e32 v[32:33], s[10:11], v[32:33]
	v_add_nc_u64_e32 v[6:7], s[4:5], v[4:5]
	v_add_nc_u64_e32 v[50:51], s[24:25], v[4:5]
	v_mul_lo_u32 v42, v35, s22
	v_mov_b32_e32 v35, v17
	v_lshl_add_u64 v[4:5], v[8:9], 2, s[24:25]
	v_dual_add_nc_u32 v37, v148, v37 :: v_dual_add_nc_u32 v39, v45, v39
	v_dual_sub_nc_u32 v34, v149, v36 :: v_dual_lshrrev_b32 v41, s21, v41
	s_delay_alu instid0(VALU_DEP_2) | instskip(NEXT) | instid1(VALU_DEP_3)
	v_dual_sub_nc_u32 v36, v154, v38 :: v_dual_lshrrev_b32 v43, s21, v37
	v_dual_lshrrev_b32 v39, s21, v39 :: v_dual_mov_b32 v37, v17
	s_delay_alu instid0(VALU_DEP_3) | instskip(SKIP_1) | instid1(VALU_DEP_4)
	v_mul_lo_u32 v41, v41, s22
	v_sub_nc_u32_e32 v38, v147, v42
	v_mul_lo_u32 v43, v43, s22
	s_delay_alu instid0(VALU_DEP_4)
	v_mul_lo_u32 v44, v39, s22
	v_mov_b32_e32 v39, v17
	v_mul_u64_e32 v[34:35], s[10:11], v[34:35]
	v_mul_u64_e32 v[36:37], s[10:11], v[36:37]
	;; [unrolled: 1-line block ×3, first 2 shown]
	v_add_nc_u64_e32 v[48:49], v[6:7], v[0:1]
	v_mul_u64_e32 v[38:39], s[10:11], v[38:39]
	v_lshl_add_u64 v[6:7], v[12:13], 2, s[4:5]
	v_dual_mov_b32 v41, v17 :: v_dual_sub_nc_u32 v40, v155, v41
	v_dual_mov_b32 v43, v17 :: v_dual_sub_nc_u32 v42, v148, v43
	v_sub_nc_u32_e32 v44, v45, v44
	s_wait_xcnt 0x0
	v_mov_b32_e32 v45, v17
	v_mul_u64_e32 v[40:41], s[10:11], v[40:41]
	v_lshl_add_u64 v[12:13], v[28:29], 2, s[24:25]
	v_mul_u64_e32 v[42:43], s[10:11], v[42:43]
	v_add_nc_u64_e32 v[28:29], v[4:5], v[0:1]
	v_mul_u64_e32 v[44:45], s[10:11], v[44:45]
	v_lshl_add_u64 v[4:5], v[30:31], 2, s[4:5]
	v_lshl_add_u64 v[30:31], v[32:33], 2, s[24:25]
	v_add_nc_u64_e32 v[32:33], v[6:7], v[0:1]
	v_add_nc_u64_e32 v[12:13], v[12:13], v[0:1]
	v_lshl_add_u64 v[46:47], v[2:3], 2, s[4:5]
	v_add_nc_u64_e32 v[52:53], v[4:5], v[0:1]
	v_add_nc_u64_e32 v[30:31], v[30:31], v[0:1]
	s_clause 0x5
	global_load_b64 v[54:55], v[10:11], off
	global_load_b64 v[6:7], v[28:29], off
	;; [unrolled: 1-line block ×6, first 2 shown]
	v_lshl_add_u64 v[10:11], v[34:35], 2, s[4:5]
	s_wait_xcnt 0x2
	v_lshl_add_u64 v[12:13], v[36:37], 2, s[24:25]
	v_lshl_add_u64 v[8:9], v[8:9], 2, s[24:25]
	s_wait_xcnt 0x0
	v_lshl_add_u64 v[30:31], v[38:39], 2, s[4:5]
	v_add_nc_u64_e32 v[10:11], v[10:11], v[0:1]
	v_add_nc_u64_e32 v[12:13], v[12:13], v[0:1]
	s_delay_alu instid0(VALU_DEP_3)
	v_add_nc_u64_e32 v[30:31], v[30:31], v[0:1]
	v_lshl_add_u64 v[34:35], v[40:41], 2, s[24:25]
	v_add_nc_u64_e32 v[40:41], v[50:51], v[0:1]
	v_lshl_add_u64 v[36:37], v[42:43], 2, s[4:5]
	s_clause 0x2
	global_load_b64 v[10:11], v[10:11], off
	global_load_b64 v[12:13], v[12:13], off
	;; [unrolled: 1-line block ×3, first 2 shown]
	v_lshl_add_u64 v[38:39], v[44:45], 2, s[24:25]
	v_add_nc_u64_e32 v[34:35], v[34:35], v[0:1]
	v_add_nc_u64_e32 v[36:37], v[36:37], v[0:1]
	;; [unrolled: 1-line block ×3, first 2 shown]
	s_load_b32 s4, s[0:1], 0x40
	v_add_nc_u64_e32 v[38:39], v[38:39], v[0:1]
	v_add_nc_u64_e32 v[0:1], v[8:9], v[0:1]
	s_clause 0x6
	global_load_b64 v[34:35], v[34:35], off
	global_load_b64 v[36:37], v[36:37], off
	;; [unrolled: 1-line block ×7, first 2 shown]
	s_wait_xcnt 0x0
	v_lshl_add_u32 v1, v123, 2, 0x4400
	s_delay_alu instid0(VALU_DEP_1)
	v_lshl_add_u32 v14, v14, 7, v1
	v_lshl_add_u32 v15, v15, 7, v1
	;; [unrolled: 1-line block ×13, first 2 shown]
	s_wait_loadcnt 0xf
	s_wait_kmcnt 0x0
	v_fma_mixlo_f16 v43, s4, v55, 0
	v_lshlrev_b32_e32 v0, 11, v18
	s_wait_loadcnt 0xe
	v_fma_mixlo_f16 v6, s4, v6, 0
	v_fma_mixlo_f16 v7, s4, v7, 0
	s_wait_loadcnt 0xd
	v_fma_mixlo_f16 v4, s4, v4, 0
	v_fma_mixlo_f16 v5, s4, v5, 0
	s_wait_loadcnt 0xc
	v_fma_mixlo_f16 v2, s4, v2, 0
	s_wait_loadcnt 0xb
	;; [unrolled: 2-line block ×3, first 2 shown]
	v_fma_mixlo_f16 v33, s4, v33, 0
	v_fma_mixlo_f16 v3, s4, v3, 0
	;; [unrolled: 1-line block ×4, first 2 shown]
	v_dual_lshlrev_b32 v43, 16, v43 :: v_dual_add_nc_u32 v17, v1, v0
	v_lshlrev_b32_e32 v7, 16, v7
	v_lshl_add_u32 v1, v21, 7, v1
	v_fma_mixlo_f16 v21, s4, v54, 0
	v_and_b32_e32 v6, 0xffff, v6
	v_dual_lshlrev_b32 v5, 16, v5 :: v_dual_lshlrev_b32 v3, 16, v3
	v_and_b32_e32 v4, 0xffff, v4
	s_delay_alu instid0(VALU_DEP_4)
	v_and_b32_e32 v21, 0xffff, v21
	v_and_b32_e32 v2, 0xffff, v2
	;; [unrolled: 1-line block ×4, first 2 shown]
	v_or_b32_e32 v6, v7, v6
	s_wait_loadcnt 0x9
	v_fma_mixlo_f16 v10, s4, v10, 0
	v_fma_mixlo_f16 v11, s4, v11, 0
	s_wait_loadcnt 0x8
	v_fma_mixlo_f16 v12, s4, v12, 0
	v_fma_mixlo_f16 v13, s4, v13, 0
	;; [unrolled: 3-line block ×3, first 2 shown]
	v_dual_lshlrev_b32 v29, 16, v29 :: v_dual_lshlrev_b32 v11, 16, v11
	v_and_b32_e32 v10, 0xffff, v10
	v_and_b32_e32 v12, 0xffff, v12
	s_delay_alu instid0(VALU_DEP_4)
	v_dual_lshlrev_b32 v33, 16, v33 :: v_dual_lshlrev_b32 v31, 16, v31
	s_wait_loadcnt 0x6
	v_fma_mixlo_f16 v34, s4, v34, 0
	v_fma_mixlo_f16 v35, s4, v35, 0
	s_wait_loadcnt 0x5
	v_fma_mixlo_f16 v36, s4, v36, 0
	v_fma_mixlo_f16 v37, s4, v37, 0
	;; [unrolled: 3-line block ×7, first 2 shown]
	v_dual_lshlrev_b32 v13, 16, v13 :: v_dual_lshlrev_b32 v35, 16, v35
	v_and_b32_e32 v30, 0xffff, v30
	v_and_b32_e32 v34, 0xffff, v34
	v_dual_lshlrev_b32 v37, 16, v37 :: v_dual_lshlrev_b32 v39, 16, v39
	v_and_b32_e32 v36, 0xffff, v36
	v_and_b32_e32 v38, 0xffff, v38
	v_dual_lshlrev_b32 v9, 16, v9 :: v_dual_lshlrev_b32 v47, 16, v47
	v_and_b32_e32 v8, 0xffff, v8
	v_lshlrev_b32_e32 v45, 16, v45
	v_and_b32_e32 v44, 0xffff, v44
	v_and_b32_e32 v46, 0xffff, v46
	v_dual_lshlrev_b32 v49, 16, v49 :: v_dual_bitop2_b32 v4, v5, v4 bitop3:0x54
	v_and_b32_e32 v48, 0xffff, v48
	v_or_b32_e32 v7, v11, v10
	v_or_b32_e32 v10, v13, v12
	;; [unrolled: 1-line block ×14, first 2 shown]
	ds_store_b32 v26, v7
	ds_store_b32 v27, v10
	;; [unrolled: 1-line block ×6, first 2 shown]
	ds_store_2addr_b32 v17, v8, v9 offset1:32
	ds_store_b32 v14, v29
	ds_store_b32 v15, v30
	;; [unrolled: 1-line block ×8, first 2 shown]
	s_wait_storecnt_dscnt 0x0
	s_barrier_signal -1
	s_barrier_wait -1
	s_cbranch_scc1 .LBB33_4
; %bb.3:
	s_load_b32 s4, s[0:1], 0xd0
	s_wait_kmcnt 0x0
	s_mul_i32 s4, s4, s28
	s_delay_alu instid0(SALU_CYCLE_1)
	s_add_co_i32 s4, s4, s38
	s_load_b32 s30, s[14:15], s4 offset:0x0 scale_offset
.LBB33_4:
	s_wait_xcnt 0x0
	s_bfe_u32 s4, ttmp6, 0x40010
	s_and_b32 s5, ttmp7, 0xffff
	s_add_co_i32 s4, s4, 1
	s_bfe_u32 s10, ttmp6, 0x40004
	s_mul_i32 s4, s5, s4
	v_mbcnt_lo_u32_b32 v142, -1, 0
	s_add_co_i32 s10, s10, s4
	s_cmp_eq_u32 s33, 0
	s_cselect_b32 s33, s5, s10
	s_mov_b32 s5, 0
	s_lshl_b32 s4, s33, 6
	s_wait_kmcnt 0x0
	s_cmp_lt_i32 s4, s30
	s_cbranch_scc1 .LBB33_7
; %bb.5:
	v_mbcnt_lo_u32_b32 v19, -1, 0
	s_delay_alu instid0(VALU_DEP_1)
	v_dual_mov_b32 v51, 32 :: v_dual_bitop2_b32 v143, 16, v19 bitop3:0x14
	v_xor_b32_e32 v141, 8, v19
	v_xor_b32_e32 v139, 4, v19
	;; [unrolled: 1-line block ×4, first 2 shown]
	s_and_not1_b32 vcc_lo, exec_lo, s5
	s_cbranch_vccz .LBB33_8
; %bb.6:
	v_dual_mov_b32 v0, 0xfeffffff :: v_dual_mov_b32 v77, 0
	v_dual_mov_b32 v179, 0 :: v_dual_mov_b32 v178, 0
	;; [unrolled: 1-line block ×3, first 2 shown]
	s_delay_alu instid0(VALU_DEP_3)
	v_dual_mov_b32 v1, v0 :: v_dual_mov_b32 v2, v0
	v_dual_mov_b32 v3, v0 :: v_dual_mov_b32 v4, v0
	;; [unrolled: 1-line block ×21, first 2 shown]
	s_branch .LBB33_11
.LBB33_7:
                                        ; implicit-def: $vgpr19
                                        ; implicit-def: $vgpr51
                                        ; implicit-def: $vgpr143
                                        ; implicit-def: $vgpr141
                                        ; implicit-def: $vgpr139
                                        ; implicit-def: $vgpr140
                                        ; implicit-def: $vgpr138
.LBB33_8:
	v_dual_mov_b32 v89, 0 :: v_dual_add_nc_u32 v88, 1, v159
	s_mov_b32 s14, s20
	s_mov_b32 s15, s37
	s_clause 0x1a
	scratch_store_b32 off, v184, off offset:144
	scratch_store_b32 off, v183, off offset:140
	;; [unrolled: 1-line block ×27, first 2 shown]
	s_wait_xcnt 0x4
	v_dual_mov_b32 v166, v89 :: v_dual_add_nc_u32 v145, 0x4400, v0
	v_mul_u64_e32 v[2:3], s[14:15], v[88:89]
	v_dual_mov_b32 v168, v89 :: v_dual_add_nc_u32 v147, 0x2400, v0
	v_xor_b32_e32 v141, 8, v142
	s_ashr_i32 s5, s39, 1
	s_wait_xcnt 0x3
	v_dual_lshlrev_b32 v144, 2, v123 :: v_dual_lshlrev_b32 v25, 4, v123
	v_mul_lo_u32 v16, v16, s5
	s_clause 0x2
	s_load_b64 s[40:41], s[0:1], 0x8c
	s_load_b128 s[24:27], s[0:1], 0x98
	s_load_b64 s[44:45], s[0:1], 0xa8
	s_mul_f32 s38, s36, 0x4f7ffffe
	s_sub_co_i32 s20, 0, s3
	s_ashr_i32 s42, s2, 31
	s_ashr_i32 s46, s29, 31
	s_cvt_u32_f32 s38, s38
	s_abs_i32 s36, s2
	s_mov_b32 s43, s37
	s_xor_b32 s46, s42, s46
	s_mul_i32 s20, s20, s38
	s_ashr_i32 s29, s28, 31
	s_mul_hi_u32 s20, s38, s20
	v_dual_add_nc_u32 v149, v147, v25 :: v_dual_bitop2_b32 v139, 4, v142 bitop3:0x14
	s_add_co_i32 s42, s38, s20
	v_mul_u32_u24_e32 v146, 0x90, v123
	v_dual_mov_b32 v167, v89 :: v_dual_bitop2_b32 v140, 2, v142 bitop3:0x14
	v_dual_mov_b32 v169, v89 :: v_dual_bitop2_b32 v138, 1, v142 bitop3:0x14
	s_wait_kmcnt 0x0
	s_mul_u64 s[24:25], s[24:25], s[28:29]
	s_mul_u64 s[38:39], s[44:45], s[28:29]
	v_mov_b32_e32 v0, 0xfeffffff
	s_add_nc_u64 s[6:7], s[6:7], s[24:25]
	v_add_nc_u32_e32 v1, v88, v3
	v_dual_mov_b32 v5, 0xfeffffff :: v_dual_mov_b32 v6, 0xfeffffff
	v_dual_mov_b32 v7, 0xfeffffff :: v_dual_mov_b32 v8, 0xfeffffff
	s_delay_alu instid0(VALU_DEP_3) | instskip(SKIP_2) | instid1(VALU_DEP_3)
	v_lshrrev_b32_e32 v1, s21, v1
	v_dual_mov_b32 v9, 0xfeffffff :: v_dual_mov_b32 v10, 0xfeffffff
	v_dual_mov_b32 v11, 0xfeffffff :: v_dual_mov_b32 v12, 0xfeffffff
	v_mul_lo_u32 v1, v1, s22
	v_dual_mov_b32 v13, 0xfeffffff :: v_dual_mov_b32 v14, 0xfeffffff
	v_dual_mov_b32 v15, 0xfeffffff :: v_dual_mov_b32 v170, v89
	v_dual_mov_b32 v171, v89 :: v_dual_add_nc_u32 v150, 0x400, v144
	v_dual_mov_b32 v172, v89 :: v_dual_add_nc_u32 v151, 0x800, v144
	;; [unrolled: 1-line block ×3, first 2 shown]
	v_dual_sub_nc_u32 v17, v88, v1 :: v_dual_add_nc_u32 v88, 2, v159
	v_dual_mov_b32 v174, v89 :: v_dual_add_nc_u32 v153, 0x1000, v144
	v_dual_mov_b32 v81, v89 :: v_dual_add_nc_u32 v154, 0x1400, v144
	s_delay_alu instid0(VALU_DEP_3)
	v_mul_u64_e32 v[2:3], s[14:15], v[88:89]
	v_dual_mov_b32 v80, v89 :: v_dual_add_nc_u32 v155, 0x1800, v144
	v_dual_mov_b32 v79, v89 :: v_dual_add_nc_u32 v156, 0x1c00, v144
	v_dual_mov_b32 v86, v89 :: v_dual_mov_b32 v87, v89
	v_dual_mov_b32 v84, v89 :: v_dual_mov_b32 v85, v89
	;; [unrolled: 1-line block ×8, first 2 shown]
	s_add_nc_u64 s[8:9], s[8:9], s[38:39]
	s_add_nc_u64 s[10:11], s[0:1], 0xd0
	v_dual_mov_b32 v4, 0xfeffffff :: v_dual_lshrrev_b32 v19, 3, v123
	v_dual_mov_b32 v78, v89 :: v_dual_mov_b32 v175, v89
	v_add_nc_u32_e32 v1, v88, v3
	v_mul_lo_u32 v17, v17, s5
	s_clause 0x1
	scratch_store_b32 off, v16, off
	scratch_store_b32 off, v159, off offset:108
	v_lshrrev_b32_e32 v1, s21, v1
	s_delay_alu instid0(VALU_DEP_1) | instskip(SKIP_2) | instid1(VALU_DEP_1)
	v_mul_lo_u32 v1, v1, s22
	scratch_store_b32 off, v17, off offset:4 ; 4-byte Folded Spill
	v_dual_sub_nc_u32 v22, v88, v1 :: v_dual_add_nc_u32 v88, 3, v159
	v_mul_u64_e32 v[2:3], s[14:15], v[88:89]
	s_delay_alu instid0(VALU_DEP_1) | instskip(SKIP_1) | instid1(VALU_DEP_3)
	v_add_nc_u32_e32 v1, v88, v3
	s_wait_xcnt 0x0
	v_mul_lo_u32 v17, v22, s5
	s_delay_alu instid0(VALU_DEP_2) | instskip(NEXT) | instid1(VALU_DEP_1)
	v_lshrrev_b32_e32 v1, s21, v1
	v_mul_lo_u32 v1, v1, s22
	scratch_store_b32 off, v17, off offset:8 ; 4-byte Folded Spill
	v_dual_sub_nc_u32 v23, v88, v1 :: v_dual_add_nc_u32 v88, 4, v159
	s_delay_alu instid0(VALU_DEP_1) | instskip(NEXT) | instid1(VALU_DEP_1)
	v_mul_u64_e32 v[2:3], s[14:15], v[88:89]
	v_add_nc_u32_e32 v1, v88, v3
	s_wait_xcnt 0x0
	s_delay_alu instid0(VALU_DEP_3) | instskip(NEXT) | instid1(VALU_DEP_2)
	v_mul_lo_u32 v17, v23, s5
	v_lshrrev_b32_e32 v1, s21, v1
	s_delay_alu instid0(VALU_DEP_1) | instskip(SKIP_2) | instid1(VALU_DEP_1)
	v_mul_lo_u32 v1, v1, s22
	scratch_store_b32 off, v17, off offset:12 ; 4-byte Folded Spill
	v_dual_sub_nc_u32 v24, v88, v1 :: v_dual_add_nc_u32 v88, 5, v159
	v_mul_u64_e32 v[2:3], s[14:15], v[88:89]
	s_delay_alu instid0(VALU_DEP_1) | instskip(SKIP_1) | instid1(VALU_DEP_2)
	v_dual_mov_b32 v2, 0xfeffffff :: v_dual_add_nc_u32 v1, v88, v3
	v_mov_b32_e32 v3, 0xfeffffff
	v_lshrrev_b32_e32 v1, s21, v1
	s_delay_alu instid0(VALU_DEP_1) | instskip(NEXT) | instid1(VALU_DEP_1)
	v_mul_lo_u32 v1, v1, s22
	v_dual_sub_nc_u32 v26, v88, v1 :: v_dual_bitop2_b32 v143, 16, v142 bitop3:0x14
	v_dual_mov_b32 v1, 0xfeffffff :: v_dual_add_nc_u32 v88, 6, v159
	s_delay_alu instid0(VALU_DEP_1) | instskip(SKIP_1) | instid1(VALU_DEP_2)
	v_mul_u64_e32 v[20:21], s[14:15], v[88:89]
	v_lshl_add_u32 v20, v18, 2, v19
	v_dual_add_nc_u32 v18, v88, v21 :: v_dual_bitop2_b32 v16, 28, v144 bitop3:0x40
	s_delay_alu instid0(VALU_DEP_1) | instskip(NEXT) | instid1(VALU_DEP_2)
	v_dual_mov_b32 v76, v89 :: v_dual_lshlrev_b32 v25, 2, v16
	v_lshrrev_b32_e32 v18, s21, v18
	s_delay_alu instid0(VALU_DEP_2) | instskip(SKIP_1) | instid1(VALU_DEP_3)
	v_mad_u32_u24 v157, 0x90, v20, v25
	v_lshl_or_b32 v158, v20, 7, v25
	v_mul_lo_u32 v18, v18, s22
	s_delay_alu instid0(VALU_DEP_1) | instskip(NEXT) | instid1(VALU_DEP_1)
	v_dual_sub_nc_u32 v21, v88, v18 :: v_dual_add_nc_u32 v88, 7, v159
	v_mul_u64_e32 v[18:19], s[14:15], v[88:89]
	s_mul_u64 s[14:15], s[36:37], s[42:43]
	s_delay_alu instid0(SALU_CYCLE_1)
	s_mul_i32 s14, s15, s3
	s_add_co_i32 s20, s15, 1
	s_sub_co_i32 s37, s36, s14
	s_ashr_i32 s36, s40, 2
	s_ashr_i32 s14, s26, 2
	v_mul_lo_u32 v90, s36, v20
	s_sub_co_i32 s26, s37, s3
	s_cmp_ge_u32 s37, s3
	v_mul_lo_u32 v92, s14, v20
	s_cselect_b32 s15, s20, s15
	s_cselect_b32 s20, s26, s37
	s_add_co_i32 s24, s15, 1
	s_cmp_ge_u32 s20, s3
	v_mov_b32_e32 v77, v89
	s_cselect_b32 s3, s24, s15
	s_lshl_b32 s25, s36, 4
	s_lshl_b32 s26, s14, 4
	v_add_nc_u32_e32 v94, s25, v90
	s_xor_b32 s3, s3, s46
	v_dual_ashrrev_i32 v93, 31, v92 :: v_dual_add_nc_u32 v96, s26, v92
	s_sub_co_i32 s3, s3, s46
	v_ashrrev_i32_e32 v91, 31, v90
	s_mul_i32 s20, s3, s41
	s_mul_i32 s24, s3, s27
	v_add_nc_u32_e32 v100, s26, v96
	s_ashr_i32 s37, s36, 31
	s_ashr_i32 s15, s14, 31
	v_dual_add_nc_u32 v18, v88, v19 :: v_dual_add_nc_u32 v98, s25, v94
	s_delay_alu instid0(VALU_DEP_2) | instskip(NEXT) | instid1(VALU_DEP_2)
	v_dual_ashrrev_i32 v95, 31, v94 :: v_dual_add_nc_u32 v104, s26, v100
	v_dual_ashrrev_i32 v97, 31, v96 :: v_dual_lshrrev_b32 v18, s21, v18
	s_delay_alu instid0(VALU_DEP_3) | instskip(SKIP_2) | instid1(VALU_DEP_3)
	v_dual_add_nc_u32 v102, s25, v98 :: v_dual_ashrrev_i32 v99, 31, v98
	v_ashrrev_i32_e32 v101, 31, v100
	s_ashr_i32 s21, s20, 31
	v_mul_lo_u32 v18, v18, s22
	s_delay_alu instid0(VALU_DEP_3) | instskip(SKIP_4) | instid1(VALU_DEP_2)
	v_dual_ashrrev_i32 v105, 31, v104 :: v_dual_ashrrev_i32 v103, 31, v102
	s_ashr_i32 s25, s24, 31
	s_add_nc_u64 s[6:7], s[6:7], s[20:21]
	s_add_nc_u64 s[8:9], s[8:9], s[24:25]
	s_wait_xcnt 0x0
	v_sub_nc_u32_e32 v17, v88, v18
	v_mul_lo_u32 v18, v24, s5
	v_lshlrev_b32_e32 v88, 2, v16
	s_delay_alu instid0(VALU_DEP_3)
	v_mul_lo_u32 v165, v17, s5
	scratch_store_b32 off, v18, off offset:16 ; 4-byte Folded Spill
	s_wait_xcnt 0x0
	v_mul_lo_u32 v18, v26, s5
	scratch_store_b32 off, v18, off offset:20 ; 4-byte Folded Spill
	s_wait_xcnt 0x0
	v_mul_lo_u32 v18, v21, s5
	scratch_store_b32 off, v18, off offset:24 ; 4-byte Folded Spill
.LBB33_9:                               ; =>This Inner Loop Header: Depth=1
	s_ashr_i32 s5, s4, 31
	v_dual_mov_b32 v108, v1 :: v_dual_mov_b32 v118, v0
	s_mul_u64 s[20:21], s[4:5], s[36:37]
	v_dual_mov_b32 v111, v3 :: v_dual_mov_b32 v110, v2
	s_lshl_b64 s[20:21], s[20:21], 2
	v_dual_mov_b32 v106, v5 :: v_dual_mov_b32 v107, v4
	s_add_nc_u64 s[20:21], s[6:7], s[20:21]
	v_dual_mov_b32 v137, 0 :: v_dual_add_nc_u32 v4, 0x900, v157
	v_lshl_add_u64 v[0:1], v[90:91], 2, s[20:21]
	v_dual_mov_b32 v182, v15 :: v_dual_mov_b32 v183, v14
	v_dual_mov_b32 v184, v13 :: v_dual_mov_b32 v185, v12
	s_delay_alu instid0(VALU_DEP_3)
	v_add_nc_u64_e32 v[0:1], v[0:1], v[88:89]
	v_dual_mov_b32 v186, v11 :: v_dual_mov_b32 v187, v10
	v_dual_mov_b32 v188, v9 :: v_dual_mov_b32 v189, v8
	;; [unrolled: 1-line block ×3, first 2 shown]
	global_load_b128 v[0:3], v[0:1], off
	v_dual_mov_b32 v136, 0 :: v_dual_mov_b32 v128, 0
	v_dual_mov_b32 v130, 0 :: v_dual_mov_b32 v122, 0
	;; [unrolled: 1-line block ×14, first 2 shown]
	v_mov_b32_e32 v129, 0
	v_cmp_gt_i32_e32 vcc_lo, 32, v143
	v_dual_mov_b32 v121, 0 :: v_dual_mov_b32 v115, 0
	s_wait_loadcnt 0x0
	ds_store_b128 v157, v[0:3]
	s_wait_xcnt 0x0
	v_lshl_add_u64 v[0:1], v[94:95], 2, s[20:21]
	s_delay_alu instid0(VALU_DEP_1)
	v_add_nc_u64_e32 v[0:1], v[0:1], v[88:89]
	global_load_b128 v[0:3], v[0:1], off
	s_wait_loadcnt 0x0
	ds_store_b128 v4, v[0:3]
	s_wait_xcnt 0x0
	v_lshl_add_u64 v[0:1], v[98:99], 2, s[20:21]
	v_add_nc_u32_e32 v4, 0x1200, v157
	s_delay_alu instid0(VALU_DEP_2)
	v_add_nc_u64_e32 v[0:1], v[0:1], v[88:89]
	global_load_b128 v[0:3], v[0:1], off
	s_wait_loadcnt 0x0
	ds_store_b128 v4, v[0:3]
	s_wait_xcnt 0x0
	v_lshl_add_u64 v[0:1], v[102:103], 2, s[20:21]
	v_add_nc_u32_e32 v4, 0x1b00, v157
	s_mul_u64 s[20:21], s[4:5], s[14:15]
	s_delay_alu instid0(SALU_CYCLE_1) | instskip(NEXT) | instid1(VALU_DEP_2)
	s_lshl_b64 s[20:21], s[20:21], 2
	v_add_nc_u64_e32 v[0:1], v[0:1], v[88:89]
	s_add_nc_u64 s[20:21], s[8:9], s[20:21]
	global_load_b128 v[0:3], v[0:1], off
	s_wait_loadcnt 0x0
	ds_store_b128 v4, v[0:3]
	s_wait_storecnt_dscnt 0x0
	s_barrier_signal -1
	s_barrier_wait -1
	ds_load_b128 v[68:71], v146
	s_wait_xcnt 0x0
	ds_load_b128 v[0:3], v146 offset:4608
	ds_load_b128 v[64:67], v145
	ds_load_b128 v[60:63], v145 offset:128
	ds_load_b128 v[56:59], v145 offset:256
	;; [unrolled: 1-line block ×15, first 2 shown]
	s_wait_dscnt 0xf
	;;#ASMSTART
	v_dot2_f32_f16 v136, v68, v64, v136
	;;#ASMEND
	;;#ASMSTART
	v_dot2_f32_f16 v136, v69, v65, v136
	;;#ASMEND
	;;#ASMSTART
	v_dot2_f32_f16 v136, v70, v66, v136
	;;#ASMEND
	;;#ASMSTART
	v_dot2_f32_f16 v136, v71, v67, v136
	;;#ASMEND
	s_wait_dscnt 0xe
	;;#ASMSTART
	v_dot2_f32_f16 v137, v68, v60, v137
	;;#ASMEND
	;;#ASMSTART
	v_dot2_f32_f16 v137, v69, v61, v137
	;;#ASMEND
	;;#ASMSTART
	v_dot2_f32_f16 v137, v70, v62, v137
	;;#ASMEND
	;;#ASMSTART
	v_dot2_f32_f16 v137, v71, v63, v137
	;;#ASMEND
	;; [unrolled: 13-line block ×16, first 2 shown]
	;;#ASMSTART
	v_dot2_f32_f16 v163, v0, v64, v163
	;;#ASMEND
	;;#ASMSTART
	v_dot2_f32_f16 v163, v1, v65, v163
	;;#ASMEND
	;; [unrolled: 3-line block ×64, first 2 shown]
	ds_load_b128 v[64:67], v146 offset:16
	ds_load_b128 v[0:3], v146 offset:4624
	;; [unrolled: 1-line block ×18, first 2 shown]
	s_wait_dscnt 0xf
	;;#ASMSTART
	v_dot2_f32_f16 v136, v64, v68, v136
	;;#ASMEND
	;;#ASMSTART
	v_dot2_f32_f16 v136, v65, v69, v136
	;;#ASMEND
	;;#ASMSTART
	v_dot2_f32_f16 v136, v66, v70, v136
	;;#ASMEND
	;;#ASMSTART
	v_dot2_f32_f16 v136, v67, v71, v136
	;;#ASMEND
	s_wait_dscnt 0xe
	;;#ASMSTART
	v_dot2_f32_f16 v137, v64, v60, v137
	;;#ASMEND
	;;#ASMSTART
	v_dot2_f32_f16 v137, v65, v61, v137
	;;#ASMEND
	;;#ASMSTART
	v_dot2_f32_f16 v137, v66, v62, v137
	;;#ASMEND
	;;#ASMSTART
	v_dot2_f32_f16 v137, v67, v63, v137
	;;#ASMEND
	;; [unrolled: 13-line block ×16, first 2 shown]
	;;#ASMSTART
	v_dot2_f32_f16 v163, v0, v68, v163
	;;#ASMEND
	;;#ASMSTART
	v_dot2_f32_f16 v163, v1, v69, v163
	;;#ASMEND
	;; [unrolled: 3-line block ×64, first 2 shown]
	ds_load_b128 v[64:67], v146 offset:32
	ds_load_b128 v[0:3], v146 offset:4640
	;; [unrolled: 1-line block ×18, first 2 shown]
	s_wait_dscnt 0xf
	;;#ASMSTART
	v_dot2_f32_f16 v136, v64, v68, v136
	;;#ASMEND
	;;#ASMSTART
	v_dot2_f32_f16 v136, v65, v69, v136
	;;#ASMEND
	;;#ASMSTART
	v_dot2_f32_f16 v136, v66, v70, v136
	;;#ASMEND
	;;#ASMSTART
	v_dot2_f32_f16 v136, v67, v71, v136
	;;#ASMEND
	s_wait_dscnt 0xe
	;;#ASMSTART
	v_dot2_f32_f16 v137, v64, v60, v137
	;;#ASMEND
	;;#ASMSTART
	v_dot2_f32_f16 v137, v65, v61, v137
	;;#ASMEND
	;;#ASMSTART
	v_dot2_f32_f16 v137, v66, v62, v137
	;;#ASMEND
	;;#ASMSTART
	v_dot2_f32_f16 v137, v67, v63, v137
	;;#ASMEND
	;; [unrolled: 13-line block ×16, first 2 shown]
	;;#ASMSTART
	v_dot2_f32_f16 v163, v0, v68, v163
	;;#ASMEND
	;;#ASMSTART
	v_dot2_f32_f16 v163, v1, v69, v163
	;;#ASMEND
	;; [unrolled: 3-line block ×64, first 2 shown]
	ds_load_b128 v[64:67], v146 offset:48
	ds_load_b128 v[0:3], v146 offset:4656
	;; [unrolled: 1-line block ×18, first 2 shown]
	s_wait_dscnt 0xf
	;;#ASMSTART
	v_dot2_f32_f16 v136, v64, v68, v136
	;;#ASMEND
	;;#ASMSTART
	v_dot2_f32_f16 v136, v65, v69, v136
	;;#ASMEND
	;;#ASMSTART
	v_dot2_f32_f16 v136, v66, v70, v136
	;;#ASMEND
	;;#ASMSTART
	v_dot2_f32_f16 v136, v67, v71, v136
	;;#ASMEND
	s_wait_dscnt 0xe
	;;#ASMSTART
	v_dot2_f32_f16 v137, v64, v60, v137
	;;#ASMEND
	;;#ASMSTART
	v_dot2_f32_f16 v137, v65, v61, v137
	;;#ASMEND
	;;#ASMSTART
	v_dot2_f32_f16 v137, v66, v62, v137
	;;#ASMEND
	;;#ASMSTART
	v_dot2_f32_f16 v137, v67, v63, v137
	;;#ASMEND
	;; [unrolled: 13-line block ×16, first 2 shown]
	;;#ASMSTART
	v_dot2_f32_f16 v163, v0, v68, v163
	;;#ASMEND
	;;#ASMSTART
	v_dot2_f32_f16 v163, v1, v69, v163
	;;#ASMEND
	;; [unrolled: 3-line block ×64, first 2 shown]
	ds_load_b128 v[64:67], v146 offset:64
	ds_load_b128 v[0:3], v146 offset:4672
	;; [unrolled: 1-line block ×18, first 2 shown]
	s_wait_dscnt 0xf
	;;#ASMSTART
	v_dot2_f32_f16 v136, v64, v68, v136
	;;#ASMEND
	;;#ASMSTART
	v_dot2_f32_f16 v136, v65, v69, v136
	;;#ASMEND
	;;#ASMSTART
	v_dot2_f32_f16 v136, v66, v70, v136
	;;#ASMEND
	;;#ASMSTART
	v_dot2_f32_f16 v136, v67, v71, v136
	;;#ASMEND
	s_wait_dscnt 0xe
	;;#ASMSTART
	v_dot2_f32_f16 v137, v64, v60, v137
	;;#ASMEND
	;;#ASMSTART
	v_dot2_f32_f16 v137, v65, v61, v137
	;;#ASMEND
	;;#ASMSTART
	v_dot2_f32_f16 v137, v66, v62, v137
	;;#ASMEND
	;;#ASMSTART
	v_dot2_f32_f16 v137, v67, v63, v137
	;;#ASMEND
	;; [unrolled: 13-line block ×16, first 2 shown]
	;;#ASMSTART
	v_dot2_f32_f16 v163, v0, v68, v163
	;;#ASMEND
	;;#ASMSTART
	v_dot2_f32_f16 v163, v1, v69, v163
	;;#ASMEND
	;; [unrolled: 3-line block ×64, first 2 shown]
	ds_load_b128 v[64:67], v146 offset:80
	ds_load_b128 v[0:3], v146 offset:4688
	;; [unrolled: 1-line block ×18, first 2 shown]
	s_wait_dscnt 0xf
	;;#ASMSTART
	v_dot2_f32_f16 v136, v64, v68, v136
	;;#ASMEND
	;;#ASMSTART
	v_dot2_f32_f16 v136, v65, v69, v136
	;;#ASMEND
	;;#ASMSTART
	v_dot2_f32_f16 v136, v66, v70, v136
	;;#ASMEND
	;;#ASMSTART
	v_dot2_f32_f16 v136, v67, v71, v136
	;;#ASMEND
	s_wait_dscnt 0xe
	;;#ASMSTART
	v_dot2_f32_f16 v137, v64, v60, v137
	;;#ASMEND
	;;#ASMSTART
	v_dot2_f32_f16 v137, v65, v61, v137
	;;#ASMEND
	;;#ASMSTART
	v_dot2_f32_f16 v137, v66, v62, v137
	;;#ASMEND
	;;#ASMSTART
	v_dot2_f32_f16 v137, v67, v63, v137
	;;#ASMEND
	;; [unrolled: 13-line block ×16, first 2 shown]
	;;#ASMSTART
	v_dot2_f32_f16 v163, v0, v68, v163
	;;#ASMEND
	;;#ASMSTART
	v_dot2_f32_f16 v163, v1, v69, v163
	;;#ASMEND
	;; [unrolled: 3-line block ×64, first 2 shown]
	ds_load_b128 v[64:67], v146 offset:96
	ds_load_b128 v[0:3], v146 offset:4704
	;; [unrolled: 1-line block ×18, first 2 shown]
	s_wait_dscnt 0xf
	;;#ASMSTART
	v_dot2_f32_f16 v136, v64, v68, v136
	;;#ASMEND
	;;#ASMSTART
	v_dot2_f32_f16 v136, v65, v69, v136
	;;#ASMEND
	;;#ASMSTART
	v_dot2_f32_f16 v136, v66, v70, v136
	;;#ASMEND
	;;#ASMSTART
	v_dot2_f32_f16 v136, v67, v71, v136
	;;#ASMEND
	s_wait_dscnt 0xe
	;;#ASMSTART
	v_dot2_f32_f16 v137, v64, v60, v137
	;;#ASMEND
	;;#ASMSTART
	v_dot2_f32_f16 v137, v65, v61, v137
	;;#ASMEND
	;;#ASMSTART
	v_dot2_f32_f16 v137, v66, v62, v137
	;;#ASMEND
	;;#ASMSTART
	v_dot2_f32_f16 v137, v67, v63, v137
	;;#ASMEND
	s_wait_dscnt 0xd
	;;#ASMSTART
	v_dot2_f32_f16 v128, v64, v56, v128
	;;#ASMEND
	;;#ASMSTART
	v_dot2_f32_f16 v128, v65, v57, v128
	;;#ASMEND
	;;#ASMSTART
	v_dot2_f32_f16 v128, v66, v58, v128
	;;#ASMEND
	;;#ASMSTART
	v_dot2_f32_f16 v128, v67, v59, v128
	;;#ASMEND
	s_wait_dscnt 0xc
	;;#ASMSTART
	v_dot2_f32_f16 v130, v64, v52, v130
	;;#ASMEND
	;;#ASMSTART
	v_dot2_f32_f16 v130, v65, v53, v130
	;;#ASMEND
	;;#ASMSTART
	v_dot2_f32_f16 v130, v66, v54, v130
	;;#ASMEND
	;;#ASMSTART
	v_dot2_f32_f16 v130, v67, v55, v130
	;;#ASMEND
	s_wait_dscnt 0xb
	;;#ASMSTART
	v_dot2_f32_f16 v122, v64, v48, v122
	;;#ASMEND
	;;#ASMSTART
	v_dot2_f32_f16 v122, v65, v49, v122
	;;#ASMEND
	;;#ASMSTART
	v_dot2_f32_f16 v122, v66, v50, v122
	;;#ASMEND
	;;#ASMSTART
	v_dot2_f32_f16 v122, v67, v51, v122
	;;#ASMEND
	s_wait_dscnt 0xa
	;;#ASMSTART
	v_dot2_f32_f16 v121, v64, v44, v121
	;;#ASMEND
	;;#ASMSTART
	v_dot2_f32_f16 v121, v65, v45, v121
	;;#ASMEND
	;;#ASMSTART
	v_dot2_f32_f16 v121, v66, v46, v121
	;;#ASMEND
	;;#ASMSTART
	v_dot2_f32_f16 v121, v67, v47, v121
	;;#ASMEND
	s_wait_dscnt 0x9
	;;#ASMSTART
	v_dot2_f32_f16 v114, v64, v40, v114
	;;#ASMEND
	;;#ASMSTART
	v_dot2_f32_f16 v114, v65, v41, v114
	;;#ASMEND
	;;#ASMSTART
	v_dot2_f32_f16 v114, v66, v42, v114
	;;#ASMEND
	;;#ASMSTART
	v_dot2_f32_f16 v114, v67, v43, v114
	;;#ASMEND
	s_wait_dscnt 0x8
	;;#ASMSTART
	v_dot2_f32_f16 v115, v64, v36, v115
	;;#ASMEND
	;;#ASMSTART
	v_dot2_f32_f16 v115, v65, v37, v115
	;;#ASMEND
	;;#ASMSTART
	v_dot2_f32_f16 v115, v66, v38, v115
	;;#ASMEND
	;;#ASMSTART
	v_dot2_f32_f16 v115, v67, v39, v115
	;;#ASMEND
	s_wait_dscnt 0x7
	;;#ASMSTART
	v_dot2_f32_f16 v124, v64, v32, v124
	;;#ASMEND
	;;#ASMSTART
	v_dot2_f32_f16 v124, v65, v33, v124
	;;#ASMEND
	;;#ASMSTART
	v_dot2_f32_f16 v124, v66, v34, v124
	;;#ASMEND
	;;#ASMSTART
	v_dot2_f32_f16 v124, v67, v35, v124
	;;#ASMEND
	s_wait_dscnt 0x6
	;;#ASMSTART
	v_dot2_f32_f16 v109, v64, v28, v109
	;;#ASMEND
	;;#ASMSTART
	v_dot2_f32_f16 v109, v65, v29, v109
	;;#ASMEND
	;;#ASMSTART
	v_dot2_f32_f16 v109, v66, v30, v109
	;;#ASMEND
	;;#ASMSTART
	v_dot2_f32_f16 v109, v67, v31, v109
	;;#ASMEND
	s_wait_dscnt 0x5
	;;#ASMSTART
	v_dot2_f32_f16 v131, v64, v24, v131
	;;#ASMEND
	;;#ASMSTART
	v_dot2_f32_f16 v131, v65, v25, v131
	;;#ASMEND
	;;#ASMSTART
	v_dot2_f32_f16 v131, v66, v26, v131
	;;#ASMEND
	;;#ASMSTART
	v_dot2_f32_f16 v131, v67, v27, v131
	;;#ASMEND
	s_wait_dscnt 0x4
	;;#ASMSTART
	v_dot2_f32_f16 v133, v64, v20, v133
	;;#ASMEND
	;;#ASMSTART
	v_dot2_f32_f16 v133, v65, v21, v133
	;;#ASMEND
	;;#ASMSTART
	v_dot2_f32_f16 v133, v66, v22, v133
	;;#ASMEND
	;;#ASMSTART
	v_dot2_f32_f16 v133, v67, v23, v133
	;;#ASMEND
	s_wait_dscnt 0x3
	;;#ASMSTART
	v_dot2_f32_f16 v120, v64, v16, v120
	;;#ASMEND
	;;#ASMSTART
	v_dot2_f32_f16 v120, v65, v17, v120
	;;#ASMEND
	;;#ASMSTART
	v_dot2_f32_f16 v120, v66, v18, v120
	;;#ASMEND
	;;#ASMSTART
	v_dot2_f32_f16 v120, v67, v19, v120
	;;#ASMEND
	s_wait_dscnt 0x2
	;;#ASMSTART
	v_dot2_f32_f16 v126, v64, v12, v126
	;;#ASMEND
	;;#ASMSTART
	v_dot2_f32_f16 v126, v65, v13, v126
	;;#ASMEND
	;;#ASMSTART
	v_dot2_f32_f16 v126, v66, v14, v126
	;;#ASMEND
	;;#ASMSTART
	v_dot2_f32_f16 v126, v67, v15, v126
	;;#ASMEND
	s_wait_dscnt 0x1
	;;#ASMSTART
	v_dot2_f32_f16 v112, v64, v8, v112
	;;#ASMEND
	;;#ASMSTART
	v_dot2_f32_f16 v112, v65, v9, v112
	;;#ASMEND
	;;#ASMSTART
	v_dot2_f32_f16 v112, v66, v10, v112
	;;#ASMEND
	;;#ASMSTART
	v_dot2_f32_f16 v112, v67, v11, v112
	;;#ASMEND
	s_wait_dscnt 0x0
	;;#ASMSTART
	v_dot2_f32_f16 v117, v64, v4, v117
	;;#ASMEND
	;;#ASMSTART
	v_dot2_f32_f16 v117, v65, v5, v117
	;;#ASMEND
	;;#ASMSTART
	v_dot2_f32_f16 v117, v66, v6, v117
	;;#ASMEND
	;;#ASMSTART
	v_dot2_f32_f16 v117, v67, v7, v117
	;;#ASMEND
	;;#ASMSTART
	v_dot2_f32_f16 v163, v0, v68, v163
	;;#ASMEND
	;;#ASMSTART
	v_dot2_f32_f16 v163, v1, v69, v163
	;;#ASMEND
	;; [unrolled: 3-line block ×64, first 2 shown]
	ds_load_b128 v[8:11], v146 offset:112
	ds_load_b128 v[0:3], v146 offset:4720
	;; [unrolled: 1-line block ×18, first 2 shown]
	s_wait_dscnt 0xf
	;;#ASMSTART
	v_dot2_f32_f16 v136, v8, v20, v136
	;;#ASMEND
	;;#ASMSTART
	v_dot2_f32_f16 v136, v9, v21, v136
	;;#ASMEND
	;;#ASMSTART
	v_dot2_f32_f16 v136, v10, v22, v136
	;;#ASMEND
	;;#ASMSTART
	v_dot2_f32_f16 v136, v11, v23, v136
	;;#ASMEND
	s_wait_dscnt 0xe
	;;#ASMSTART
	v_dot2_f32_f16 v137, v8, v4, v137
	;;#ASMEND
	;;#ASMSTART
	v_dot2_f32_f16 v137, v9, v5, v137
	;;#ASMEND
	;;#ASMSTART
	v_dot2_f32_f16 v137, v10, v6, v137
	;;#ASMEND
	;;#ASMSTART
	v_dot2_f32_f16 v137, v11, v7, v137
	;;#ASMEND
	;; [unrolled: 13-line block ×16, first 2 shown]
	;;#ASMSTART
	v_dot2_f32_f16 v163, v0, v20, v163
	;;#ASMEND
	;;#ASMSTART
	v_dot2_f32_f16 v163, v1, v21, v163
	;;#ASMEND
	;; [unrolled: 3-line block ×61, first 2 shown]
	v_cndmask_b32_e32 v0, v142, v143, vcc_lo
	v_cmp_gt_i32_e32 vcc_lo, 32, v141
	;;#ASMSTART
	v_dot2_f32_f16 v129, v1, v69, v129
	;;#ASMEND
	;;#ASMSTART
	v_dot2_f32_f16 v129, v2, v70, v129
	;;#ASMEND
	;;#ASMSTART
	v_dot2_f32_f16 v129, v3, v71, v129
	;;#ASMEND
	v_dual_cndmask_b32 v0, v142, v141 :: v_dual_lshlrev_b32 v27, 2, v0
	v_cmp_gt_i32_e32 vcc_lo, 32, v139
	s_delay_alu instid0(VALU_DEP_2) | instskip(SKIP_2) | instid1(VALU_DEP_2)
	v_dual_add_nc_u32 v14, s4, v123 :: v_dual_lshlrev_b32 v26, 2, v0
	v_cndmask_b32_e32 v0, v142, v139, vcc_lo
	v_cmp_gt_i32_e32 vcc_lo, 32, v140
	v_lshlrev_b32_e32 v21, 2, v0
	v_cndmask_b32_e32 v0, v142, v140, vcc_lo
	v_cmp_gt_i32_e32 vcc_lo, 32, v138
	s_delay_alu instid0(VALU_DEP_2) | instskip(NEXT) | instid1(VALU_DEP_1)
	v_dual_lshlrev_b32 v20, 2, v0 :: v_dual_cndmask_b32 v0, v142, v138, vcc_lo
	v_lshlrev_b32_e32 v15, 2, v0
	scratch_load_b32 v0, off, off           ; 4-byte Folded Reload
	s_wait_loadcnt 0x0
	v_add_nc_u32_e32 v0, v14, v0
	s_clause 0x1
	global_load_u16 v1, v0, s[34:35] scale_offset
	global_load_u16 v0, v0, s[34:35] offset:64 scale_offset
	s_wait_loadcnt 0x1
	v_cvt_f32_f16_e32 v1, v1
	s_wait_loadcnt 0x0
	v_cvt_f32_f16_e32 v3, v0
	s_delay_alu instid0(VALU_DEP_1) | instskip(SKIP_1) | instid1(VALU_DEP_2)
	v_dual_add_f32 v16, v136, v1 :: v_dual_add_f32 v18, v163, v3
	v_dual_add_f32 v17, v137, v1 :: v_dual_add_f32 v19, v164, v3
	v_add_f32_e32 v2, 0x40051340, v16
	s_delay_alu instid0(VALU_DEP_2) | instskip(NEXT) | instid1(VALU_DEP_1)
	v_dual_add_f32 v0, 0x40051340, v18 :: v_dual_add_f32 v1, 0x40051340, v17
	v_max3_num_f32 v0, v118, v2, v0
	ds_bpermute_b32 v2, v27, v0
	s_wait_dscnt 0x0
	v_max_num_f32_e32 v2, v2, v2
	s_delay_alu instid0(VALU_DEP_1) | instskip(SKIP_3) | instid1(VALU_DEP_1)
	v_max_num_f32_e32 v0, v0, v2
	ds_bpermute_b32 v2, v26, v0
	s_wait_dscnt 0x0
	v_max_num_f32_e32 v2, v2, v2
	v_max_num_f32_e32 v0, v0, v2
	ds_bpermute_b32 v2, v21, v0
	s_wait_dscnt 0x0
	v_max_num_f32_e32 v2, v2, v2
	s_delay_alu instid0(VALU_DEP_1) | instskip(SKIP_3) | instid1(VALU_DEP_1)
	v_max_num_f32_e32 v0, v0, v2
	ds_bpermute_b32 v2, v20, v0
	s_wait_dscnt 0x0
	v_max_num_f32_e32 v2, v2, v2
	v_max_num_f32_e32 v0, v0, v2
	ds_bpermute_b32 v2, v15, v0
	s_wait_dscnt 0x0
	v_max_num_f32_e32 v2, v2, v2
	s_delay_alu instid0(VALU_DEP_1) | instskip(SKIP_1) | instid1(VALU_DEP_1)
	v_max_num_f32_e32 v0, v0, v2
	v_add_f32_e32 v2, 0x40051340, v19
	v_max3_num_f32 v1, v108, v1, v2
	ds_bpermute_b32 v2, v27, v1
	s_wait_dscnt 0x0
	v_dual_max_num_f32 v2, v2, v2 :: v_dual_sub_f32 v16, v16, v0
	s_delay_alu instid0(VALU_DEP_1) | instskip(NEXT) | instid1(VALU_DEP_2)
	v_dual_sub_f32 v18, v18, v0 :: v_dual_max_num_f32 v1, v1, v2
	v_cmp_ngt_f32_e32 vcc_lo, 0xc2ce8ed0, v16
	ds_bpermute_b32 v2, v26, v1
	s_wait_dscnt 0x0
	v_max_num_f32_e32 v2, v2, v2
	s_delay_alu instid0(VALU_DEP_1) | instskip(SKIP_3) | instid1(VALU_DEP_1)
	v_max_num_f32_e32 v1, v1, v2
	ds_bpermute_b32 v2, v21, v1
	s_wait_dscnt 0x0
	v_max_num_f32_e32 v2, v2, v2
	v_max_num_f32_e32 v1, v1, v2
	ds_bpermute_b32 v2, v20, v1
	s_wait_dscnt 0x0
	v_max_num_f32_e32 v2, v2, v2
	s_delay_alu instid0(VALU_DEP_1) | instskip(SKIP_3) | instid1(VALU_DEP_1)
	v_max_num_f32_e32 v1, v1, v2
	ds_bpermute_b32 v2, v15, v1
	s_wait_dscnt 0x0
	v_max_num_f32_e32 v2, v2, v2
	v_max_num_f32_e32 v1, v1, v2
	scratch_load_b32 v2, off, off offset:4  ; 4-byte Folded Reload
	s_wait_loadcnt 0x0
	v_dual_sub_f32 v17, v17, v1 :: v_dual_add_nc_u32 v2, v14, v2
	v_sub_f32_e32 v19, v19, v1
	s_clause 0x1
	global_load_u16 v3, v2, s[34:35] scale_offset
	global_load_u16 v2, v2, s[34:35] offset:64 scale_offset
	s_wait_loadcnt 0x1
	v_cvt_f32_f16_e32 v3, v3
	s_wait_loadcnt 0x0
	v_cvt_f32_f16_e32 v5, v2
	s_delay_alu instid0(VALU_DEP_1) | instskip(SKIP_1) | instid1(VALU_DEP_2)
	v_dual_add_f32 v22, v128, v3 :: v_dual_add_f32 v24, v161, v5
	v_add_f32_e32 v23, v130, v3
	v_dual_add_f32 v25, v162, v5 :: v_dual_add_f32 v4, 0x40051340, v22
	s_delay_alu instid0(VALU_DEP_2) | instskip(NEXT) | instid1(VALU_DEP_1)
	v_dual_add_f32 v2, 0x40051340, v24 :: v_dual_add_f32 v3, 0x40051340, v23
	v_max3_num_f32 v2, v110, v4, v2
	ds_bpermute_b32 v4, v27, v2
	s_wait_dscnt 0x0
	v_max_num_f32_e32 v4, v4, v4
	s_delay_alu instid0(VALU_DEP_1) | instskip(SKIP_3) | instid1(VALU_DEP_1)
	v_max_num_f32_e32 v2, v2, v4
	ds_bpermute_b32 v4, v26, v2
	s_wait_dscnt 0x0
	v_max_num_f32_e32 v4, v4, v4
	v_max_num_f32_e32 v2, v2, v4
	ds_bpermute_b32 v4, v21, v2
	s_wait_dscnt 0x0
	v_max_num_f32_e32 v4, v4, v4
	s_delay_alu instid0(VALU_DEP_1) | instskip(SKIP_3) | instid1(VALU_DEP_1)
	v_max_num_f32_e32 v2, v2, v4
	ds_bpermute_b32 v4, v20, v2
	s_wait_dscnt 0x0
	v_max_num_f32_e32 v4, v4, v4
	v_max_num_f32_e32 v2, v2, v4
	ds_bpermute_b32 v4, v15, v2
	s_wait_dscnt 0x0
	v_max_num_f32_e32 v4, v4, v4
	s_delay_alu instid0(VALU_DEP_1) | instskip(SKIP_1) | instid1(VALU_DEP_1)
	v_max_num_f32_e32 v2, v2, v4
	v_add_f32_e32 v4, 0x40051340, v25
	v_max3_num_f32 v3, v111, v3, v4
	ds_bpermute_b32 v4, v27, v3
	s_wait_dscnt 0x0
	v_dual_max_num_f32 v4, v4, v4 :: v_dual_sub_f32 v22, v22, v2
	s_delay_alu instid0(VALU_DEP_1) | instskip(SKIP_3) | instid1(VALU_DEP_1)
	v_dual_sub_f32 v24, v24, v2 :: v_dual_max_num_f32 v3, v3, v4
	ds_bpermute_b32 v4, v26, v3
	s_wait_dscnt 0x0
	v_max_num_f32_e32 v4, v4, v4
	v_max_num_f32_e32 v3, v3, v4
	ds_bpermute_b32 v4, v21, v3
	s_wait_dscnt 0x0
	v_max_num_f32_e32 v4, v4, v4
	s_delay_alu instid0(VALU_DEP_1) | instskip(SKIP_3) | instid1(VALU_DEP_1)
	v_max_num_f32_e32 v3, v3, v4
	ds_bpermute_b32 v4, v20, v3
	s_wait_dscnt 0x0
	v_max_num_f32_e32 v4, v4, v4
	v_max_num_f32_e32 v3, v3, v4
	ds_bpermute_b32 v4, v15, v3
	s_wait_dscnt 0x0
	v_max_num_f32_e32 v4, v4, v4
	s_delay_alu instid0(VALU_DEP_1)
	v_max_num_f32_e32 v3, v3, v4
	scratch_load_b32 v4, off, off offset:8  ; 4-byte Folded Reload
	s_wait_loadcnt 0x0
	v_dual_sub_f32 v23, v23, v3 :: v_dual_add_nc_u32 v4, v14, v4
	v_sub_f32_e32 v25, v25, v3
	s_clause 0x1
	global_load_u16 v5, v4, s[34:35] scale_offset
	global_load_u16 v4, v4, s[34:35] offset:64 scale_offset
	s_wait_loadcnt 0x1
	v_cvt_f32_f16_e32 v5, v5
	s_wait_loadcnt 0x0
	v_cvt_f32_f16_e32 v7, v4
	s_delay_alu instid0(VALU_DEP_1) | instskip(SKIP_1) | instid1(VALU_DEP_2)
	v_dual_add_f32 v28, v122, v5 :: v_dual_add_f32 v30, v159, v7
	v_dual_add_f32 v29, v121, v5 :: v_dual_add_f32 v31, v160, v7
	v_add_f32_e32 v6, 0x40051340, v28
	s_delay_alu instid0(VALU_DEP_2) | instskip(NEXT) | instid1(VALU_DEP_1)
	v_dual_add_f32 v4, 0x40051340, v30 :: v_dual_add_f32 v5, 0x40051340, v29
	v_max3_num_f32 v4, v107, v6, v4
	ds_bpermute_b32 v6, v27, v4
	s_wait_dscnt 0x0
	v_max_num_f32_e32 v6, v6, v6
	s_delay_alu instid0(VALU_DEP_1) | instskip(SKIP_3) | instid1(VALU_DEP_1)
	v_max_num_f32_e32 v4, v4, v6
	ds_bpermute_b32 v6, v26, v4
	s_wait_dscnt 0x0
	v_max_num_f32_e32 v6, v6, v6
	v_max_num_f32_e32 v4, v4, v6
	ds_bpermute_b32 v6, v21, v4
	s_wait_dscnt 0x0
	v_max_num_f32_e32 v6, v6, v6
	s_delay_alu instid0(VALU_DEP_1) | instskip(SKIP_3) | instid1(VALU_DEP_1)
	v_max_num_f32_e32 v4, v4, v6
	ds_bpermute_b32 v6, v20, v4
	s_wait_dscnt 0x0
	v_max_num_f32_e32 v6, v6, v6
	v_max_num_f32_e32 v4, v4, v6
	ds_bpermute_b32 v6, v15, v4
	s_wait_dscnt 0x0
	v_max_num_f32_e32 v6, v6, v6
	s_delay_alu instid0(VALU_DEP_1) | instskip(SKIP_1) | instid1(VALU_DEP_1)
	v_max_num_f32_e32 v4, v4, v6
	v_add_f32_e32 v6, 0x40051340, v31
	v_max3_num_f32 v5, v106, v5, v6
	ds_bpermute_b32 v6, v27, v5
	s_wait_dscnt 0x0
	v_dual_max_num_f32 v6, v6, v6 :: v_dual_sub_f32 v28, v28, v4
	s_delay_alu instid0(VALU_DEP_1) | instskip(SKIP_3) | instid1(VALU_DEP_1)
	v_dual_sub_f32 v30, v30, v4 :: v_dual_max_num_f32 v5, v5, v6
	ds_bpermute_b32 v6, v26, v5
	s_wait_dscnt 0x0
	v_max_num_f32_e32 v6, v6, v6
	v_max_num_f32_e32 v5, v5, v6
	ds_bpermute_b32 v6, v21, v5
	s_wait_dscnt 0x0
	v_max_num_f32_e32 v6, v6, v6
	s_delay_alu instid0(VALU_DEP_1) | instskip(SKIP_3) | instid1(VALU_DEP_1)
	v_max_num_f32_e32 v5, v5, v6
	ds_bpermute_b32 v6, v20, v5
	s_wait_dscnt 0x0
	v_max_num_f32_e32 v6, v6, v6
	v_max_num_f32_e32 v5, v5, v6
	ds_bpermute_b32 v6, v15, v5
	s_wait_dscnt 0x0
	v_max_num_f32_e32 v6, v6, v6
	s_delay_alu instid0(VALU_DEP_1)
	v_max_num_f32_e32 v5, v5, v6
	scratch_load_b32 v6, off, off offset:12 ; 4-byte Folded Reload
	s_wait_loadcnt 0x0
	v_dual_sub_f32 v29, v29, v5 :: v_dual_add_nc_u32 v6, v14, v6
	v_sub_f32_e32 v31, v31, v5
	s_clause 0x1
	global_load_u16 v7, v6, s[34:35] scale_offset
	global_load_u16 v6, v6, s[34:35] offset:64 scale_offset
	s_wait_loadcnt 0x1
	v_cvt_f32_f16_e32 v7, v7
	s_wait_loadcnt 0x0
	v_cvt_f32_f16_e32 v9, v6
	s_delay_alu instid0(VALU_DEP_1) | instskip(SKIP_1) | instid1(VALU_DEP_2)
	v_dual_add_f32 v34, v114, v7 :: v_dual_add_f32 v36, v127, v9
	v_dual_add_f32 v35, v115, v7 :: v_dual_add_f32 v37, v148, v9
	v_add_f32_e32 v8, 0x40051340, v34
	s_delay_alu instid0(VALU_DEP_2) | instskip(NEXT) | instid1(VALU_DEP_1)
	v_dual_add_f32 v6, 0x40051340, v36 :: v_dual_add_f32 v7, 0x40051340, v35
	v_max3_num_f32 v6, v191, v8, v6
	ds_bpermute_b32 v8, v27, v6
	s_wait_dscnt 0x0
	v_max_num_f32_e32 v8, v8, v8
	s_delay_alu instid0(VALU_DEP_1) | instskip(SKIP_3) | instid1(VALU_DEP_1)
	v_max_num_f32_e32 v6, v6, v8
	ds_bpermute_b32 v8, v26, v6
	s_wait_dscnt 0x0
	v_max_num_f32_e32 v8, v8, v8
	v_max_num_f32_e32 v6, v6, v8
	ds_bpermute_b32 v8, v21, v6
	s_wait_dscnt 0x0
	v_max_num_f32_e32 v8, v8, v8
	s_delay_alu instid0(VALU_DEP_1) | instskip(SKIP_3) | instid1(VALU_DEP_1)
	v_max_num_f32_e32 v6, v6, v8
	ds_bpermute_b32 v8, v20, v6
	s_wait_dscnt 0x0
	v_max_num_f32_e32 v8, v8, v8
	v_max_num_f32_e32 v6, v6, v8
	ds_bpermute_b32 v8, v15, v6
	s_wait_dscnt 0x0
	v_max_num_f32_e32 v8, v8, v8
	s_delay_alu instid0(VALU_DEP_1) | instskip(SKIP_1) | instid1(VALU_DEP_1)
	v_max_num_f32_e32 v6, v6, v8
	v_add_f32_e32 v8, 0x40051340, v37
	v_max3_num_f32 v7, v190, v7, v8
	ds_bpermute_b32 v8, v27, v7
	s_wait_dscnt 0x0
	v_dual_max_num_f32 v8, v8, v8 :: v_dual_sub_f32 v34, v34, v6
	s_delay_alu instid0(VALU_DEP_1) | instskip(SKIP_3) | instid1(VALU_DEP_1)
	v_dual_sub_f32 v36, v36, v6 :: v_dual_max_num_f32 v7, v7, v8
	ds_bpermute_b32 v8, v26, v7
	s_wait_dscnt 0x0
	v_max_num_f32_e32 v8, v8, v8
	v_max_num_f32_e32 v7, v7, v8
	ds_bpermute_b32 v8, v21, v7
	s_wait_dscnt 0x0
	v_max_num_f32_e32 v8, v8, v8
	s_delay_alu instid0(VALU_DEP_1) | instskip(SKIP_3) | instid1(VALU_DEP_1)
	v_max_num_f32_e32 v7, v7, v8
	ds_bpermute_b32 v8, v20, v7
	s_wait_dscnt 0x0
	v_max_num_f32_e32 v8, v8, v8
	v_max_num_f32_e32 v7, v7, v8
	ds_bpermute_b32 v8, v15, v7
	s_wait_dscnt 0x0
	v_max_num_f32_e32 v8, v8, v8
	s_delay_alu instid0(VALU_DEP_1)
	v_max_num_f32_e32 v7, v7, v8
	scratch_load_b32 v8, off, off offset:16 ; 4-byte Folded Reload
	s_wait_loadcnt 0x0
	v_dual_sub_f32 v35, v35, v7 :: v_dual_add_nc_u32 v8, v14, v8
	v_sub_f32_e32 v37, v37, v7
	s_clause 0x1
	global_load_u16 v9, v8, s[34:35] scale_offset
	global_load_u16 v8, v8, s[34:35] offset:64 scale_offset
	s_wait_loadcnt 0x1
	v_cvt_f32_f16_e32 v9, v9
	s_wait_loadcnt 0x0
	v_cvt_f32_f16_e32 v11, v8
	s_delay_alu instid0(VALU_DEP_2) | instskip(NEXT) | instid1(VALU_DEP_2)
	v_add_f32_e32 v40, v124, v9
	v_dual_add_f32 v42, v132, v11 :: v_dual_add_f32 v41, v109, v9
	s_delay_alu instid0(VALU_DEP_2) | instskip(NEXT) | instid1(VALU_DEP_2)
	v_dual_add_f32 v43, v134, v11 :: v_dual_add_f32 v10, 0x40051340, v40
	v_dual_add_f32 v8, 0x40051340, v42 :: v_dual_add_f32 v9, 0x40051340, v41
	s_delay_alu instid0(VALU_DEP_1) | instskip(SKIP_3) | instid1(VALU_DEP_1)
	v_max3_num_f32 v8, v189, v10, v8
	ds_bpermute_b32 v10, v27, v8
	s_wait_dscnt 0x0
	v_max_num_f32_e32 v10, v10, v10
	v_max_num_f32_e32 v8, v8, v10
	ds_bpermute_b32 v10, v26, v8
	s_wait_dscnt 0x0
	v_max_num_f32_e32 v10, v10, v10
	s_delay_alu instid0(VALU_DEP_1) | instskip(SKIP_3) | instid1(VALU_DEP_1)
	v_max_num_f32_e32 v8, v8, v10
	ds_bpermute_b32 v10, v21, v8
	s_wait_dscnt 0x0
	v_max_num_f32_e32 v10, v10, v10
	v_max_num_f32_e32 v8, v8, v10
	ds_bpermute_b32 v10, v20, v8
	s_wait_dscnt 0x0
	v_max_num_f32_e32 v10, v10, v10
	s_delay_alu instid0(VALU_DEP_1) | instskip(SKIP_3) | instid1(VALU_DEP_1)
	v_max_num_f32_e32 v8, v8, v10
	ds_bpermute_b32 v10, v15, v8
	s_wait_dscnt 0x0
	v_max_num_f32_e32 v10, v10, v10
	v_max_num_f32_e32 v8, v8, v10
	v_add_f32_e32 v10, 0x40051340, v43
	s_delay_alu instid0(VALU_DEP_1) | instskip(SKIP_3) | instid1(VALU_DEP_1)
	v_max3_num_f32 v9, v188, v9, v10
	ds_bpermute_b32 v10, v27, v9
	s_wait_dscnt 0x0
	v_max_num_f32_e32 v10, v10, v10
	v_dual_max_num_f32 v9, v9, v10 :: v_dual_sub_f32 v40, v40, v8
	v_sub_f32_e32 v42, v42, v8
	ds_bpermute_b32 v10, v26, v9
	s_wait_dscnt 0x0
	v_max_num_f32_e32 v10, v10, v10
	s_delay_alu instid0(VALU_DEP_1) | instskip(SKIP_3) | instid1(VALU_DEP_1)
	v_max_num_f32_e32 v9, v9, v10
	ds_bpermute_b32 v10, v21, v9
	s_wait_dscnt 0x0
	v_max_num_f32_e32 v10, v10, v10
	v_max_num_f32_e32 v9, v9, v10
	ds_bpermute_b32 v10, v20, v9
	s_wait_dscnt 0x0
	v_max_num_f32_e32 v10, v10, v10
	s_delay_alu instid0(VALU_DEP_1) | instskip(SKIP_3) | instid1(VALU_DEP_1)
	v_max_num_f32_e32 v9, v9, v10
	ds_bpermute_b32 v10, v15, v9
	s_wait_dscnt 0x0
	v_max_num_f32_e32 v10, v10, v10
	v_max_num_f32_e32 v9, v9, v10
	scratch_load_b32 v10, off, off offset:20 ; 4-byte Folded Reload
	s_wait_loadcnt 0x0
	v_dual_sub_f32 v41, v41, v9 :: v_dual_add_nc_u32 v10, v14, v10
	v_sub_f32_e32 v43, v43, v9
	s_clause 0x1
	global_load_u16 v11, v10, s[34:35] scale_offset
	global_load_u16 v10, v10, s[34:35] offset:64 scale_offset
	s_wait_loadcnt 0x1
	v_cvt_f32_f16_e32 v11, v11
	s_wait_loadcnt 0x0
	v_cvt_f32_f16_e32 v13, v10
	s_delay_alu instid0(VALU_DEP_2) | instskip(NEXT) | instid1(VALU_DEP_2)
	v_add_f32_e32 v46, v131, v11
	v_dual_add_f32 v48, v119, v13 :: v_dual_add_f32 v47, v133, v11
	s_delay_alu instid0(VALU_DEP_2) | instskip(NEXT) | instid1(VALU_DEP_2)
	v_dual_add_f32 v49, v125, v13 :: v_dual_add_f32 v12, 0x40051340, v46
	v_dual_add_f32 v10, 0x40051340, v48 :: v_dual_add_f32 v11, 0x40051340, v47
	s_delay_alu instid0(VALU_DEP_1) | instskip(SKIP_3) | instid1(VALU_DEP_1)
	v_max3_num_f32 v10, v187, v12, v10
	ds_bpermute_b32 v12, v27, v10
	s_wait_dscnt 0x0
	v_max_num_f32_e32 v12, v12, v12
	v_max_num_f32_e32 v10, v10, v12
	ds_bpermute_b32 v12, v26, v10
	s_wait_dscnt 0x0
	v_max_num_f32_e32 v12, v12, v12
	s_delay_alu instid0(VALU_DEP_1) | instskip(SKIP_3) | instid1(VALU_DEP_1)
	v_max_num_f32_e32 v10, v10, v12
	ds_bpermute_b32 v12, v21, v10
	s_wait_dscnt 0x0
	v_max_num_f32_e32 v12, v12, v12
	v_max_num_f32_e32 v10, v10, v12
	ds_bpermute_b32 v12, v20, v10
	s_wait_dscnt 0x0
	v_max_num_f32_e32 v12, v12, v12
	s_delay_alu instid0(VALU_DEP_1) | instskip(SKIP_3) | instid1(VALU_DEP_1)
	v_max_num_f32_e32 v10, v10, v12
	ds_bpermute_b32 v12, v15, v10
	s_wait_dscnt 0x0
	v_max_num_f32_e32 v12, v12, v12
	v_max_num_f32_e32 v10, v10, v12
	v_add_f32_e32 v12, 0x40051340, v49
	s_delay_alu instid0(VALU_DEP_1) | instskip(SKIP_3) | instid1(VALU_DEP_1)
	v_max3_num_f32 v11, v186, v11, v12
	ds_bpermute_b32 v12, v27, v11
	s_wait_dscnt 0x0
	v_dual_max_num_f32 v12, v12, v12 :: v_dual_sub_f32 v46, v46, v10
	v_dual_sub_f32 v48, v48, v10 :: v_dual_max_num_f32 v11, v11, v12
	ds_bpermute_b32 v12, v26, v11
	s_wait_dscnt 0x0
	v_max_num_f32_e32 v12, v12, v12
	s_delay_alu instid0(VALU_DEP_1) | instskip(SKIP_3) | instid1(VALU_DEP_1)
	v_max_num_f32_e32 v11, v11, v12
	ds_bpermute_b32 v12, v21, v11
	s_wait_dscnt 0x0
	v_max_num_f32_e32 v12, v12, v12
	v_max_num_f32_e32 v11, v11, v12
	ds_bpermute_b32 v12, v20, v11
	s_wait_dscnt 0x0
	v_max_num_f32_e32 v12, v12, v12
	s_delay_alu instid0(VALU_DEP_1) | instskip(SKIP_3) | instid1(VALU_DEP_1)
	v_max_num_f32_e32 v11, v11, v12
	ds_bpermute_b32 v12, v15, v11
	s_wait_dscnt 0x0
	v_max_num_f32_e32 v12, v12, v12
	v_max_num_f32_e32 v11, v11, v12
	scratch_load_b32 v12, off, off offset:24 ; 4-byte Folded Reload
	s_wait_loadcnt 0x0
	v_dual_add_nc_u32 v12, v14, v12 :: v_dual_add_nc_u32 v14, v14, v165
	v_dual_sub_f32 v47, v47, v11 :: v_dual_sub_f32 v49, v49, v11
	s_clause 0x1
	global_load_u16 v13, v12, s[34:35] scale_offset
	global_load_u16 v12, v12, s[34:35] offset:64 scale_offset
	s_wait_loadcnt 0x1
	v_cvt_f32_f16_e32 v13, v13
	s_wait_loadcnt 0x0
	v_cvt_f32_f16_e32 v33, v12
	s_delay_alu instid0(VALU_DEP_2) | instskip(NEXT) | instid1(VALU_DEP_2)
	v_dual_add_f32 v52, v120, v13 :: v_dual_add_f32 v53, v126, v13
	v_dual_add_f32 v54, v113, v33 :: v_dual_add_f32 v55, v116, v33
	s_delay_alu instid0(VALU_DEP_2) | instskip(NEXT) | instid1(VALU_DEP_2)
	v_dual_add_f32 v32, 0x40051340, v52 :: v_dual_add_f32 v13, 0x40051340, v53
	v_add_f32_e32 v12, 0x40051340, v54
	s_delay_alu instid0(VALU_DEP_1) | instskip(SKIP_3) | instid1(VALU_DEP_1)
	v_max3_num_f32 v12, v185, v32, v12
	ds_bpermute_b32 v32, v27, v12
	s_wait_dscnt 0x0
	v_max_num_f32_e32 v32, v32, v32
	v_max_num_f32_e32 v12, v12, v32
	ds_bpermute_b32 v32, v26, v12
	s_wait_dscnt 0x0
	v_max_num_f32_e32 v32, v32, v32
	s_delay_alu instid0(VALU_DEP_1) | instskip(SKIP_3) | instid1(VALU_DEP_1)
	v_max_num_f32_e32 v12, v12, v32
	ds_bpermute_b32 v32, v21, v12
	s_wait_dscnt 0x0
	v_max_num_f32_e32 v32, v32, v32
	v_max_num_f32_e32 v12, v12, v32
	ds_bpermute_b32 v32, v20, v12
	s_wait_dscnt 0x0
	v_max_num_f32_e32 v32, v32, v32
	s_delay_alu instid0(VALU_DEP_1) | instskip(SKIP_3) | instid1(VALU_DEP_1)
	v_max_num_f32_e32 v12, v12, v32
	ds_bpermute_b32 v32, v15, v12
	s_wait_dscnt 0x0
	v_max_num_f32_e32 v32, v32, v32
	v_max_num_f32_e32 v12, v12, v32
	v_add_f32_e32 v32, 0x40051340, v55
	s_delay_alu instid0(VALU_DEP_1) | instskip(SKIP_3) | instid1(VALU_DEP_1)
	v_max3_num_f32 v13, v184, v13, v32
	ds_bpermute_b32 v32, v27, v13
	s_wait_dscnt 0x0
	v_max_num_f32_e32 v32, v32, v32
	v_max_num_f32_e32 v13, v13, v32
	ds_bpermute_b32 v32, v26, v13
	s_wait_dscnt 0x0
	v_max_num_f32_e32 v32, v32, v32
	s_delay_alu instid0(VALU_DEP_1) | instskip(SKIP_3) | instid1(VALU_DEP_1)
	v_max_num_f32_e32 v13, v13, v32
	ds_bpermute_b32 v32, v21, v13
	s_wait_dscnt 0x0
	v_max_num_f32_e32 v32, v32, v32
	v_max_num_f32_e32 v13, v13, v32
	ds_bpermute_b32 v32, v20, v13
	s_wait_dscnt 0x0
	v_max_num_f32_e32 v32, v32, v32
	s_delay_alu instid0(VALU_DEP_1) | instskip(SKIP_3) | instid1(VALU_DEP_1)
	v_max_num_f32_e32 v13, v13, v32
	ds_bpermute_b32 v32, v15, v13
	s_wait_dscnt 0x0
	v_max_num_f32_e32 v32, v32, v32
	v_max_num_f32_e32 v13, v13, v32
	s_clause 0x1
	global_load_u16 v32, v14, s[34:35] scale_offset
	global_load_u16 v14, v14, s[34:35] offset:64 scale_offset
	s_wait_loadcnt 0x0
	s_barrier_signal -1
	s_barrier_wait -1
	v_dual_sub_f32 v53, v53, v13 :: v_dual_sub_f32 v55, v55, v13
	v_cvt_f32_f16_e32 v32, v32
	v_cvt_f32_f16_e32 v38, v14
	s_delay_alu instid0(VALU_DEP_1) | instskip(SKIP_3) | instid1(VALU_DEP_3)
	v_dual_add_f32 v58, v112, v32 :: v_dual_add_f32 v60, v135, v38
	v_add_f32_e32 v61, v129, v38
	v_add_f32_e32 v59, v117, v32
	s_wait_xcnt 0x0
	v_dual_add_f32 v33, 0x40051340, v58 :: v_dual_add_f32 v14, 0x40051340, v60
	s_delay_alu instid0(VALU_DEP_2) | instskip(NEXT) | instid1(VALU_DEP_2)
	v_add_f32_e32 v32, 0x40051340, v59
	v_max3_num_f32 v14, v183, v33, v14
	ds_bpermute_b32 v33, v27, v14
	s_wait_dscnt 0x0
	v_max_num_f32_e32 v33, v33, v33
	s_delay_alu instid0(VALU_DEP_1) | instskip(SKIP_4) | instid1(VALU_DEP_1)
	v_dual_max_num_f32 v14, v14, v33 :: v_dual_sub_f32 v52, v52, v12
	v_sub_f32_e32 v54, v54, v12
	ds_bpermute_b32 v33, v26, v14
	s_wait_dscnt 0x0
	v_max_num_f32_e32 v33, v33, v33
	v_max_num_f32_e32 v14, v14, v33
	ds_bpermute_b32 v33, v21, v14
	s_wait_dscnt 0x0
	v_max_num_f32_e32 v33, v33, v33
	s_delay_alu instid0(VALU_DEP_1) | instskip(SKIP_3) | instid1(VALU_DEP_1)
	v_max_num_f32_e32 v14, v14, v33
	ds_bpermute_b32 v33, v20, v14
	s_wait_dscnt 0x0
	v_max_num_f32_e32 v33, v33, v33
	v_max_num_f32_e32 v14, v14, v33
	ds_bpermute_b32 v33, v15, v14
	s_wait_dscnt 0x0
	v_max_num_f32_e32 v33, v33, v33
	s_delay_alu instid0(VALU_DEP_1) | instskip(NEXT) | instid1(VALU_DEP_1)
	v_max_num_f32_e32 v14, v14, v33
	v_dual_add_f32 v33, 0x40051340, v61 :: v_dual_sub_f32 v58, v58, v14
	v_sub_f32_e32 v60, v60, v14
	s_delay_alu instid0(VALU_DEP_2) | instskip(SKIP_3) | instid1(VALU_DEP_1)
	v_max3_num_f32 v32, v182, v32, v33
	ds_bpermute_b32 v27, v27, v32
	s_wait_dscnt 0x0
	v_max_num_f32_e32 v27, v27, v27
	v_max_num_f32_e32 v27, v32, v27
	ds_bpermute_b32 v26, v26, v27
	s_wait_dscnt 0x0
	v_max_num_f32_e32 v26, v26, v26
	s_delay_alu instid0(VALU_DEP_1) | instskip(SKIP_3) | instid1(VALU_DEP_1)
	v_max_num_f32_e32 v26, v27, v26
	ds_bpermute_b32 v21, v21, v26
	s_wait_dscnt 0x0
	v_max_num_f32_e32 v21, v21, v21
	v_max_num_f32_e32 v21, v26, v21
	ds_bpermute_b32 v20, v20, v21
	s_wait_dscnt 0x0
	v_max_num_f32_e32 v20, v20, v20
	s_delay_alu instid0(VALU_DEP_1) | instskip(SKIP_4) | instid1(VALU_DEP_1)
	v_max_num_f32_e32 v20, v21, v20
	v_sub_f32_e32 v21, v118, v0
	ds_bpermute_b32 v15, v15, v20
	s_wait_dscnt 0x0
	v_max_num_f32_e32 v15, v15, v15
	v_dual_max_num_f32 v15, v20, v15 :: v_dual_mul_f32 v20, 0x3fb8aa3b, v16
	s_delay_alu instid0(VALU_DEP_1) | instskip(NEXT) | instid1(VALU_DEP_2)
	v_dual_sub_f32 v59, v59, v15 :: v_dual_sub_f32 v61, v61, v15
	v_fma_f32 v26, 0x3fb8aa3b, v16, -v20
	v_rndne_f32_e32 v27, v20
	s_delay_alu instid0(VALU_DEP_2) | instskip(NEXT) | instid1(VALU_DEP_2)
	v_fmac_f32_e32 v26, 0x32a5705f, v16
	v_sub_f32_e32 v20, v20, v27
	s_delay_alu instid0(VALU_DEP_1) | instskip(SKIP_1) | instid1(VALU_DEP_2)
	v_add_f32_e32 v20, v20, v26
	v_cvt_i32_f32_e32 v26, v27
	v_exp_f32_e32 v20, v20
	v_nop
	s_delay_alu instid0(TRANS32_DEP_1) | instskip(NEXT) | instid1(VALU_DEP_1)
	v_ldexp_f32 v20, v20, v26
	v_cndmask_b32_e32 v20, 0, v20, vcc_lo
	v_cmp_nlt_f32_e32 vcc_lo, 0x42b17218, v16
	s_delay_alu instid0(VALU_DEP_2) | instskip(SKIP_2) | instid1(VALU_DEP_2)
	v_cndmask_b32_e32 v16, 0x7f800000, v20, vcc_lo
	v_mul_f32_e32 v20, 0x3fb8aa3b, v18
	v_cmp_ngt_f32_e32 vcc_lo, 0xc2ce8ed0, v18
	v_fma_f32 v26, 0x3fb8aa3b, v18, -v20
	v_rndne_f32_e32 v27, v20
	s_delay_alu instid0(VALU_DEP_2) | instskip(NEXT) | instid1(VALU_DEP_2)
	v_fmac_f32_e32 v26, 0x32a5705f, v18
	v_sub_f32_e32 v20, v20, v27
	s_delay_alu instid0(VALU_DEP_1) | instskip(SKIP_1) | instid1(VALU_DEP_2)
	v_add_f32_e32 v20, v20, v26
	v_cvt_i32_f32_e32 v26, v27
	v_exp_f32_e32 v20, v20
	v_nop
	s_delay_alu instid0(TRANS32_DEP_1) | instskip(NEXT) | instid1(VALU_DEP_1)
	v_ldexp_f32 v20, v20, v26
	v_cndmask_b32_e32 v20, 0, v20, vcc_lo
	v_cmp_nlt_f32_e32 vcc_lo, 0x42b17218, v18
	v_mul_f32_e32 v18, 0x3fb8aa3b, v21
	s_delay_alu instid0(VALU_DEP_1) | instskip(SKIP_1) | instid1(VALU_DEP_2)
	v_fma_f32 v26, 0x3fb8aa3b, v21, -v18
	v_rndne_f32_e32 v27, v18
	v_fmac_f32_e32 v26, 0x32a5705f, v21
	s_delay_alu instid0(VALU_DEP_2) | instskip(NEXT) | instid1(VALU_DEP_1)
	v_sub_f32_e32 v18, v18, v27
	v_add_f32_e32 v18, v18, v26
	v_cvt_i32_f32_e32 v26, v27
	s_delay_alu instid0(VALU_DEP_2) | instskip(SKIP_1) | instid1(TRANS32_DEP_1)
	v_exp_f32_e32 v18, v18
	v_nop
	v_ldexp_f32 v18, v18, v26
	v_sub_f32_e32 v26, v108, v1
	v_cndmask_b32_e32 v20, 0x7f800000, v20, vcc_lo
	v_cmp_ngt_f32_e32 vcc_lo, 0xc2ce8ed0, v21
	s_delay_alu instid0(VALU_DEP_4) | instskip(SKIP_1) | instid1(VALU_DEP_2)
	v_cndmask_b32_e32 v18, 0, v18, vcc_lo
	v_cmp_nlt_f32_e32 vcc_lo, 0x42b17218, v21
	v_cndmask_b32_e32 v18, 0x7f800000, v18, vcc_lo
	v_cmp_ngt_f32_e32 vcc_lo, 0xc2ce8ed0, v17
	s_delay_alu instid0(VALU_DEP_2) | instskip(NEXT) | instid1(VALU_DEP_1)
	v_cvt_f16_f32_e32 v21, v18
	v_and_b32_e32 v21, 0xffff, v21
	s_delay_alu instid0(VALU_DEP_1) | instskip(NEXT) | instid1(VALU_DEP_1)
	v_mul_u32_u24_e32 v21, 0x10001, v21
	v_pk_mul_f16 v64, v181, v21
	v_mul_f32_e32 v21, 0x3fb8aa3b, v17
	s_delay_alu instid0(VALU_DEP_1) | instskip(SKIP_1) | instid1(VALU_DEP_2)
	v_fma_f32 v27, 0x3fb8aa3b, v17, -v21
	v_rndne_f32_e32 v32, v21
	v_fmac_f32_e32 v27, 0x32a5705f, v17
	s_delay_alu instid0(VALU_DEP_2) | instskip(NEXT) | instid1(VALU_DEP_1)
	v_sub_f32_e32 v21, v21, v32
	v_add_f32_e32 v21, v21, v27
	v_cvt_i32_f32_e32 v27, v32
	s_delay_alu instid0(VALU_DEP_2) | instskip(SKIP_1) | instid1(TRANS32_DEP_1)
	v_exp_f32_e32 v21, v21
	v_nop
	v_ldexp_f32 v21, v21, v27
	s_delay_alu instid0(VALU_DEP_1) | instskip(SKIP_1) | instid1(VALU_DEP_2)
	v_cndmask_b32_e32 v21, 0, v21, vcc_lo
	v_cmp_nlt_f32_e32 vcc_lo, 0x42b17218, v17
	v_cndmask_b32_e32 v17, 0x7f800000, v21, vcc_lo
	v_mul_f32_e32 v21, 0x3fb8aa3b, v19
	v_cmp_ngt_f32_e32 vcc_lo, 0xc2ce8ed0, v19
	s_delay_alu instid0(VALU_DEP_2) | instskip(SKIP_1) | instid1(VALU_DEP_2)
	v_fma_f32 v27, 0x3fb8aa3b, v19, -v21
	v_rndne_f32_e32 v32, v21
	v_fmac_f32_e32 v27, 0x32a5705f, v19
	s_delay_alu instid0(VALU_DEP_2) | instskip(NEXT) | instid1(VALU_DEP_1)
	v_sub_f32_e32 v21, v21, v32
	v_add_f32_e32 v21, v21, v27
	v_cvt_i32_f32_e32 v27, v32
	s_delay_alu instid0(VALU_DEP_2) | instskip(SKIP_1) | instid1(TRANS32_DEP_1)
	v_exp_f32_e32 v21, v21
	v_nop
	v_ldexp_f32 v21, v21, v27
	s_delay_alu instid0(VALU_DEP_1) | instskip(SKIP_2) | instid1(VALU_DEP_1)
	v_cndmask_b32_e32 v21, 0, v21, vcc_lo
	v_cmp_nlt_f32_e32 vcc_lo, 0x42b17218, v19
	v_mul_f32_e32 v19, 0x3fb8aa3b, v26
	v_fma_f32 v27, 0x3fb8aa3b, v26, -v19
	v_rndne_f32_e32 v32, v19
	s_delay_alu instid0(VALU_DEP_2) | instskip(NEXT) | instid1(VALU_DEP_2)
	v_fmac_f32_e32 v27, 0x32a5705f, v26
	v_sub_f32_e32 v19, v19, v32
	v_cndmask_b32_e32 v21, 0x7f800000, v21, vcc_lo
	v_cmp_ngt_f32_e32 vcc_lo, 0xc2ce8ed0, v26
	s_delay_alu instid0(VALU_DEP_3) | instskip(SKIP_1) | instid1(VALU_DEP_2)
	v_add_f32_e32 v19, v19, v27
	v_cvt_i32_f32_e32 v27, v32
	v_exp_f32_e32 v19, v19
	v_nop
	s_delay_alu instid0(TRANS32_DEP_1) | instskip(NEXT) | instid1(VALU_DEP_1)
	v_ldexp_f32 v19, v19, v27
	v_dual_sub_f32 v27, v110, v2 :: v_dual_cndmask_b32 v19, 0, v19, vcc_lo
	v_cmp_nlt_f32_e32 vcc_lo, 0x42b17218, v26
	s_delay_alu instid0(VALU_DEP_2) | instskip(SKIP_1) | instid1(VALU_DEP_2)
	v_cndmask_b32_e32 v19, 0x7f800000, v19, vcc_lo
	v_cmp_ngt_f32_e32 vcc_lo, 0xc2ce8ed0, v22
	v_cvt_f16_f32_e32 v26, v19
	s_delay_alu instid0(VALU_DEP_1) | instskip(NEXT) | instid1(VALU_DEP_1)
	v_and_b32_e32 v26, 0xffff, v26
	v_mul_u32_u24_e32 v26, 0x10001, v26
	s_delay_alu instid0(VALU_DEP_1) | instskip(SKIP_1) | instid1(VALU_DEP_1)
	v_pk_mul_f16 v65, v180, v26
	v_mul_f32_e32 v26, 0x3fb8aa3b, v22
	v_fma_f32 v32, 0x3fb8aa3b, v22, -v26
	v_rndne_f32_e32 v33, v26
	s_delay_alu instid0(VALU_DEP_2) | instskip(NEXT) | instid1(VALU_DEP_2)
	v_fmac_f32_e32 v32, 0x32a5705f, v22
	v_sub_f32_e32 v26, v26, v33
	s_delay_alu instid0(VALU_DEP_1) | instskip(SKIP_1) | instid1(VALU_DEP_2)
	v_add_f32_e32 v26, v26, v32
	v_cvt_i32_f32_e32 v32, v33
	v_exp_f32_e32 v26, v26
	v_nop
	s_delay_alu instid0(TRANS32_DEP_1) | instskip(NEXT) | instid1(VALU_DEP_1)
	v_ldexp_f32 v26, v26, v32
	v_cndmask_b32_e32 v26, 0, v26, vcc_lo
	v_cmp_nlt_f32_e32 vcc_lo, 0x42b17218, v22
	s_delay_alu instid0(VALU_DEP_2) | instskip(SKIP_2) | instid1(VALU_DEP_2)
	v_cndmask_b32_e32 v22, 0x7f800000, v26, vcc_lo
	v_mul_f32_e32 v26, 0x3fb8aa3b, v24
	v_cmp_ngt_f32_e32 vcc_lo, 0xc2ce8ed0, v24
	v_fma_f32 v32, 0x3fb8aa3b, v24, -v26
	v_rndne_f32_e32 v33, v26
	s_delay_alu instid0(VALU_DEP_2) | instskip(NEXT) | instid1(VALU_DEP_2)
	v_fmac_f32_e32 v32, 0x32a5705f, v24
	v_sub_f32_e32 v26, v26, v33
	s_delay_alu instid0(VALU_DEP_1) | instskip(SKIP_1) | instid1(VALU_DEP_2)
	v_add_f32_e32 v26, v26, v32
	v_cvt_i32_f32_e32 v32, v33
	v_exp_f32_e32 v26, v26
	v_nop
	s_delay_alu instid0(TRANS32_DEP_1) | instskip(NEXT) | instid1(VALU_DEP_1)
	v_ldexp_f32 v26, v26, v32
	v_cndmask_b32_e32 v26, 0, v26, vcc_lo
	v_cmp_nlt_f32_e32 vcc_lo, 0x42b17218, v24
	v_mul_f32_e32 v24, 0x3fb8aa3b, v27
	s_delay_alu instid0(VALU_DEP_3) | instskip(NEXT) | instid1(VALU_DEP_2)
	v_cndmask_b32_e32 v26, 0x7f800000, v26, vcc_lo
	v_fma_f32 v32, 0x3fb8aa3b, v27, -v24
	v_rndne_f32_e32 v33, v24
	v_cmp_ngt_f32_e32 vcc_lo, 0xc2ce8ed0, v27
	s_delay_alu instid0(VALU_DEP_3) | instskip(NEXT) | instid1(VALU_DEP_3)
	v_fmac_f32_e32 v32, 0x32a5705f, v27
	v_sub_f32_e32 v24, v24, v33
	s_delay_alu instid0(VALU_DEP_1) | instskip(SKIP_1) | instid1(VALU_DEP_2)
	v_add_f32_e32 v24, v24, v32
	v_cvt_i32_f32_e32 v32, v33
	v_exp_f32_e32 v24, v24
	v_nop
	s_delay_alu instid0(TRANS32_DEP_1) | instskip(NEXT) | instid1(VALU_DEP_1)
	v_ldexp_f32 v24, v24, v32
	v_dual_sub_f32 v32, v111, v3 :: v_dual_cndmask_b32 v24, 0, v24, vcc_lo
	v_cmp_nlt_f32_e32 vcc_lo, 0x42b17218, v27
	s_delay_alu instid0(VALU_DEP_2) | instskip(SKIP_1) | instid1(VALU_DEP_2)
	v_cndmask_b32_e32 v24, 0x7f800000, v24, vcc_lo
	v_cmp_ngt_f32_e32 vcc_lo, 0xc2ce8ed0, v23
	v_cvt_f16_f32_e32 v27, v24
	s_delay_alu instid0(VALU_DEP_1) | instskip(NEXT) | instid1(VALU_DEP_1)
	v_and_b32_e32 v27, 0xffff, v27
	v_mul_u32_u24_e32 v27, 0x10001, v27
	s_delay_alu instid0(VALU_DEP_1) | instskip(SKIP_1) | instid1(VALU_DEP_1)
	v_pk_mul_f16 v66, v179, v27
	v_mul_f32_e32 v27, 0x3fb8aa3b, v23
	v_fma_f32 v33, 0x3fb8aa3b, v23, -v27
	v_rndne_f32_e32 v38, v27
	s_delay_alu instid0(VALU_DEP_2) | instskip(NEXT) | instid1(VALU_DEP_2)
	v_fmac_f32_e32 v33, 0x32a5705f, v23
	v_sub_f32_e32 v27, v27, v38
	s_delay_alu instid0(VALU_DEP_1) | instskip(SKIP_1) | instid1(VALU_DEP_2)
	v_add_f32_e32 v27, v27, v33
	v_cvt_i32_f32_e32 v33, v38
	v_exp_f32_e32 v27, v27
	v_nop
	s_delay_alu instid0(TRANS32_DEP_1) | instskip(NEXT) | instid1(VALU_DEP_1)
	v_ldexp_f32 v27, v27, v33
	v_cndmask_b32_e32 v27, 0, v27, vcc_lo
	v_cmp_nlt_f32_e32 vcc_lo, 0x42b17218, v23
	s_delay_alu instid0(VALU_DEP_2) | instskip(SKIP_2) | instid1(VALU_DEP_2)
	v_cndmask_b32_e32 v23, 0x7f800000, v27, vcc_lo
	v_mul_f32_e32 v27, 0x3fb8aa3b, v25
	v_cmp_ngt_f32_e32 vcc_lo, 0xc2ce8ed0, v25
	v_fma_f32 v33, 0x3fb8aa3b, v25, -v27
	v_rndne_f32_e32 v38, v27
	s_delay_alu instid0(VALU_DEP_2) | instskip(NEXT) | instid1(VALU_DEP_2)
	v_fmac_f32_e32 v33, 0x32a5705f, v25
	v_sub_f32_e32 v27, v27, v38
	s_delay_alu instid0(VALU_DEP_1) | instskip(SKIP_1) | instid1(VALU_DEP_2)
	v_add_f32_e32 v27, v27, v33
	v_cvt_i32_f32_e32 v33, v38
	v_exp_f32_e32 v27, v27
	v_nop
	s_delay_alu instid0(TRANS32_DEP_1) | instskip(NEXT) | instid1(VALU_DEP_1)
	v_ldexp_f32 v27, v27, v33
	v_cndmask_b32_e32 v27, 0, v27, vcc_lo
	v_cmp_nlt_f32_e32 vcc_lo, 0x42b17218, v25
	v_mul_f32_e32 v25, 0x3fb8aa3b, v32
	s_delay_alu instid0(VALU_DEP_1) | instskip(SKIP_1) | instid1(VALU_DEP_2)
	v_fma_f32 v33, 0x3fb8aa3b, v32, -v25
	v_rndne_f32_e32 v38, v25
	v_fmac_f32_e32 v33, 0x32a5705f, v32
	s_delay_alu instid0(VALU_DEP_2) | instskip(NEXT) | instid1(VALU_DEP_1)
	v_sub_f32_e32 v25, v25, v38
	v_add_f32_e32 v25, v25, v33
	v_cvt_i32_f32_e32 v33, v38
	v_cndmask_b32_e32 v27, 0x7f800000, v27, vcc_lo
	v_cmp_ngt_f32_e32 vcc_lo, 0xc2ce8ed0, v32
	s_delay_alu instid0(VALU_DEP_4) | instskip(SKIP_1) | instid1(TRANS32_DEP_1)
	v_exp_f32_e32 v25, v25
	v_nop
	v_ldexp_f32 v25, v25, v33
	v_mul_f32_e32 v33, 0x3fb8aa3b, v28
	s_delay_alu instid0(VALU_DEP_1) | instskip(NEXT) | instid1(VALU_DEP_3)
	v_rndne_f32_e32 v39, v33
	v_cndmask_b32_e32 v25, 0, v25, vcc_lo
	v_cmp_nlt_f32_e32 vcc_lo, 0x42b17218, v32
	v_fma_f32 v38, 0x3fb8aa3b, v28, -v33
	s_delay_alu instid0(VALU_DEP_4) | instskip(NEXT) | instid1(VALU_DEP_4)
	v_sub_f32_e32 v33, v33, v39
	v_cndmask_b32_e32 v25, 0x7f800000, v25, vcc_lo
	s_delay_alu instid0(VALU_DEP_3) | instskip(SKIP_1) | instid1(VALU_DEP_3)
	v_fmac_f32_e32 v38, 0x32a5705f, v28
	v_cmp_ngt_f32_e32 vcc_lo, 0xc2ce8ed0, v28
	v_cvt_f16_f32_e32 v32, v25
	s_delay_alu instid0(VALU_DEP_1) | instskip(NEXT) | instid1(VALU_DEP_1)
	v_and_b32_e32 v32, 0xffff, v32
	v_mul_u32_u24_e32 v32, 0x10001, v32
	s_delay_alu instid0(VALU_DEP_1) | instskip(SKIP_3) | instid1(VALU_DEP_3)
	v_pk_mul_f16 v67, v178, v32
	v_dual_sub_f32 v32, v107, v4 :: v_dual_add_f32 v33, v33, v38
	v_cvt_i32_f32_e32 v38, v39
	v_cvt_pk_f16_f32 v107, v22, v23
	v_exp_f32_e32 v33, v33
	v_nop
	s_delay_alu instid0(TRANS32_DEP_1) | instskip(NEXT) | instid1(VALU_DEP_1)
	v_ldexp_f32 v33, v33, v38
	v_cndmask_b32_e32 v33, 0, v33, vcc_lo
	v_cmp_nlt_f32_e32 vcc_lo, 0x42b17218, v28
	s_delay_alu instid0(VALU_DEP_2) | instskip(SKIP_2) | instid1(VALU_DEP_2)
	v_cndmask_b32_e32 v28, 0x7f800000, v33, vcc_lo
	v_mul_f32_e32 v33, 0x3fb8aa3b, v30
	v_cmp_ngt_f32_e32 vcc_lo, 0xc2ce8ed0, v30
	v_fma_f32 v38, 0x3fb8aa3b, v30, -v33
	v_rndne_f32_e32 v39, v33
	s_delay_alu instid0(VALU_DEP_1) | instskip(NEXT) | instid1(VALU_DEP_1)
	v_dual_fmac_f32 v38, 0x32a5705f, v30 :: v_dual_sub_f32 v33, v33, v39
	v_add_f32_e32 v33, v33, v38
	v_cvt_i32_f32_e32 v38, v39
	s_delay_alu instid0(VALU_DEP_2) | instskip(SKIP_1) | instid1(TRANS32_DEP_1)
	v_exp_f32_e32 v33, v33
	v_nop
	v_ldexp_f32 v33, v33, v38
	s_delay_alu instid0(VALU_DEP_1) | instskip(SKIP_1) | instid1(VALU_DEP_2)
	v_cndmask_b32_e32 v33, 0, v33, vcc_lo
	v_cmp_nlt_f32_e32 vcc_lo, 0x42b17218, v30
	v_cndmask_b32_e32 v30, 0x7f800000, v33, vcc_lo
	v_mul_f32_e32 v33, 0x3fb8aa3b, v32
	v_cmp_ngt_f32_e32 vcc_lo, 0xc2ce8ed0, v32
	s_delay_alu instid0(VALU_DEP_2) | instskip(SKIP_1) | instid1(VALU_DEP_1)
	v_fma_f32 v38, 0x3fb8aa3b, v32, -v33
	v_rndne_f32_e32 v39, v33
	v_dual_fmac_f32 v38, 0x32a5705f, v32 :: v_dual_sub_f32 v33, v33, v39
	s_delay_alu instid0(VALU_DEP_1) | instskip(SKIP_1) | instid1(VALU_DEP_2)
	v_add_f32_e32 v33, v33, v38
	v_cvt_i32_f32_e32 v38, v39
	v_exp_f32_e32 v33, v33
	v_nop
	s_delay_alu instid0(TRANS32_DEP_1) | instskip(SKIP_1) | instid1(VALU_DEP_2)
	v_ldexp_f32 v33, v33, v38
	v_mul_f32_e32 v38, 0x3fb8aa3b, v29
	v_cndmask_b32_e32 v33, 0, v33, vcc_lo
	s_delay_alu instid0(VALU_DEP_2) | instskip(SKIP_2) | instid1(VALU_DEP_2)
	v_fma_f32 v39, 0x3fb8aa3b, v29, -v38
	v_rndne_f32_e32 v44, v38
	v_cmp_nlt_f32_e32 vcc_lo, 0x42b17218, v32
	v_dual_fmac_f32 v39, 0x32a5705f, v29 :: v_dual_sub_f32 v38, v38, v44
	v_cndmask_b32_e32 v32, 0x7f800000, v33, vcc_lo
	v_cmp_ngt_f32_e32 vcc_lo, 0xc2ce8ed0, v29
	s_delay_alu instid0(VALU_DEP_3) | instskip(SKIP_1) | instid1(VALU_DEP_4)
	v_add_f32_e32 v38, v38, v39
	v_cvt_i32_f32_e32 v39, v44
	v_cvt_f16_f32_e32 v33, v32
	s_delay_alu instid0(VALU_DEP_3) | instskip(NEXT) | instid1(VALU_DEP_1)
	v_exp_f32_e32 v38, v38
	v_and_b32_e32 v33, 0xffff, v33
	s_delay_alu instid0(TRANS32_DEP_1) | instskip(NEXT) | instid1(VALU_DEP_2)
	v_ldexp_f32 v38, v38, v39
	v_mul_u32_u24_e32 v33, 0x10001, v33
	s_delay_alu instid0(VALU_DEP_2) | instskip(SKIP_1) | instid1(VALU_DEP_3)
	v_cndmask_b32_e32 v38, 0, v38, vcc_lo
	v_cmp_nlt_f32_e32 vcc_lo, 0x42b17218, v29
	v_pk_mul_f16 v68, v177, v33
	v_sub_f32_e32 v33, v106, v5
	v_cvt_pk_f16_f32 v106, v16, v17
	v_pk_add_f32 v[16:17], v[16:17], v[20:21]
	v_cndmask_b32_e32 v29, 0x7f800000, v38, vcc_lo
	v_mul_f32_e32 v38, 0x3fb8aa3b, v31
	v_cmp_ngt_f32_e32 vcc_lo, 0xc2ce8ed0, v31
	s_delay_alu instid0(VALU_DEP_4) | instskip(NEXT) | instid1(VALU_DEP_3)
	v_pk_fma_f32 v[80:81], v[80:81], v[18:19], v[16:17]
	v_fma_f32 v39, 0x3fb8aa3b, v31, -v38
	v_rndne_f32_e32 v44, v38
	s_delay_alu instid0(VALU_DEP_1) | instskip(NEXT) | instid1(VALU_DEP_1)
	v_dual_fmac_f32 v39, 0x32a5705f, v31 :: v_dual_sub_f32 v38, v38, v44
	v_add_f32_e32 v38, v38, v39
	v_cvt_i32_f32_e32 v39, v44
	s_delay_alu instid0(VALU_DEP_2) | instskip(SKIP_1) | instid1(TRANS32_DEP_1)
	v_exp_f32_e32 v38, v38
	v_nop
	v_ldexp_f32 v38, v38, v39
	s_delay_alu instid0(VALU_DEP_1) | instskip(SKIP_1) | instid1(VALU_DEP_2)
	v_cndmask_b32_e32 v38, 0, v38, vcc_lo
	v_cmp_nlt_f32_e32 vcc_lo, 0x42b17218, v31
	v_cndmask_b32_e32 v31, 0x7f800000, v38, vcc_lo
	v_mul_f32_e32 v38, 0x3fb8aa3b, v33
	v_cmp_ngt_f32_e32 vcc_lo, 0xc2ce8ed0, v33
	s_delay_alu instid0(VALU_DEP_2) | instskip(SKIP_1) | instid1(VALU_DEP_1)
	v_fma_f32 v39, 0x3fb8aa3b, v33, -v38
	v_rndne_f32_e32 v44, v38
	v_dual_fmac_f32 v39, 0x32a5705f, v33 :: v_dual_sub_f32 v38, v38, v44
	s_delay_alu instid0(VALU_DEP_1) | instskip(SKIP_1) | instid1(VALU_DEP_2)
	v_add_f32_e32 v38, v38, v39
	v_cvt_i32_f32_e32 v39, v44
	v_exp_f32_e32 v38, v38
	v_nop
	s_delay_alu instid0(TRANS32_DEP_1) | instskip(SKIP_1) | instid1(VALU_DEP_2)
	v_ldexp_f32 v38, v38, v39
	v_mul_f32_e32 v39, 0x3fb8aa3b, v34
	v_cndmask_b32_e32 v38, 0, v38, vcc_lo
	s_delay_alu instid0(VALU_DEP_2) | instskip(SKIP_2) | instid1(VALU_DEP_2)
	v_fma_f32 v44, 0x3fb8aa3b, v34, -v39
	v_rndne_f32_e32 v45, v39
	v_cmp_nlt_f32_e32 vcc_lo, 0x42b17218, v33
	v_dual_fmac_f32 v44, 0x32a5705f, v34 :: v_dual_sub_f32 v39, v39, v45
	v_cndmask_b32_e32 v33, 0x7f800000, v38, vcc_lo
	v_cmp_ngt_f32_e32 vcc_lo, 0xc2ce8ed0, v34
	s_delay_alu instid0(VALU_DEP_3) | instskip(SKIP_1) | instid1(VALU_DEP_4)
	v_add_f32_e32 v39, v39, v44
	v_cvt_i32_f32_e32 v44, v45
	v_cvt_f16_f32_e32 v38, v33
	s_delay_alu instid0(VALU_DEP_3) | instskip(NEXT) | instid1(VALU_DEP_1)
	v_exp_f32_e32 v39, v39
	v_and_b32_e32 v38, 0xffff, v38
	s_delay_alu instid0(TRANS32_DEP_1) | instskip(NEXT) | instid1(VALU_DEP_2)
	v_ldexp_f32 v39, v39, v44
	v_mul_u32_u24_e32 v38, 0x10001, v38
	s_delay_alu instid0(VALU_DEP_2) | instskip(SKIP_1) | instid1(VALU_DEP_3)
	v_cndmask_b32_e32 v39, 0, v39, vcc_lo
	v_cmp_nlt_f32_e32 vcc_lo, 0x42b17218, v34
	v_pk_mul_f16 v69, v176, v38
	v_sub_f32_e32 v38, v191, v6
	s_delay_alu instid0(VALU_DEP_4) | instskip(SKIP_2) | instid1(VALU_DEP_2)
	v_cndmask_b32_e32 v34, 0x7f800000, v39, vcc_lo
	v_mul_f32_e32 v39, 0x3fb8aa3b, v36
	v_cmp_ngt_f32_e32 vcc_lo, 0xc2ce8ed0, v36
	v_fma_f32 v44, 0x3fb8aa3b, v36, -v39
	v_rndne_f32_e32 v45, v39
	s_delay_alu instid0(VALU_DEP_1) | instskip(NEXT) | instid1(VALU_DEP_1)
	v_dual_fmac_f32 v44, 0x32a5705f, v36 :: v_dual_sub_f32 v39, v39, v45
	v_add_f32_e32 v39, v39, v44
	v_cvt_i32_f32_e32 v44, v45
	s_delay_alu instid0(VALU_DEP_2) | instskip(SKIP_1) | instid1(TRANS32_DEP_1)
	v_exp_f32_e32 v39, v39
	v_nop
	v_ldexp_f32 v39, v39, v44
	s_delay_alu instid0(VALU_DEP_1) | instskip(SKIP_1) | instid1(VALU_DEP_2)
	v_cndmask_b32_e32 v39, 0, v39, vcc_lo
	v_cmp_nlt_f32_e32 vcc_lo, 0x42b17218, v36
	v_cndmask_b32_e32 v36, 0x7f800000, v39, vcc_lo
	v_mul_f32_e32 v39, 0x3fb8aa3b, v38
	v_cmp_ngt_f32_e32 vcc_lo, 0xc2ce8ed0, v38
	s_delay_alu instid0(VALU_DEP_2) | instskip(SKIP_1) | instid1(VALU_DEP_1)
	v_fma_f32 v44, 0x3fb8aa3b, v38, -v39
	v_rndne_f32_e32 v45, v39
	v_dual_fmac_f32 v44, 0x32a5705f, v38 :: v_dual_sub_f32 v39, v39, v45
	s_delay_alu instid0(VALU_DEP_1) | instskip(SKIP_1) | instid1(VALU_DEP_2)
	v_add_f32_e32 v39, v39, v44
	v_cvt_i32_f32_e32 v44, v45
	v_exp_f32_e32 v39, v39
	v_nop
	s_delay_alu instid0(TRANS32_DEP_1) | instskip(SKIP_1) | instid1(VALU_DEP_2)
	v_ldexp_f32 v39, v39, v44
	v_mul_f32_e32 v44, 0x3fb8aa3b, v35
	v_cndmask_b32_e32 v39, 0, v39, vcc_lo
	s_delay_alu instid0(VALU_DEP_2) | instskip(SKIP_2) | instid1(VALU_DEP_2)
	v_fma_f32 v45, 0x3fb8aa3b, v35, -v44
	v_rndne_f32_e32 v50, v44
	v_cmp_nlt_f32_e32 vcc_lo, 0x42b17218, v38
	v_dual_fmac_f32 v45, 0x32a5705f, v35 :: v_dual_sub_f32 v44, v44, v50
	v_cndmask_b32_e32 v38, 0x7f800000, v39, vcc_lo
	v_cmp_ngt_f32_e32 vcc_lo, 0xc2ce8ed0, v35
	s_delay_alu instid0(VALU_DEP_3) | instskip(SKIP_1) | instid1(VALU_DEP_4)
	v_add_f32_e32 v44, v44, v45
	v_cvt_i32_f32_e32 v45, v50
	v_cvt_f16_f32_e32 v39, v38
	v_cvt_pk_f16_f32 v108, v28, v29
	s_delay_alu instid0(VALU_DEP_4) | instskip(NEXT) | instid1(VALU_DEP_2)
	v_exp_f32_e32 v44, v44
	v_and_b32_e32 v39, 0xffff, v39
	s_delay_alu instid0(TRANS32_DEP_1) | instskip(NEXT) | instid1(VALU_DEP_2)
	v_ldexp_f32 v44, v44, v45
	v_mul_u32_u24_e32 v39, 0x10001, v39
	s_delay_alu instid0(VALU_DEP_2) | instskip(SKIP_1) | instid1(VALU_DEP_3)
	v_cndmask_b32_e32 v44, 0, v44, vcc_lo
	v_cmp_nlt_f32_e32 vcc_lo, 0x42b17218, v35
	v_pk_mul_f16 v70, v175, v39
	s_delay_alu instid0(VALU_DEP_3) | instskip(SKIP_2) | instid1(VALU_DEP_2)
	v_cndmask_b32_e32 v35, 0x7f800000, v44, vcc_lo
	v_mul_f32_e32 v44, 0x3fb8aa3b, v37
	v_cmp_ngt_f32_e32 vcc_lo, 0xc2ce8ed0, v37
	v_fma_f32 v45, 0x3fb8aa3b, v37, -v44
	v_rndne_f32_e32 v50, v44
	v_sub_f32_e32 v39, v190, v7
	s_delay_alu instid0(VALU_DEP_2) | instskip(NEXT) | instid1(VALU_DEP_1)
	v_dual_fmac_f32 v45, 0x32a5705f, v37 :: v_dual_sub_f32 v44, v44, v50
	v_add_f32_e32 v44, v44, v45
	v_cvt_i32_f32_e32 v45, v50
	s_delay_alu instid0(VALU_DEP_2) | instskip(SKIP_1) | instid1(TRANS32_DEP_1)
	v_exp_f32_e32 v44, v44
	v_nop
	v_ldexp_f32 v44, v44, v45
	s_delay_alu instid0(VALU_DEP_1) | instskip(SKIP_1) | instid1(VALU_DEP_2)
	v_cndmask_b32_e32 v44, 0, v44, vcc_lo
	v_cmp_nlt_f32_e32 vcc_lo, 0x42b17218, v37
	v_cndmask_b32_e32 v37, 0x7f800000, v44, vcc_lo
	v_mul_f32_e32 v44, 0x3fb8aa3b, v39
	v_cmp_ngt_f32_e32 vcc_lo, 0xc2ce8ed0, v39
	s_delay_alu instid0(VALU_DEP_2) | instskip(SKIP_1) | instid1(VALU_DEP_1)
	v_fma_f32 v45, 0x3fb8aa3b, v39, -v44
	v_rndne_f32_e32 v50, v44
	v_dual_fmac_f32 v45, 0x32a5705f, v39 :: v_dual_sub_f32 v44, v44, v50
	s_delay_alu instid0(VALU_DEP_1) | instskip(SKIP_1) | instid1(VALU_DEP_2)
	v_add_f32_e32 v44, v44, v45
	v_cvt_i32_f32_e32 v45, v50
	v_exp_f32_e32 v44, v44
	v_nop
	s_delay_alu instid0(TRANS32_DEP_1) | instskip(SKIP_1) | instid1(VALU_DEP_2)
	v_ldexp_f32 v44, v44, v45
	v_mul_f32_e32 v45, 0x3fb8aa3b, v40
	v_cndmask_b32_e32 v44, 0, v44, vcc_lo
	v_cmp_nlt_f32_e32 vcc_lo, 0x42b17218, v39
	s_delay_alu instid0(VALU_DEP_3) | instskip(SKIP_1) | instid1(VALU_DEP_4)
	v_fma_f32 v50, 0x3fb8aa3b, v40, -v45
	v_rndne_f32_e32 v51, v45
	v_cndmask_b32_e32 v39, 0x7f800000, v44, vcc_lo
	s_delay_alu instid0(VALU_DEP_2) | instskip(SKIP_2) | instid1(VALU_DEP_4)
	v_sub_f32_e32 v45, v45, v51
	v_cmp_ngt_f32_e32 vcc_lo, 0xc2ce8ed0, v40
	v_fmac_f32_e32 v50, 0x32a5705f, v40
	v_cvt_f16_f32_e32 v44, v39
	s_delay_alu instid0(VALU_DEP_2) | instskip(SKIP_1) | instid1(VALU_DEP_3)
	v_add_f32_e32 v45, v45, v50
	v_cvt_i32_f32_e32 v50, v51
	v_and_b32_e32 v44, 0xffff, v44
	s_delay_alu instid0(VALU_DEP_3) | instskip(NEXT) | instid1(VALU_DEP_1)
	v_exp_f32_e32 v45, v45
	v_mul_u32_u24_e32 v44, 0x10001, v44
	s_delay_alu instid0(TRANS32_DEP_1) | instskip(NEXT) | instid1(VALU_DEP_2)
	v_ldexp_f32 v45, v45, v50
	v_pk_mul_f16 v71, v174, v44
	s_delay_alu instid0(VALU_DEP_2) | instskip(SKIP_1) | instid1(VALU_DEP_2)
	v_dual_sub_f32 v44, v189, v8 :: v_dual_cndmask_b32 v45, 0, v45
	v_cmp_nlt_f32_e32 vcc_lo, 0x42b17218, v40
	v_cndmask_b32_e32 v40, 0x7f800000, v45, vcc_lo
	v_mul_f32_e32 v45, 0x3fb8aa3b, v42
	s_delay_alu instid0(VALU_DEP_1) | instskip(SKIP_1) | instid1(VALU_DEP_1)
	v_fma_f32 v50, 0x3fb8aa3b, v42, -v45
	v_rndne_f32_e32 v51, v45
	v_dual_fmac_f32 v50, 0x32a5705f, v42 :: v_dual_sub_f32 v45, v45, v51
	s_delay_alu instid0(VALU_DEP_1) | instskip(SKIP_2) | instid1(VALU_DEP_3)
	v_add_f32_e32 v45, v45, v50
	v_cvt_i32_f32_e32 v50, v51
	v_cmp_ngt_f32_e32 vcc_lo, 0xc2ce8ed0, v42
	v_exp_f32_e32 v45, v45
	v_nop
	s_delay_alu instid0(TRANS32_DEP_1) | instskip(NEXT) | instid1(VALU_DEP_1)
	v_ldexp_f32 v45, v45, v50
	v_cndmask_b32_e32 v45, 0, v45, vcc_lo
	v_cmp_nlt_f32_e32 vcc_lo, 0x42b17218, v42
	s_delay_alu instid0(VALU_DEP_2) | instskip(SKIP_2) | instid1(VALU_DEP_2)
	v_cndmask_b32_e32 v42, 0x7f800000, v45, vcc_lo
	v_mul_f32_e32 v45, 0x3fb8aa3b, v44
	v_cmp_ngt_f32_e32 vcc_lo, 0xc2ce8ed0, v44
	v_fma_f32 v50, 0x3fb8aa3b, v44, -v45
	v_rndne_f32_e32 v51, v45
	s_delay_alu instid0(VALU_DEP_1) | instskip(NEXT) | instid1(VALU_DEP_1)
	v_dual_fmac_f32 v50, 0x32a5705f, v44 :: v_dual_sub_f32 v45, v45, v51
	v_add_f32_e32 v45, v45, v50
	v_cvt_i32_f32_e32 v50, v51
	s_delay_alu instid0(VALU_DEP_2) | instskip(SKIP_1) | instid1(TRANS32_DEP_1)
	v_exp_f32_e32 v45, v45
	v_nop
	v_ldexp_f32 v45, v45, v50
	v_mul_f32_e32 v50, 0x3fb8aa3b, v41
	s_delay_alu instid0(VALU_DEP_2) | instskip(NEXT) | instid1(VALU_DEP_2)
	v_cndmask_b32_e32 v45, 0, v45, vcc_lo
	v_fma_f32 v51, 0x3fb8aa3b, v41, -v50
	v_rndne_f32_e32 v56, v50
	v_cmp_nlt_f32_e32 vcc_lo, 0x42b17218, v44
	s_delay_alu instid0(VALU_DEP_2) | instskip(SKIP_2) | instid1(VALU_DEP_3)
	v_dual_fmac_f32 v51, 0x32a5705f, v41 :: v_dual_sub_f32 v50, v50, v56
	v_cndmask_b32_e32 v44, 0x7f800000, v45, vcc_lo
	v_cmp_ngt_f32_e32 vcc_lo, 0xc2ce8ed0, v41
	v_add_f32_e32 v50, v50, v51
	v_cvt_i32_f32_e32 v51, v56
	s_delay_alu instid0(VALU_DEP_4) | instskip(SKIP_1) | instid1(VALU_DEP_4)
	v_cvt_f16_f32_e32 v45, v44
	v_cvt_pk_f16_f32 v109, v34, v35
	v_exp_f32_e32 v50, v50
	s_delay_alu instid0(VALU_DEP_2)
	v_and_b32_e32 v45, 0xffff, v45
	ds_store_b128 v149, v[106:109]
	v_cvt_pk_f16_f32 v108, v30, v31
	v_cvt_pk_f16_f32 v107, v26, v27
	;; [unrolled: 1-line block ×3, first 2 shown]
	v_ldexp_f32 v50, v50, v51
	v_mul_u32_u24_e32 v45, 0x10001, v45
	v_pk_add_f32 v[20:21], v[22:23], v[26:27]
	v_pk_add_f32 v[22:23], v[28:29], v[30:31]
	s_delay_alu instid0(VALU_DEP_4) | instskip(SKIP_1) | instid1(VALU_DEP_4)
	v_cndmask_b32_e32 v50, 0, v50, vcc_lo
	v_cmp_nlt_f32_e32 vcc_lo, 0x42b17218, v41
	v_pk_fma_f32 v[78:79], v[78:79], v[24:25], v[20:21]
	s_delay_alu instid0(VALU_DEP_4) | instskip(NEXT) | instid1(VALU_DEP_4)
	v_pk_fma_f32 v[86:87], v[86:87], v[32:33], v[22:23]
	v_cndmask_b32_e32 v41, 0x7f800000, v50, vcc_lo
	v_mul_f32_e32 v50, 0x3fb8aa3b, v43
	v_cmp_ngt_f32_e32 vcc_lo, 0xc2ce8ed0, v43
	s_delay_alu instid0(VALU_DEP_2) | instskip(SKIP_1) | instid1(VALU_DEP_1)
	v_fma_f32 v51, 0x3fb8aa3b, v43, -v50
	v_rndne_f32_e32 v56, v50
	v_dual_fmac_f32 v51, 0x32a5705f, v43 :: v_dual_sub_f32 v50, v50, v56
	s_delay_alu instid0(VALU_DEP_1) | instskip(SKIP_3) | instid1(VALU_DEP_4)
	v_add_f32_e32 v50, v50, v51
	v_cvt_i32_f32_e32 v51, v56
	v_cvt_pk_f16_f32 v109, v36, v37
	v_pk_add_f32 v[26:27], v[34:35], v[36:37]
	v_exp_f32_e32 v50, v50
	ds_store_b128 v149, v[106:109] offset:512
	v_pk_mul_f16 v106, v173, v45
	v_ldexp_f32 v50, v50, v51
	s_delay_alu instid0(VALU_DEP_1) | instskip(SKIP_1) | instid1(VALU_DEP_2)
	v_dual_sub_f32 v45, v188, v9 :: v_dual_cndmask_b32 v50, 0, v50
	v_cmp_nlt_f32_e32 vcc_lo, 0x42b17218, v43
	v_cndmask_b32_e32 v43, 0x7f800000, v50, vcc_lo
	s_delay_alu instid0(VALU_DEP_3) | instskip(SKIP_1) | instid1(VALU_DEP_2)
	v_mul_f32_e32 v50, 0x3fb8aa3b, v45
	v_cmp_ngt_f32_e32 vcc_lo, 0xc2ce8ed0, v45
	v_fma_f32 v51, 0x3fb8aa3b, v45, -v50
	v_rndne_f32_e32 v56, v50
	s_delay_alu instid0(VALU_DEP_1) | instskip(NEXT) | instid1(VALU_DEP_1)
	v_dual_fmac_f32 v51, 0x32a5705f, v45 :: v_dual_sub_f32 v50, v50, v56
	v_add_f32_e32 v50, v50, v51
	v_cvt_i32_f32_e32 v51, v56
	v_pk_fma_f32 v[84:85], v[84:85], v[38:39], v[26:27]
	s_delay_alu instid0(VALU_DEP_3) | instskip(SKIP_1) | instid1(TRANS32_DEP_1)
	v_exp_f32_e32 v50, v50
	v_nop
	v_ldexp_f32 v50, v50, v51
	v_mul_f32_e32 v51, 0x3fb8aa3b, v46
	s_delay_alu instid0(VALU_DEP_2) | instskip(NEXT) | instid1(VALU_DEP_2)
	v_cndmask_b32_e32 v50, 0, v50, vcc_lo
	v_fma_f32 v56, 0x3fb8aa3b, v46, -v51
	v_rndne_f32_e32 v57, v51
	v_cmp_nlt_f32_e32 vcc_lo, 0x42b17218, v45
	s_delay_alu instid0(VALU_DEP_2) | instskip(SKIP_2) | instid1(VALU_DEP_3)
	v_dual_sub_f32 v51, v51, v57 :: v_dual_fmac_f32 v56, 0x32a5705f, v46
	v_cndmask_b32_e32 v45, 0x7f800000, v50, vcc_lo
	v_cmp_ngt_f32_e32 vcc_lo, 0xc2ce8ed0, v46
	v_add_f32_e32 v51, v51, v56
	v_cvt_i32_f32_e32 v56, v57
	s_delay_alu instid0(VALU_DEP_4) | instskip(NEXT) | instid1(VALU_DEP_3)
	v_cvt_f16_f32_e32 v50, v45
	v_exp_f32_e32 v51, v51
	s_delay_alu instid0(VALU_DEP_1) | instskip(NEXT) | instid1(TRANS32_DEP_1)
	v_and_b32_e32 v50, 0xffff, v50
	v_ldexp_f32 v51, v51, v56
	s_delay_alu instid0(VALU_DEP_2) | instskip(NEXT) | instid1(VALU_DEP_2)
	v_mul_u32_u24_e32 v50, 0x10001, v50
	v_cndmask_b32_e32 v51, 0, v51, vcc_lo
	v_cmp_nlt_f32_e32 vcc_lo, 0x42b17218, v46
	s_delay_alu instid0(VALU_DEP_3) | instskip(SKIP_1) | instid1(VALU_DEP_4)
	v_pk_mul_f16 v107, v172, v50
	v_sub_f32_e32 v50, v187, v10
	v_cndmask_b32_e32 v46, 0x7f800000, v51, vcc_lo
	v_mul_f32_e32 v51, 0x3fb8aa3b, v48
	v_cmp_ngt_f32_e32 vcc_lo, 0xc2ce8ed0, v48
	s_delay_alu instid0(VALU_DEP_2) | instskip(SKIP_1) | instid1(VALU_DEP_1)
	v_fma_f32 v56, 0x3fb8aa3b, v48, -v51
	v_rndne_f32_e32 v57, v51
	v_dual_fmac_f32 v56, 0x32a5705f, v48 :: v_dual_sub_f32 v51, v51, v57
	s_delay_alu instid0(VALU_DEP_1) | instskip(SKIP_1) | instid1(VALU_DEP_2)
	v_add_f32_e32 v51, v51, v56
	v_cvt_i32_f32_e32 v56, v57
	v_exp_f32_e32 v51, v51
	v_nop
	s_delay_alu instid0(TRANS32_DEP_1) | instskip(NEXT) | instid1(VALU_DEP_1)
	v_ldexp_f32 v51, v51, v56
	v_cndmask_b32_e32 v51, 0, v51, vcc_lo
	v_cmp_nlt_f32_e32 vcc_lo, 0x42b17218, v48
	s_delay_alu instid0(VALU_DEP_2) | instskip(SKIP_2) | instid1(VALU_DEP_2)
	v_cndmask_b32_e32 v48, 0x7f800000, v51, vcc_lo
	v_mul_f32_e32 v51, 0x3fb8aa3b, v50
	v_cmp_ngt_f32_e32 vcc_lo, 0xc2ce8ed0, v50
	v_fma_f32 v56, 0x3fb8aa3b, v50, -v51
	v_rndne_f32_e32 v57, v51
	s_delay_alu instid0(VALU_DEP_1) | instskip(NEXT) | instid1(VALU_DEP_1)
	v_dual_fmac_f32 v56, 0x32a5705f, v50 :: v_dual_sub_f32 v51, v51, v57
	v_add_f32_e32 v51, v51, v56
	v_cvt_i32_f32_e32 v56, v57
	s_delay_alu instid0(VALU_DEP_2) | instskip(SKIP_1) | instid1(TRANS32_DEP_1)
	v_exp_f32_e32 v51, v51
	v_nop
	v_ldexp_f32 v51, v51, v56
	v_mul_f32_e32 v56, 0x3fb8aa3b, v47
	s_delay_alu instid0(VALU_DEP_2) | instskip(SKIP_1) | instid1(VALU_DEP_3)
	v_cndmask_b32_e32 v51, 0, v51, vcc_lo
	v_cmp_nlt_f32_e32 vcc_lo, 0x42b17218, v50
	v_fma_f32 v57, 0x3fb8aa3b, v47, -v56
	v_rndne_f32_e32 v62, v56
	s_delay_alu instid0(VALU_DEP_4) | instskip(NEXT) | instid1(VALU_DEP_2)
	v_cndmask_b32_e32 v50, 0x7f800000, v51, vcc_lo
	v_dual_fmac_f32 v57, 0x32a5705f, v47 :: v_dual_sub_f32 v56, v56, v62
	v_cmp_ngt_f32_e32 vcc_lo, 0xc2ce8ed0, v47
	s_delay_alu instid0(VALU_DEP_3) | instskip(NEXT) | instid1(VALU_DEP_3)
	v_cvt_f16_f32_e32 v51, v50
	v_add_f32_e32 v56, v56, v57
	v_cvt_i32_f32_e32 v57, v62
	v_pk_add_f32 v[28:29], v[40:41], v[42:43]
	s_delay_alu instid0(VALU_DEP_4) | instskip(NEXT) | instid1(VALU_DEP_4)
	v_and_b32_e32 v51, 0xffff, v51
	v_exp_f32_e32 v56, v56
	s_delay_alu instid0(VALU_DEP_1) | instskip(NEXT) | instid1(TRANS32_DEP_1)
	v_mul_u32_u24_e32 v51, 0x10001, v51
	v_ldexp_f32 v56, v56, v57
	s_delay_alu instid0(VALU_DEP_2) | instskip(NEXT) | instid1(VALU_DEP_2)
	v_pk_mul_f16 v108, v171, v51
	v_dual_sub_f32 v51, v186, v11 :: v_dual_cndmask_b32 v56, 0, v56
	v_cmp_nlt_f32_e32 vcc_lo, 0x42b17218, v47
	s_delay_alu instid0(VALU_DEP_2) | instskip(SKIP_2) | instid1(VALU_DEP_2)
	v_cndmask_b32_e32 v47, 0x7f800000, v56, vcc_lo
	v_mul_f32_e32 v56, 0x3fb8aa3b, v49
	v_cmp_ngt_f32_e32 vcc_lo, 0xc2ce8ed0, v49
	v_fma_f32 v57, 0x3fb8aa3b, v49, -v56
	v_rndne_f32_e32 v62, v56
	s_delay_alu instid0(VALU_DEP_1) | instskip(NEXT) | instid1(VALU_DEP_1)
	v_dual_fmac_f32 v57, 0x32a5705f, v49 :: v_dual_sub_f32 v56, v56, v62
	v_add_f32_e32 v56, v56, v57
	v_cvt_i32_f32_e32 v57, v62
	v_pk_fma_f32 v[82:83], v[82:83], v[44:45], v[28:29]
	s_delay_alu instid0(VALU_DEP_3) | instskip(SKIP_1) | instid1(TRANS32_DEP_1)
	v_exp_f32_e32 v56, v56
	v_nop
	v_ldexp_f32 v56, v56, v57
	s_delay_alu instid0(VALU_DEP_1) | instskip(SKIP_1) | instid1(VALU_DEP_2)
	v_cndmask_b32_e32 v56, 0, v56, vcc_lo
	v_cmp_nlt_f32_e32 vcc_lo, 0x42b17218, v49
	v_cndmask_b32_e32 v49, 0x7f800000, v56, vcc_lo
	v_mul_f32_e32 v56, 0x3fb8aa3b, v51
	v_cmp_ngt_f32_e32 vcc_lo, 0xc2ce8ed0, v51
	s_delay_alu instid0(VALU_DEP_2) | instskip(SKIP_1) | instid1(VALU_DEP_1)
	v_fma_f32 v57, 0x3fb8aa3b, v51, -v56
	v_rndne_f32_e32 v62, v56
	v_dual_fmac_f32 v57, 0x32a5705f, v51 :: v_dual_sub_f32 v56, v56, v62
	v_cvt_pk_f16_f32 v17, v46, v47
	s_delay_alu instid0(VALU_DEP_2) | instskip(SKIP_2) | instid1(VALU_DEP_3)
	v_add_f32_e32 v56, v56, v57
	v_cvt_i32_f32_e32 v57, v62
	v_pk_add_f32 v[30:31], v[46:47], v[48:49]
	v_exp_f32_e32 v56, v56
	v_nop
	s_delay_alu instid0(TRANS32_DEP_1) | instskip(SKIP_1) | instid1(VALU_DEP_2)
	v_ldexp_f32 v56, v56, v57
	v_mul_f32_e32 v57, 0x3fb8aa3b, v52
	v_cndmask_b32_e32 v56, 0, v56, vcc_lo
	s_delay_alu instid0(VALU_DEP_2) | instskip(SKIP_2) | instid1(VALU_DEP_2)
	v_fma_f32 v62, 0x3fb8aa3b, v52, -v57
	v_rndne_f32_e32 v63, v57
	v_cmp_nlt_f32_e32 vcc_lo, 0x42b17218, v51
	v_dual_sub_f32 v57, v57, v63 :: v_dual_fmac_f32 v62, 0x32a5705f, v52
	v_cndmask_b32_e32 v51, 0x7f800000, v56, vcc_lo
	v_cmp_ngt_f32_e32 vcc_lo, 0xc2ce8ed0, v52
	s_delay_alu instid0(VALU_DEP_3) | instskip(NEXT) | instid1(VALU_DEP_3)
	v_add_f32_e32 v57, v57, v62
	v_cvt_f16_f32_e32 v56, v51
	v_cvt_i32_f32_e32 v62, v63
	s_delay_alu instid0(VALU_DEP_3) | instskip(NEXT) | instid1(VALU_DEP_2)
	v_exp_f32_e32 v57, v57
	v_and_b32_e32 v56, 0xffff, v56
	s_delay_alu instid0(VALU_DEP_1) | instskip(NEXT) | instid1(TRANS32_DEP_1)
	v_mul_u32_u24_e32 v56, 0x10001, v56
	v_ldexp_f32 v57, v57, v62
	s_delay_alu instid0(VALU_DEP_2) | instskip(NEXT) | instid1(VALU_DEP_2)
	v_pk_mul_f16 v110, v170, v56
	v_dual_sub_f32 v56, v185, v12 :: v_dual_cndmask_b32 v57, 0, v57
	v_cmp_nlt_f32_e32 vcc_lo, 0x42b17218, v52
	s_delay_alu instid0(VALU_DEP_2) | instskip(SKIP_2) | instid1(VALU_DEP_2)
	v_cndmask_b32_e32 v52, 0x7f800000, v57, vcc_lo
	v_mul_f32_e32 v57, 0x3fb8aa3b, v54
	v_cmp_ngt_f32_e32 vcc_lo, 0xc2ce8ed0, v54
	v_fma_f32 v62, 0x3fb8aa3b, v54, -v57
	v_rndne_f32_e32 v63, v57
	s_delay_alu instid0(VALU_DEP_1) | instskip(NEXT) | instid1(VALU_DEP_1)
	v_dual_fmac_f32 v62, 0x32a5705f, v54 :: v_dual_sub_f32 v57, v57, v63
	v_add_f32_e32 v57, v57, v62
	v_cvt_i32_f32_e32 v62, v63
	s_delay_alu instid0(VALU_DEP_2) | instskip(SKIP_1) | instid1(TRANS32_DEP_1)
	v_exp_f32_e32 v57, v57
	v_nop
	v_ldexp_f32 v57, v57, v62
	s_delay_alu instid0(VALU_DEP_1) | instskip(SKIP_1) | instid1(VALU_DEP_2)
	v_cndmask_b32_e32 v57, 0, v57, vcc_lo
	v_cmp_nlt_f32_e32 vcc_lo, 0x42b17218, v54
	v_cndmask_b32_e32 v54, 0x7f800000, v57, vcc_lo
	v_mul_f32_e32 v57, 0x3fb8aa3b, v56
	v_cmp_ngt_f32_e32 vcc_lo, 0xc2ce8ed0, v56
	s_delay_alu instid0(VALU_DEP_2) | instskip(SKIP_1) | instid1(VALU_DEP_1)
	v_fma_f32 v62, 0x3fb8aa3b, v56, -v57
	v_rndne_f32_e32 v63, v57
	v_dual_fmac_f32 v62, 0x32a5705f, v56 :: v_dual_sub_f32 v57, v57, v63
	s_delay_alu instid0(VALU_DEP_1) | instskip(SKIP_1) | instid1(VALU_DEP_2)
	v_add_f32_e32 v57, v57, v62
	v_cvt_i32_f32_e32 v62, v63
	v_exp_f32_e32 v57, v57
	v_nop
	s_delay_alu instid0(TRANS32_DEP_1) | instskip(SKIP_1) | instid1(VALU_DEP_2)
	v_ldexp_f32 v57, v57, v62
	v_mul_f32_e32 v62, 0x3fb8aa3b, v53
	v_cndmask_b32_e32 v57, 0, v57, vcc_lo
	s_delay_alu instid0(VALU_DEP_2) | instskip(SKIP_2) | instid1(VALU_DEP_3)
	v_fma_f32 v63, 0x3fb8aa3b, v53, -v62
	v_rndne_f32_e32 v109, v62
	v_cmp_nlt_f32_e32 vcc_lo, 0x42b17218, v56
	v_fmac_f32_e32 v63, 0x32a5705f, v53
	s_delay_alu instid0(VALU_DEP_3) | instskip(SKIP_3) | instid1(VALU_DEP_4)
	v_sub_f32_e32 v62, v62, v109
	v_cndmask_b32_e32 v56, 0x7f800000, v57, vcc_lo
	v_cmp_ngt_f32_e32 vcc_lo, 0xc2ce8ed0, v53
	v_pk_fma_f32 v[74:75], v[74:75], v[50:51], v[30:31]
	v_add_f32_e32 v62, v62, v63
	s_delay_alu instid0(VALU_DEP_4) | instskip(SKIP_1) | instid1(VALU_DEP_3)
	v_cvt_f16_f32_e32 v57, v56
	v_cvt_i32_f32_e32 v63, v109
	v_exp_f32_e32 v62, v62
	s_delay_alu instid0(VALU_DEP_2) | instskip(NEXT) | instid1(VALU_DEP_1)
	v_and_b32_e32 v57, 0xffff, v57
	v_mul_u32_u24_e32 v57, 0x10001, v57
	s_delay_alu instid0(TRANS32_DEP_1) | instskip(NEXT) | instid1(VALU_DEP_2)
	v_ldexp_f32 v62, v62, v63
	v_pk_mul_f16 v111, v169, v57
	s_delay_alu instid0(VALU_DEP_2) | instskip(SKIP_1) | instid1(VALU_DEP_2)
	v_dual_sub_f32 v57, v184, v13 :: v_dual_cndmask_b32 v62, 0, v62
	v_cmp_nlt_f32_e32 vcc_lo, 0x42b17218, v53
	v_cndmask_b32_e32 v53, 0x7f800000, v62, vcc_lo
	v_mul_f32_e32 v62, 0x3fb8aa3b, v55
	v_cmp_ngt_f32_e32 vcc_lo, 0xc2ce8ed0, v55
	s_delay_alu instid0(VALU_DEP_2) | instskip(SKIP_1) | instid1(VALU_DEP_1)
	v_fma_f32 v63, 0x3fb8aa3b, v55, -v62
	v_rndne_f32_e32 v109, v62
	v_dual_fmac_f32 v63, 0x32a5705f, v55 :: v_dual_sub_f32 v62, v62, v109
	v_cvt_pk_f16_f32 v18, v52, v53
	s_delay_alu instid0(VALU_DEP_2) | instskip(SKIP_1) | instid1(VALU_DEP_2)
	v_add_f32_e32 v62, v62, v63
	v_cvt_i32_f32_e32 v63, v109
	v_exp_f32_e32 v62, v62
	v_nop
	s_delay_alu instid0(TRANS32_DEP_1) | instskip(NEXT) | instid1(VALU_DEP_1)
	v_ldexp_f32 v62, v62, v63
	v_cndmask_b32_e32 v62, 0, v62, vcc_lo
	v_cmp_nlt_f32_e32 vcc_lo, 0x42b17218, v55
	s_delay_alu instid0(VALU_DEP_2) | instskip(SKIP_2) | instid1(VALU_DEP_2)
	v_cndmask_b32_e32 v55, 0x7f800000, v62, vcc_lo
	v_mul_f32_e32 v62, 0x3fb8aa3b, v57
	v_cmp_ngt_f32_e32 vcc_lo, 0xc2ce8ed0, v57
	v_fma_f32 v63, 0x3fb8aa3b, v57, -v62
	v_rndne_f32_e32 v109, v62
	s_delay_alu instid0(VALU_DEP_2) | instskip(NEXT) | instid1(VALU_DEP_2)
	v_fmac_f32_e32 v63, 0x32a5705f, v57
	v_sub_f32_e32 v62, v62, v109
	s_delay_alu instid0(VALU_DEP_1) | instskip(SKIP_2) | instid1(VALU_DEP_3)
	v_add_f32_e32 v62, v62, v63
	v_cvt_i32_f32_e32 v63, v109
	v_pk_add_f32 v[34:35], v[52:53], v[54:55]
	v_exp_f32_e32 v62, v62
	v_nop
	s_delay_alu instid0(TRANS32_DEP_1) | instskip(SKIP_1) | instid1(VALU_DEP_1)
	v_ldexp_f32 v62, v62, v63
	v_mul_f32_e32 v63, 0x3fb8aa3b, v58
	v_fma_f32 v109, 0x3fb8aa3b, v58, -v63
	v_rndne_f32_e32 v112, v63
	s_delay_alu instid0(VALU_DEP_2) | instskip(NEXT) | instid1(VALU_DEP_2)
	v_fmac_f32_e32 v109, 0x32a5705f, v58
	v_dual_sub_f32 v63, v63, v112 :: v_dual_cndmask_b32 v62, 0, v62
	v_cmp_nlt_f32_e32 vcc_lo, 0x42b17218, v57
	s_delay_alu instid0(VALU_DEP_2) | instskip(SKIP_1) | instid1(VALU_DEP_4)
	v_add_f32_e32 v63, v63, v109
	v_cvt_i32_f32_e32 v109, v112
	v_cndmask_b32_e32 v57, 0x7f800000, v62, vcc_lo
	v_cmp_ngt_f32_e32 vcc_lo, 0xc2ce8ed0, v58
	s_delay_alu instid0(VALU_DEP_4) | instskip(NEXT) | instid1(VALU_DEP_2)
	v_exp_f32_e32 v63, v63
	v_cvt_f16_f32_e32 v62, v57
	v_pk_fma_f32 v[72:73], v[72:73], v[56:57], v[34:35]
	s_delay_alu instid0(VALU_DEP_2) | instskip(NEXT) | instid1(TRANS32_DEP_1)
	v_and_b32_e32 v62, 0xffff, v62
	v_ldexp_f32 v63, v63, v109
	s_delay_alu instid0(VALU_DEP_2) | instskip(NEXT) | instid1(VALU_DEP_2)
	v_mul_u32_u24_e32 v62, 0x10001, v62
	v_cndmask_b32_e32 v63, 0, v63, vcc_lo
	v_cmp_nlt_f32_e32 vcc_lo, 0x42b17218, v58
	s_delay_alu instid0(VALU_DEP_3) | instskip(SKIP_1) | instid1(VALU_DEP_4)
	v_pk_mul_f16 v118, v168, v62
	v_sub_f32_e32 v62, v183, v14
	v_cndmask_b32_e32 v58, 0x7f800000, v63, vcc_lo
	v_mul_f32_e32 v63, 0x3fb8aa3b, v60
	v_cmp_ngt_f32_e32 vcc_lo, 0xc2ce8ed0, v60
	s_delay_alu instid0(VALU_DEP_2) | instskip(SKIP_1) | instid1(VALU_DEP_2)
	v_fma_f32 v109, 0x3fb8aa3b, v60, -v63
	v_rndne_f32_e32 v112, v63
	v_fmac_f32_e32 v109, 0x32a5705f, v60
	s_delay_alu instid0(VALU_DEP_2) | instskip(NEXT) | instid1(VALU_DEP_1)
	v_sub_f32_e32 v63, v63, v112
	v_add_f32_e32 v63, v63, v109
	v_cvt_i32_f32_e32 v109, v112
	s_delay_alu instid0(VALU_DEP_2) | instskip(SKIP_1) | instid1(TRANS32_DEP_1)
	v_exp_f32_e32 v63, v63
	v_nop
	v_ldexp_f32 v63, v63, v109
	s_delay_alu instid0(VALU_DEP_1) | instskip(SKIP_1) | instid1(VALU_DEP_2)
	v_cndmask_b32_e32 v63, 0, v63, vcc_lo
	v_cmp_nlt_f32_e32 vcc_lo, 0x42b17218, v60
	v_cndmask_b32_e32 v60, 0x7f800000, v63, vcc_lo
	v_mul_f32_e32 v63, 0x3fb8aa3b, v62
	v_cmp_ngt_f32_e32 vcc_lo, 0xc2ce8ed0, v62
	s_delay_alu instid0(VALU_DEP_2) | instskip(SKIP_1) | instid1(VALU_DEP_2)
	v_fma_f32 v109, 0x3fb8aa3b, v62, -v63
	v_rndne_f32_e32 v112, v63
	v_fmac_f32_e32 v109, 0x32a5705f, v62
	s_delay_alu instid0(VALU_DEP_2) | instskip(NEXT) | instid1(VALU_DEP_1)
	v_sub_f32_e32 v63, v63, v112
	v_add_f32_e32 v63, v63, v109
	v_cvt_i32_f32_e32 v109, v112
	s_delay_alu instid0(VALU_DEP_2) | instskip(SKIP_1) | instid1(TRANS32_DEP_1)
	v_exp_f32_e32 v63, v63
	v_nop
	v_ldexp_f32 v63, v63, v109
	v_mul_f32_e32 v109, 0x3fb8aa3b, v59
	s_delay_alu instid0(VALU_DEP_2) | instskip(NEXT) | instid1(VALU_DEP_2)
	v_cndmask_b32_e32 v63, 0, v63, vcc_lo
	v_fma_f32 v112, 0x3fb8aa3b, v59, -v109
	v_rndne_f32_e32 v113, v109
	v_cmp_nlt_f32_e32 vcc_lo, 0x42b17218, v62
	s_delay_alu instid0(VALU_DEP_2) | instskip(SKIP_2) | instid1(VALU_DEP_3)
	v_dual_fmac_f32 v112, 0x32a5705f, v59 :: v_dual_sub_f32 v109, v109, v113
	v_cndmask_b32_e32 v62, 0x7f800000, v63, vcc_lo
	v_cmp_ngt_f32_e32 vcc_lo, 0xc2ce8ed0, v59
	v_add_f32_e32 v109, v109, v112
	v_cvt_i32_f32_e32 v112, v113
	s_delay_alu instid0(VALU_DEP_2) | instskip(SKIP_1) | instid1(TRANS32_DEP_1)
	v_exp_f32_e32 v109, v109
	v_nop
	v_ldexp_f32 v109, v109, v112
	s_delay_alu instid0(VALU_DEP_1) | instskip(SKIP_1) | instid1(VALU_DEP_2)
	v_cndmask_b32_e32 v109, 0, v109, vcc_lo
	v_cmp_nlt_f32_e32 vcc_lo, 0x42b17218, v59
	v_cndmask_b32_e32 v59, 0x7f800000, v109, vcc_lo
	v_mul_f32_e32 v109, 0x3fb8aa3b, v61
	v_cmp_ngt_f32_e32 vcc_lo, 0xc2ce8ed0, v61
	s_delay_alu instid0(VALU_DEP_3) | instskip(NEXT) | instid1(VALU_DEP_3)
	v_cvt_pk_f16_f32 v19, v58, v59
	v_fma_f32 v112, 0x3fb8aa3b, v61, -v109
	v_rndne_f32_e32 v113, v109
	s_delay_alu instid0(VALU_DEP_2) | instskip(NEXT) | instid1(VALU_DEP_2)
	v_fmac_f32_e32 v112, 0x32a5705f, v61
	v_sub_f32_e32 v109, v109, v113
	s_delay_alu instid0(VALU_DEP_1) | instskip(SKIP_2) | instid1(VALU_DEP_3)
	v_add_f32_e32 v109, v109, v112
	v_cvt_f16_f32_e32 v63, v62
	v_cvt_i32_f32_e32 v112, v113
	v_exp_f32_e32 v109, v109
	s_delay_alu instid0(VALU_DEP_2) | instskip(NEXT) | instid1(VALU_DEP_1)
	v_and_b32_e32 v63, 0xffff, v63
	v_mul_u32_u24_e32 v63, 0x10001, v63
	s_delay_alu instid0(TRANS32_DEP_1) | instskip(NEXT) | instid1(VALU_DEP_2)
	v_ldexp_f32 v109, v109, v112
	v_pk_mul_f16 v167, v167, v63
	s_delay_alu instid0(VALU_DEP_2) | instskip(SKIP_1) | instid1(VALU_DEP_2)
	v_dual_sub_f32 v63, v182, v15 :: v_dual_cndmask_b32 v109, 0, v109, vcc_lo
	v_cmp_nlt_f32_e32 vcc_lo, 0x42b17218, v61
	v_cndmask_b32_e32 v61, 0x7f800000, v109, vcc_lo
	s_delay_alu instid0(VALU_DEP_3) | instskip(SKIP_1) | instid1(VALU_DEP_3)
	v_mul_f32_e32 v109, 0x3fb8aa3b, v63
	v_cmp_ngt_f32_e32 vcc_lo, 0xc2ce8ed0, v63
	v_pk_add_f32 v[36:37], v[58:59], v[60:61]
	s_delay_alu instid0(VALU_DEP_3) | instskip(SKIP_1) | instid1(VALU_DEP_1)
	v_fma_f32 v112, 0x3fb8aa3b, v63, -v109
	v_rndne_f32_e32 v113, v109
	v_dual_fmac_f32 v112, 0x32a5705f, v63 :: v_dual_sub_f32 v109, v109, v113
	s_delay_alu instid0(VALU_DEP_1) | instskip(SKIP_1) | instid1(VALU_DEP_2)
	v_add_f32_e32 v109, v109, v112
	v_cvt_i32_f32_e32 v112, v113
	v_exp_f32_e32 v109, v109
	v_nop
	s_delay_alu instid0(TRANS32_DEP_1) | instskip(NEXT) | instid1(VALU_DEP_1)
	v_ldexp_f32 v109, v109, v112
	v_cndmask_b32_e32 v109, 0, v109, vcc_lo
	v_cmp_nlt_f32_e32 vcc_lo, 0x42b17218, v63
	s_delay_alu instid0(VALU_DEP_2) | instskip(NEXT) | instid1(VALU_DEP_1)
	v_cndmask_b32_e32 v63, 0x7f800000, v109, vcc_lo
	v_cvt_f16_f32_e32 v16, v63
	v_pk_fma_f32 v[76:77], v[76:77], v[62:63], v[36:37]
	s_delay_alu instid0(VALU_DEP_2) | instskip(NEXT) | instid1(VALU_DEP_1)
	v_and_b32_e32 v16, 0xffff, v16
	v_mul_u32_u24_e32 v16, 0x10001, v16
	s_delay_alu instid0(VALU_DEP_1)
	v_pk_mul_f16 v26, v166, v16
	v_cvt_pk_f16_f32 v16, v40, v41
	ds_store_b128 v149, v[16:19] offset:1024
	v_cvt_pk_f16_f32 v19, v60, v61
	v_cvt_pk_f16_f32 v18, v54, v55
	v_cvt_pk_f16_f32 v17, v48, v49
	v_cvt_pk_f16_f32 v16, v42, v43
	ds_store_b128 v149, v[16:19] offset:1536
	v_lshl_add_u64 v[18:19], v[96:97], 2, s[20:21]
	v_lshl_add_u64 v[16:17], v[92:93], 2, s[20:21]
	s_delay_alu instid0(VALU_DEP_2) | instskip(SKIP_1) | instid1(VALU_DEP_3)
	v_add_nc_u64_e32 v[24:25], v[18:19], v[88:89]
	v_lshl_add_u64 v[18:19], v[100:101], 2, s[20:21]
	v_add_nc_u64_e32 v[16:17], v[16:17], v[88:89]
	s_delay_alu instid0(VALU_DEP_2) | instskip(SKIP_1) | instid1(VALU_DEP_1)
	v_add_nc_u64_e32 v[22:23], v[18:19], v[88:89]
	v_lshl_add_u64 v[18:19], v[104:105], 2, s[20:21]
	v_add_nc_u64_e32 v[20:21], v[18:19], v[88:89]
	global_load_b128 v[16:19], v[16:17], off
	s_wait_loadcnt 0x0
	ds_store_b128 v158, v[16:19]
	global_load_b128 v[16:19], v[24:25], off
	s_wait_xcnt 0x0
	v_add_nc_u32_e32 v24, 0x800, v158
	s_wait_loadcnt 0x0
	ds_store_b128 v24, v[16:19]
	global_load_b128 v[16:19], v[22:23], off
	s_wait_xcnt 0x0
	v_add_nc_u32_e32 v22, 0x1000, v158
	;; [unrolled: 5-line block ×3, first 2 shown]
	s_wait_loadcnt 0x0
	ds_store_b128 v20, v[16:19]
	s_wait_dscnt 0x0
	s_barrier_signal -1
	s_barrier_wait -1
	ds_load_2addr_b32 v[24:25], v144 offset1:32
	ds_load_b128 v[28:31], v147
	ds_load_b128 v[32:35], v147 offset:16
	ds_load_b128 v[20:23], v147 offset:32
	;; [unrolled: 1-line block ×3, first 2 shown]
	s_wait_dscnt 0x3
	v_dual_lshrrev_b32 v27, 16, v28 :: v_dual_lshrrev_b32 v37, 16, v30
	v_and_b32_e32 v28, 0xffff, v28
	v_dual_lshrrev_b32 v36, 16, v29 :: v_dual_lshrrev_b32 v38, 16, v31
	s_delay_alu instid0(VALU_DEP_3) | instskip(NEXT) | instid1(VALU_DEP_4)
	v_mul_u32_u24_e32 v27, 0x10001, v27
	v_mul_u32_u24_e32 v37, 0x10001, v37
	s_delay_alu instid0(VALU_DEP_4)
	v_mul_u32_u24_e32 v39, 0x10001, v28
	v_and_b32_e32 v28, 0xffff, v29
	v_mul_u32_u24_e32 v36, 0x10001, v36
	v_mul_u32_u24_e32 v38, 0x10001, v38
	v_pk_fma_f16 v47, v24, v27, v65
	v_pk_fma_f16 v39, v24, v39, v64
	v_mul_u32_u24_e32 v40, 0x10001, v28
	v_and_b32_e32 v28, 0xffff, v30
	v_pk_fma_f16 v36, v24, v36, v67
	v_pk_fma_f16 v37, v24, v37, v69
	;; [unrolled: 1-line block ×4, first 2 shown]
	v_mul_u32_u24_e32 v41, 0x10001, v28
	v_and_b32_e32 v28, 0xffff, v31
	s_wait_dscnt 0x2
	v_lshrrev_b32_e32 v27, 16, v33
	s_delay_alu instid0(VALU_DEP_3) | instskip(NEXT) | instid1(VALU_DEP_3)
	v_pk_fma_f16 v41, v24, v41, v68
	v_mul_u32_u24_e32 v42, 0x10001, v28
	ds_load_b128 v[28:31], v147 offset:1024
	v_pk_fma_f16 v42, v24, v42, v70
	s_wait_dscnt 0x0
	v_dual_lshrrev_b32 v43, 16, v28 :: v_dual_lshrrev_b32 v45, 16, v30
	v_dual_lshrrev_b32 v44, 16, v29 :: v_dual_lshrrev_b32 v46, 16, v31
	v_and_b32_e32 v28, 0xffff, v28
	v_and_b32_e32 v29, 0xffff, v29
	;; [unrolled: 1-line block ×4, first 2 shown]
	v_mul_u32_u24_e32 v43, 0x10001, v43
	v_mul_u32_u24_e32 v28, 0x10001, v28
	;; [unrolled: 1-line block ×8, first 2 shown]
	v_pk_fma_f16 v48, v24, v28, v106
	v_pk_fma_f16 v43, v24, v43, v107
	;; [unrolled: 1-line block ×8, first 2 shown]
	v_dual_lshrrev_b32 v26, 16, v32 :: v_dual_lshrrev_b32 v28, 16, v34
	v_lshrrev_b32_e32 v29, 16, v35
	v_mul_u32_u24_e32 v50, 0x10001, v27
	v_and_b32_e32 v32, 0xffff, v32
	s_delay_alu instid0(VALU_DEP_4)
	v_mul_u32_u24_e32 v46, 0x10001, v26
	v_and_b32_e32 v26, 0xffff, v33
	v_mul_u32_u24_e32 v51, 0x10001, v28
	v_mul_u32_u24_e32 v52, 0x10001, v29
	;; [unrolled: 1-line block ×3, first 2 shown]
	v_pk_fma_f16 v36, v25, v50, v36
	v_mul_u32_u24_e32 v33, 0x10001, v26
	v_and_b32_e32 v26, 0xffff, v34
	v_pk_fma_f16 v37, v25, v51, v37
	v_pk_fma_f16 v32, v25, v32, v39
	;; [unrolled: 1-line block ×4, first 2 shown]
	v_mul_u32_u24_e32 v34, 0x10001, v26
	v_and_b32_e32 v26, 0xffff, v35
	v_pk_fma_f16 v38, v25, v52, v38
	s_delay_alu instid0(VALU_DEP_3) | instskip(NEXT) | instid1(VALU_DEP_3)
	v_pk_fma_f16 v34, v25, v34, v41
	v_mul_u32_u24_e32 v35, 0x10001, v26
	ds_load_b128 v[26:29], v147 offset:1040
	v_pk_fma_f16 v35, v25, v35, v42
	v_lshrrev_b32_e32 v42, 16, v20
	v_and_b32_e32 v20, 0xffff, v20
	s_delay_alu instid0(VALU_DEP_2) | instskip(NEXT) | instid1(VALU_DEP_2)
	v_mul_u32_u24_e32 v42, 0x10001, v42
	v_mul_u32_u24_e32 v46, 0x10001, v20
	v_and_b32_e32 v20, 0xffff, v21
	s_delay_alu instid0(VALU_DEP_1)
	v_mul_u32_u24_e32 v47, 0x10001, v20
	v_and_b32_e32 v20, 0xffff, v22
	s_wait_dscnt 0x0
	v_dual_lshrrev_b32 v53, 16, v26 :: v_dual_lshrrev_b32 v55, 16, v28
	v_and_b32_e32 v26, 0xffff, v26
	v_lshrrev_b32_e32 v54, 16, v27
	v_and_b32_e32 v27, 0xffff, v27
	v_and_b32_e32 v28, 0xffff, v28
	v_mul_u32_u24_e32 v53, 0x10001, v53
	v_mul_u32_u24_e32 v26, 0x10001, v26
	;; [unrolled: 1-line block ×6, first 2 shown]
	v_pk_fma_f16 v26, v25, v26, v48
	v_mul_u32_u24_e32 v48, 0x10001, v20
	v_and_b32_e32 v20, 0xffff, v23
	v_lshrrev_b32_e32 v56, 16, v29
	v_and_b32_e32 v29, 0xffff, v29
	v_pk_fma_f16 v40, v25, v53, v43
	v_pk_fma_f16 v27, v25, v27, v49
	;; [unrolled: 1-line block ×5, first 2 shown]
	v_dual_lshrrev_b32 v43, 16, v21 :: v_dual_lshrrev_b32 v44, 16, v22
	v_lshrrev_b32_e32 v45, 16, v23
	v_mul_u32_u24_e32 v49, 0x10001, v20
	ds_load_b128 v[20:23], v147 offset:1056
	v_mul_u32_u24_e32 v29, 0x10001, v29
	v_mul_u32_u24_e32 v56, 0x10001, v56
	;; [unrolled: 1-line block ×4, first 2 shown]
	s_delay_alu instid0(VALU_DEP_4) | instskip(NEXT) | instid1(VALU_DEP_4)
	v_pk_fma_f16 v29, v25, v29, v31
	v_pk_fma_f16 v31, v25, v56, v24
	ds_load_2addr_b32 v[24:25], v144 offset0:64 offset1:96
	s_wait_dscnt 0x1
	v_lshrrev_b32_e32 v53, 16, v23
	v_and_b32_e32 v23, 0xffff, v23
	v_dual_lshrrev_b32 v51, 16, v21 :: v_dual_lshrrev_b32 v52, 16, v22
	v_and_b32_e32 v21, 0xffff, v21
	v_lshrrev_b32_e32 v50, 16, v20
	s_delay_alu instid0(VALU_DEP_4) | instskip(NEXT) | instid1(VALU_DEP_4)
	v_mul_u32_u24_e32 v23, 0x10001, v23
	v_mul_u32_u24_e32 v51, 0x10001, v51
	v_and_b32_e32 v20, 0xffff, v20
	v_mul_u32_u24_e32 v21, 0x10001, v21
	v_and_b32_e32 v22, 0xffff, v22
	s_wait_dscnt 0x0
	v_pk_fma_f16 v23, v24, v23, v29
	v_lshrrev_b32_e32 v29, 16, v16
	v_and_b32_e32 v16, 0xffff, v16
	v_pk_fma_f16 v21, v24, v21, v27
	v_pk_fma_f16 v27, v24, v51, v41
	;; [unrolled: 1-line block ×3, first 2 shown]
	v_mul_u32_u24_e32 v45, 0x10001, v45
	v_mul_u32_u24_e32 v41, 0x10001, v16
	v_and_b32_e32 v16, 0xffff, v17
	v_mul_u32_u24_e32 v20, 0x10001, v20
	v_mul_u32_u24_e32 v50, 0x10001, v50
	;; [unrolled: 1-line block ×5, first 2 shown]
	v_and_b32_e32 v16, 0xffff, v18
	v_mul_u32_u24_e32 v53, 0x10001, v53
	v_pk_fma_f16 v36, v24, v43, v36
	v_pk_fma_f16 v32, v24, v46, v32
	;; [unrolled: 1-line block ×3, first 2 shown]
	v_mul_u32_u24_e32 v43, 0x10001, v16
	v_and_b32_e32 v16, 0xffff, v19
	v_pk_fma_f16 v34, v24, v48, v34
	v_pk_fma_f16 v37, v24, v44, v37
	;; [unrolled: 1-line block ×9, first 2 shown]
	v_dual_lshrrev_b32 v30, 16, v17 :: v_dual_lshrrev_b32 v31, 16, v18
	v_lshrrev_b32_e32 v40, 16, v19
	v_mul_u32_u24_e32 v44, 0x10001, v16
	ds_load_b128 v[16:19], v147 offset:1072
	v_mul_u32_u24_e32 v30, 0x10001, v30
	v_mul_u32_u24_e32 v31, 0x10001, v31
	;; [unrolled: 1-line block ×3, first 2 shown]
	v_pk_fma_f16 v32, v25, v41, v32
	v_pk_fma_f16 v33, v25, v42, v33
	;; [unrolled: 1-line block ×7, first 2 shown]
	s_wait_dscnt 0x0
	v_dual_lshrrev_b32 v45, 16, v16 :: v_dual_lshrrev_b32 v46, 16, v17
	v_dual_lshrrev_b32 v47, 16, v18 :: v_dual_lshrrev_b32 v48, 16, v19
	v_and_b32_e32 v16, 0xffff, v16
	v_and_b32_e32 v17, 0xffff, v17
	v_and_b32_e32 v18, 0xffff, v18
	v_and_b32_e32 v19, 0xffff, v19
	v_mul_u32_u24_e32 v40, 0x10001, v40
	v_mul_u32_u24_e32 v16, 0x10001, v16
	;; [unrolled: 1-line block ×5, first 2 shown]
	v_pk_fma_f16 v36, v25, v40, v38
	v_pk_fma_f16 v37, v25, v16, v20
	;; [unrolled: 1-line block ×5, first 2 shown]
	ds_load_2addr_b32 v[16:17], v144 offset0:128 offset1:160
	ds_load_b128 v[18:21], v147 offset:64
	v_mul_u32_u24_e32 v45, 0x10001, v45
	v_mul_u32_u24_e32 v46, 0x10001, v46
	;; [unrolled: 1-line block ×4, first 2 shown]
	s_delay_alu instid0(VALU_DEP_4) | instskip(NEXT) | instid1(VALU_DEP_4)
	v_pk_fma_f16 v26, v25, v45, v26
	v_pk_fma_f16 v27, v25, v46, v27
	s_delay_alu instid0(VALU_DEP_4) | instskip(NEXT) | instid1(VALU_DEP_4)
	v_pk_fma_f16 v28, v25, v47, v28
	v_pk_fma_f16 v24, v25, v48, v24
	s_wait_dscnt 0x0
	v_lshrrev_b32_e32 v25, 16, v18
	v_and_b32_e32 v18, 0xffff, v18
	v_dual_lshrrev_b32 v39, 16, v19 :: v_dual_lshrrev_b32 v40, 16, v20
	v_lshrrev_b32_e32 v41, 16, v21
	s_delay_alu instid0(VALU_DEP_4) | instskip(NEXT) | instid1(VALU_DEP_4)
	v_mul_u32_u24_e32 v25, 0x10001, v25
	v_mul_u32_u24_e32 v42, 0x10001, v18
	v_and_b32_e32 v18, 0xffff, v19
	v_mul_u32_u24_e32 v39, 0x10001, v39
	v_mul_u32_u24_e32 v40, 0x10001, v40
	v_pk_fma_f16 v25, v16, v25, v29
	v_pk_fma_f16 v32, v16, v42, v32
	v_mul_u32_u24_e32 v43, 0x10001, v18
	v_and_b32_e32 v18, 0xffff, v20
	v_pk_fma_f16 v30, v16, v39, v30
	v_pk_fma_f16 v31, v16, v40, v31
	s_delay_alu instid0(VALU_DEP_4) | instskip(NEXT) | instid1(VALU_DEP_4)
	v_pk_fma_f16 v29, v16, v43, v33
	v_mul_u32_u24_e32 v44, 0x10001, v18
	v_and_b32_e32 v18, 0xffff, v21
	s_delay_alu instid0(VALU_DEP_2) | instskip(NEXT) | instid1(VALU_DEP_2)
	v_pk_fma_f16 v33, v16, v44, v34
	v_mul_u32_u24_e32 v45, 0x10001, v18
	ds_load_b128 v[18:21], v147 offset:1088
	v_pk_fma_f16 v34, v16, v45, v35
	s_wait_dscnt 0x0
	v_dual_lshrrev_b32 v46, 16, v18 :: v_dual_lshrrev_b32 v47, 16, v19
	v_dual_lshrrev_b32 v48, 16, v20 :: v_dual_lshrrev_b32 v49, 16, v21
	v_and_b32_e32 v18, 0xffff, v18
	v_and_b32_e32 v19, 0xffff, v19
	;; [unrolled: 1-line block ×4, first 2 shown]
	v_mul_u32_u24_e32 v41, 0x10001, v41
	v_mul_u32_u24_e32 v18, 0x10001, v18
	;; [unrolled: 1-line block ×5, first 2 shown]
	v_pk_fma_f16 v35, v16, v41, v36
	v_pk_fma_f16 v36, v16, v18, v37
	;; [unrolled: 1-line block ×5, first 2 shown]
	ds_load_b128 v[18:21], v147 offset:80
	v_mul_u32_u24_e32 v46, 0x10001, v46
	v_mul_u32_u24_e32 v47, 0x10001, v47
	;; [unrolled: 1-line block ×4, first 2 shown]
	s_delay_alu instid0(VALU_DEP_4) | instskip(NEXT) | instid1(VALU_DEP_4)
	v_pk_fma_f16 v26, v16, v46, v26
	v_pk_fma_f16 v27, v16, v47, v27
	s_delay_alu instid0(VALU_DEP_4) | instskip(NEXT) | instid1(VALU_DEP_4)
	v_pk_fma_f16 v28, v16, v48, v28
	v_pk_fma_f16 v16, v16, v49, v24
	s_wait_dscnt 0x0
	v_lshrrev_b32_e32 v24, 16, v18
	v_and_b32_e32 v18, 0xffff, v18
	v_dual_lshrrev_b32 v38, 16, v19 :: v_dual_lshrrev_b32 v39, 16, v20
	v_lshrrev_b32_e32 v40, 16, v21
	s_delay_alu instid0(VALU_DEP_4) | instskip(NEXT) | instid1(VALU_DEP_4)
	v_mul_u32_u24_e32 v24, 0x10001, v24
	v_mul_u32_u24_e32 v41, 0x10001, v18
	v_and_b32_e32 v18, 0xffff, v19
	v_mul_u32_u24_e32 v38, 0x10001, v38
	v_mul_u32_u24_e32 v39, 0x10001, v39
	v_pk_fma_f16 v24, v17, v24, v25
	v_pk_fma_f16 v32, v17, v41, v32
	v_mul_u32_u24_e32 v42, 0x10001, v18
	v_and_b32_e32 v18, 0xffff, v20
	v_pk_fma_f16 v31, v17, v39, v31
	s_delay_alu instid0(VALU_DEP_3) | instskip(NEXT) | instid1(VALU_DEP_3)
	v_pk_fma_f16 v25, v17, v42, v29
	v_mul_u32_u24_e32 v43, 0x10001, v18
	v_and_b32_e32 v18, 0xffff, v21
	v_pk_fma_f16 v29, v17, v38, v30
	s_delay_alu instid0(VALU_DEP_3) | instskip(NEXT) | instid1(VALU_DEP_3)
	v_pk_fma_f16 v30, v17, v43, v33
	v_mul_u32_u24_e32 v44, 0x10001, v18
	ds_load_b128 v[18:21], v147 offset:1104
	v_pk_fma_f16 v33, v17, v44, v34
	s_wait_dscnt 0x0
	v_dual_lshrrev_b32 v45, 16, v18 :: v_dual_lshrrev_b32 v46, 16, v19
	v_dual_lshrrev_b32 v47, 16, v20 :: v_dual_lshrrev_b32 v48, 16, v21
	v_and_b32_e32 v18, 0xffff, v18
	v_and_b32_e32 v19, 0xffff, v19
	;; [unrolled: 1-line block ×4, first 2 shown]
	v_mul_u32_u24_e32 v40, 0x10001, v40
	v_mul_u32_u24_e32 v18, 0x10001, v18
	;; [unrolled: 1-line block ×9, first 2 shown]
	v_pk_fma_f16 v34, v17, v40, v35
	v_pk_fma_f16 v35, v17, v18, v36
	;; [unrolled: 1-line block ×9, first 2 shown]
	ds_load_2addr_b32 v[16:17], v144 offset0:192 offset1:224
	ds_load_b128 v[18:21], v147 offset:96
	s_wait_dscnt 0x0
	v_lshrrev_b32_e32 v38, 16, v18
	v_and_b32_e32 v18, 0xffff, v18
	v_dual_lshrrev_b32 v39, 16, v19 :: v_dual_lshrrev_b32 v40, 16, v20
	v_lshrrev_b32_e32 v41, 16, v21
	s_delay_alu instid0(VALU_DEP_4) | instskip(NEXT) | instid1(VALU_DEP_4)
	v_mul_u32_u24_e32 v38, 0x10001, v38
	v_mul_u32_u24_e32 v42, 0x10001, v18
	v_and_b32_e32 v18, 0xffff, v19
	v_mul_u32_u24_e32 v39, 0x10001, v39
	v_mul_u32_u24_e32 v40, 0x10001, v40
	v_pk_fma_f16 v24, v16, v38, v24
	v_pk_fma_f16 v32, v16, v42, v32
	v_mul_u32_u24_e32 v43, 0x10001, v18
	v_and_b32_e32 v18, 0xffff, v20
	v_pk_fma_f16 v29, v16, v39, v29
	v_pk_fma_f16 v31, v16, v40, v31
	s_delay_alu instid0(VALU_DEP_4) | instskip(NEXT) | instid1(VALU_DEP_4)
	v_pk_fma_f16 v25, v16, v43, v25
	v_mul_u32_u24_e32 v44, 0x10001, v18
	v_and_b32_e32 v18, 0xffff, v21
	s_delay_alu instid0(VALU_DEP_2) | instskip(NEXT) | instid1(VALU_DEP_2)
	v_pk_fma_f16 v30, v16, v44, v30
	v_mul_u32_u24_e32 v45, 0x10001, v18
	ds_load_b128 v[18:21], v147 offset:1120
	v_pk_fma_f16 v33, v16, v45, v33
	s_wait_dscnt 0x0
	v_dual_lshrrev_b32 v46, 16, v18 :: v_dual_lshrrev_b32 v47, 16, v19
	v_dual_lshrrev_b32 v48, 16, v20 :: v_dual_lshrrev_b32 v49, 16, v21
	v_and_b32_e32 v18, 0xffff, v18
	v_and_b32_e32 v19, 0xffff, v19
	;; [unrolled: 1-line block ×4, first 2 shown]
	v_mul_u32_u24_e32 v41, 0x10001, v41
	v_mul_u32_u24_e32 v18, 0x10001, v18
	;; [unrolled: 1-line block ×6, first 2 shown]
	v_pk_fma_f16 v35, v16, v18, v35
	v_pk_fma_f16 v36, v16, v19, v36
	;; [unrolled: 1-line block ×4, first 2 shown]
	ds_load_b128 v[18:21], v147 offset:112
	v_mul_u32_u24_e32 v47, 0x10001, v47
	v_mul_u32_u24_e32 v48, 0x10001, v48
	;; [unrolled: 1-line block ×3, first 2 shown]
	v_pk_fma_f16 v34, v16, v41, v34
	v_pk_fma_f16 v26, v16, v46, v26
	;; [unrolled: 1-line block ×5, first 2 shown]
	s_wait_dscnt 0x0
	v_lshrrev_b32_e32 v37, 16, v18
	v_and_b32_e32 v18, 0xffff, v18
	v_dual_lshrrev_b32 v38, 16, v19 :: v_dual_lshrrev_b32 v39, 16, v20
	v_lshrrev_b32_e32 v40, 16, v21
	s_delay_alu instid0(VALU_DEP_4) | instskip(NEXT) | instid1(VALU_DEP_4)
	v_mul_u32_u24_e32 v37, 0x10001, v37
	v_mul_u32_u24_e32 v41, 0x10001, v18
	v_and_b32_e32 v18, 0xffff, v19
	v_mul_u32_u24_e32 v38, 0x10001, v38
	v_mul_u32_u24_e32 v39, 0x10001, v39
	v_pk_fma_f16 v24, v17, v37, v24
	v_pk_fma_f16 v32, v17, v41, v32
	v_mul_u32_u24_e32 v42, 0x10001, v18
	v_and_b32_e32 v18, 0xffff, v20
	v_pk_fma_f16 v29, v17, v38, v29
	v_pk_fma_f16 v31, v17, v39, v31
	s_delay_alu instid0(VALU_DEP_4) | instskip(NEXT) | instid1(VALU_DEP_4)
	v_pk_fma_f16 v25, v17, v42, v25
	v_mul_u32_u24_e32 v43, 0x10001, v18
	v_and_b32_e32 v18, 0xffff, v21
	s_delay_alu instid0(VALU_DEP_2) | instskip(NEXT) | instid1(VALU_DEP_2)
	v_pk_fma_f16 v30, v17, v43, v30
	v_mul_u32_u24_e32 v44, 0x10001, v18
	ds_load_b128 v[18:21], v147 offset:1136
	v_pk_fma_f16 v33, v17, v44, v33
	s_wait_dscnt 0x0
	v_dual_lshrrev_b32 v45, 16, v18 :: v_dual_lshrrev_b32 v46, 16, v19
	v_dual_lshrrev_b32 v47, 16, v20 :: v_dual_lshrrev_b32 v48, 16, v21
	v_and_b32_e32 v18, 0xffff, v18
	v_and_b32_e32 v19, 0xffff, v19
	;; [unrolled: 1-line block ×4, first 2 shown]
	v_mul_u32_u24_e32 v40, 0x10001, v40
	v_mul_u32_u24_e32 v18, 0x10001, v18
	;; [unrolled: 1-line block ×9, first 2 shown]
	v_pk_fma_f16 v34, v17, v40, v34
	v_pk_fma_f16 v35, v17, v18, v35
	;; [unrolled: 1-line block ×9, first 2 shown]
	ds_load_2addr_b32 v[16:17], v150 offset1:32
	ds_load_b128 v[18:21], v147 offset:128
	s_wait_dscnt 0x0
	v_lshrrev_b32_e32 v38, 16, v18
	v_and_b32_e32 v18, 0xffff, v18
	v_dual_lshrrev_b32 v39, 16, v19 :: v_dual_lshrrev_b32 v40, 16, v20
	v_lshrrev_b32_e32 v41, 16, v21
	s_delay_alu instid0(VALU_DEP_4) | instskip(NEXT) | instid1(VALU_DEP_4)
	v_mul_u32_u24_e32 v38, 0x10001, v38
	v_mul_u32_u24_e32 v42, 0x10001, v18
	v_and_b32_e32 v18, 0xffff, v19
	v_mul_u32_u24_e32 v39, 0x10001, v39
	v_mul_u32_u24_e32 v40, 0x10001, v40
	v_pk_fma_f16 v24, v16, v38, v24
	v_pk_fma_f16 v32, v16, v42, v32
	v_mul_u32_u24_e32 v43, 0x10001, v18
	v_and_b32_e32 v18, 0xffff, v20
	v_pk_fma_f16 v29, v16, v39, v29
	v_pk_fma_f16 v31, v16, v40, v31
	s_delay_alu instid0(VALU_DEP_4) | instskip(NEXT) | instid1(VALU_DEP_4)
	v_pk_fma_f16 v25, v16, v43, v25
	v_mul_u32_u24_e32 v44, 0x10001, v18
	v_and_b32_e32 v18, 0xffff, v21
	s_delay_alu instid0(VALU_DEP_2) | instskip(NEXT) | instid1(VALU_DEP_2)
	v_pk_fma_f16 v30, v16, v44, v30
	v_mul_u32_u24_e32 v45, 0x10001, v18
	ds_load_b128 v[18:21], v147 offset:1152
	v_pk_fma_f16 v33, v16, v45, v33
	s_wait_dscnt 0x0
	v_dual_lshrrev_b32 v46, 16, v18 :: v_dual_lshrrev_b32 v47, 16, v19
	v_dual_lshrrev_b32 v48, 16, v20 :: v_dual_lshrrev_b32 v49, 16, v21
	v_and_b32_e32 v18, 0xffff, v18
	v_and_b32_e32 v19, 0xffff, v19
	;; [unrolled: 1-line block ×4, first 2 shown]
	v_mul_u32_u24_e32 v41, 0x10001, v41
	v_mul_u32_u24_e32 v18, 0x10001, v18
	;; [unrolled: 1-line block ×6, first 2 shown]
	v_pk_fma_f16 v35, v16, v18, v35
	v_pk_fma_f16 v36, v16, v19, v36
	;; [unrolled: 1-line block ×4, first 2 shown]
	ds_load_b128 v[18:21], v147 offset:144
	v_mul_u32_u24_e32 v47, 0x10001, v47
	v_mul_u32_u24_e32 v48, 0x10001, v48
	;; [unrolled: 1-line block ×3, first 2 shown]
	v_pk_fma_f16 v34, v16, v41, v34
	v_pk_fma_f16 v26, v16, v46, v26
	;; [unrolled: 1-line block ×5, first 2 shown]
	s_wait_dscnt 0x0
	v_lshrrev_b32_e32 v37, 16, v18
	v_and_b32_e32 v18, 0xffff, v18
	v_dual_lshrrev_b32 v38, 16, v19 :: v_dual_lshrrev_b32 v39, 16, v20
	v_lshrrev_b32_e32 v40, 16, v21
	s_delay_alu instid0(VALU_DEP_4) | instskip(NEXT) | instid1(VALU_DEP_4)
	v_mul_u32_u24_e32 v37, 0x10001, v37
	v_mul_u32_u24_e32 v41, 0x10001, v18
	v_and_b32_e32 v18, 0xffff, v19
	v_mul_u32_u24_e32 v38, 0x10001, v38
	v_mul_u32_u24_e32 v39, 0x10001, v39
	v_pk_fma_f16 v24, v17, v37, v24
	v_pk_fma_f16 v32, v17, v41, v32
	v_mul_u32_u24_e32 v42, 0x10001, v18
	v_and_b32_e32 v18, 0xffff, v20
	v_pk_fma_f16 v29, v17, v38, v29
	v_pk_fma_f16 v31, v17, v39, v31
	s_delay_alu instid0(VALU_DEP_4) | instskip(NEXT) | instid1(VALU_DEP_4)
	v_pk_fma_f16 v25, v17, v42, v25
	v_mul_u32_u24_e32 v43, 0x10001, v18
	v_and_b32_e32 v18, 0xffff, v21
	s_delay_alu instid0(VALU_DEP_2) | instskip(NEXT) | instid1(VALU_DEP_2)
	v_pk_fma_f16 v30, v17, v43, v30
	v_mul_u32_u24_e32 v44, 0x10001, v18
	ds_load_b128 v[18:21], v147 offset:1168
	v_pk_fma_f16 v33, v17, v44, v33
	s_wait_dscnt 0x0
	v_dual_lshrrev_b32 v45, 16, v18 :: v_dual_lshrrev_b32 v46, 16, v19
	v_dual_lshrrev_b32 v47, 16, v20 :: v_dual_lshrrev_b32 v48, 16, v21
	v_and_b32_e32 v18, 0xffff, v18
	v_and_b32_e32 v19, 0xffff, v19
	;; [unrolled: 1-line block ×4, first 2 shown]
	v_mul_u32_u24_e32 v40, 0x10001, v40
	v_mul_u32_u24_e32 v18, 0x10001, v18
	;; [unrolled: 1-line block ×9, first 2 shown]
	v_pk_fma_f16 v34, v17, v40, v34
	v_pk_fma_f16 v35, v17, v18, v35
	;; [unrolled: 1-line block ×9, first 2 shown]
	ds_load_2addr_b32 v[16:17], v150 offset0:64 offset1:96
	ds_load_b128 v[18:21], v147 offset:160
	s_wait_dscnt 0x0
	v_lshrrev_b32_e32 v38, 16, v18
	v_and_b32_e32 v18, 0xffff, v18
	v_dual_lshrrev_b32 v39, 16, v19 :: v_dual_lshrrev_b32 v40, 16, v20
	v_lshrrev_b32_e32 v41, 16, v21
	s_delay_alu instid0(VALU_DEP_4) | instskip(NEXT) | instid1(VALU_DEP_4)
	v_mul_u32_u24_e32 v38, 0x10001, v38
	v_mul_u32_u24_e32 v42, 0x10001, v18
	v_and_b32_e32 v18, 0xffff, v19
	v_mul_u32_u24_e32 v39, 0x10001, v39
	v_mul_u32_u24_e32 v40, 0x10001, v40
	v_pk_fma_f16 v24, v16, v38, v24
	v_pk_fma_f16 v32, v16, v42, v32
	v_mul_u32_u24_e32 v43, 0x10001, v18
	v_and_b32_e32 v18, 0xffff, v20
	v_pk_fma_f16 v29, v16, v39, v29
	v_pk_fma_f16 v31, v16, v40, v31
	s_delay_alu instid0(VALU_DEP_4) | instskip(NEXT) | instid1(VALU_DEP_4)
	v_pk_fma_f16 v25, v16, v43, v25
	v_mul_u32_u24_e32 v44, 0x10001, v18
	v_and_b32_e32 v18, 0xffff, v21
	s_delay_alu instid0(VALU_DEP_2) | instskip(NEXT) | instid1(VALU_DEP_2)
	v_pk_fma_f16 v30, v16, v44, v30
	v_mul_u32_u24_e32 v45, 0x10001, v18
	ds_load_b128 v[18:21], v147 offset:1184
	v_pk_fma_f16 v33, v16, v45, v33
	s_wait_dscnt 0x0
	v_dual_lshrrev_b32 v46, 16, v18 :: v_dual_lshrrev_b32 v47, 16, v19
	v_dual_lshrrev_b32 v48, 16, v20 :: v_dual_lshrrev_b32 v49, 16, v21
	v_and_b32_e32 v18, 0xffff, v18
	v_and_b32_e32 v19, 0xffff, v19
	;; [unrolled: 1-line block ×4, first 2 shown]
	v_mul_u32_u24_e32 v41, 0x10001, v41
	v_mul_u32_u24_e32 v18, 0x10001, v18
	;; [unrolled: 1-line block ×6, first 2 shown]
	v_pk_fma_f16 v35, v16, v18, v35
	v_pk_fma_f16 v36, v16, v19, v36
	v_pk_fma_f16 v22, v16, v20, v22
	v_pk_fma_f16 v23, v16, v21, v23
	ds_load_b128 v[18:21], v147 offset:176
	v_mul_u32_u24_e32 v47, 0x10001, v47
	v_mul_u32_u24_e32 v48, 0x10001, v48
	v_mul_u32_u24_e32 v49, 0x10001, v49
	v_pk_fma_f16 v34, v16, v41, v34
	v_pk_fma_f16 v26, v16, v46, v26
	;; [unrolled: 1-line block ×5, first 2 shown]
	s_wait_dscnt 0x0
	v_lshrrev_b32_e32 v37, 16, v18
	v_and_b32_e32 v18, 0xffff, v18
	v_dual_lshrrev_b32 v38, 16, v19 :: v_dual_lshrrev_b32 v39, 16, v20
	v_lshrrev_b32_e32 v40, 16, v21
	s_delay_alu instid0(VALU_DEP_4) | instskip(NEXT) | instid1(VALU_DEP_4)
	v_mul_u32_u24_e32 v37, 0x10001, v37
	v_mul_u32_u24_e32 v41, 0x10001, v18
	v_and_b32_e32 v18, 0xffff, v19
	v_mul_u32_u24_e32 v38, 0x10001, v38
	v_mul_u32_u24_e32 v39, 0x10001, v39
	v_pk_fma_f16 v24, v17, v37, v24
	v_pk_fma_f16 v32, v17, v41, v32
	v_mul_u32_u24_e32 v42, 0x10001, v18
	v_and_b32_e32 v18, 0xffff, v20
	v_pk_fma_f16 v29, v17, v38, v29
	v_pk_fma_f16 v31, v17, v39, v31
	s_delay_alu instid0(VALU_DEP_4) | instskip(NEXT) | instid1(VALU_DEP_4)
	v_pk_fma_f16 v25, v17, v42, v25
	v_mul_u32_u24_e32 v43, 0x10001, v18
	v_and_b32_e32 v18, 0xffff, v21
	s_delay_alu instid0(VALU_DEP_2) | instskip(NEXT) | instid1(VALU_DEP_2)
	v_pk_fma_f16 v30, v17, v43, v30
	v_mul_u32_u24_e32 v44, 0x10001, v18
	ds_load_b128 v[18:21], v147 offset:1200
	v_pk_fma_f16 v33, v17, v44, v33
	s_wait_dscnt 0x0
	v_dual_lshrrev_b32 v45, 16, v18 :: v_dual_lshrrev_b32 v46, 16, v19
	v_dual_lshrrev_b32 v47, 16, v20 :: v_dual_lshrrev_b32 v48, 16, v21
	v_and_b32_e32 v18, 0xffff, v18
	v_and_b32_e32 v19, 0xffff, v19
	v_and_b32_e32 v20, 0xffff, v20
	v_and_b32_e32 v21, 0xffff, v21
	v_mul_u32_u24_e32 v40, 0x10001, v40
	v_mul_u32_u24_e32 v18, 0x10001, v18
	;; [unrolled: 1-line block ×9, first 2 shown]
	v_pk_fma_f16 v34, v17, v40, v34
	v_pk_fma_f16 v35, v17, v18, v35
	;; [unrolled: 1-line block ×9, first 2 shown]
	ds_load_2addr_b32 v[16:17], v150 offset0:128 offset1:160
	ds_load_b128 v[18:21], v147 offset:192
	s_wait_dscnt 0x0
	v_lshrrev_b32_e32 v38, 16, v18
	v_and_b32_e32 v18, 0xffff, v18
	v_dual_lshrrev_b32 v39, 16, v19 :: v_dual_lshrrev_b32 v40, 16, v20
	v_lshrrev_b32_e32 v41, 16, v21
	s_delay_alu instid0(VALU_DEP_4) | instskip(NEXT) | instid1(VALU_DEP_4)
	v_mul_u32_u24_e32 v38, 0x10001, v38
	v_mul_u32_u24_e32 v42, 0x10001, v18
	v_and_b32_e32 v18, 0xffff, v19
	v_mul_u32_u24_e32 v39, 0x10001, v39
	v_mul_u32_u24_e32 v40, 0x10001, v40
	v_pk_fma_f16 v24, v16, v38, v24
	v_pk_fma_f16 v32, v16, v42, v32
	v_mul_u32_u24_e32 v43, 0x10001, v18
	v_and_b32_e32 v18, 0xffff, v20
	v_pk_fma_f16 v29, v16, v39, v29
	v_pk_fma_f16 v31, v16, v40, v31
	s_delay_alu instid0(VALU_DEP_4) | instskip(NEXT) | instid1(VALU_DEP_4)
	v_pk_fma_f16 v25, v16, v43, v25
	v_mul_u32_u24_e32 v44, 0x10001, v18
	v_and_b32_e32 v18, 0xffff, v21
	s_delay_alu instid0(VALU_DEP_2) | instskip(NEXT) | instid1(VALU_DEP_2)
	v_pk_fma_f16 v30, v16, v44, v30
	v_mul_u32_u24_e32 v45, 0x10001, v18
	ds_load_b128 v[18:21], v147 offset:1216
	v_pk_fma_f16 v33, v16, v45, v33
	s_wait_dscnt 0x0
	v_dual_lshrrev_b32 v46, 16, v18 :: v_dual_lshrrev_b32 v47, 16, v19
	v_dual_lshrrev_b32 v48, 16, v20 :: v_dual_lshrrev_b32 v49, 16, v21
	v_and_b32_e32 v18, 0xffff, v18
	v_and_b32_e32 v19, 0xffff, v19
	;; [unrolled: 1-line block ×4, first 2 shown]
	v_mul_u32_u24_e32 v41, 0x10001, v41
	v_mul_u32_u24_e32 v18, 0x10001, v18
	;; [unrolled: 1-line block ×6, first 2 shown]
	v_pk_fma_f16 v35, v16, v18, v35
	v_pk_fma_f16 v36, v16, v19, v36
	;; [unrolled: 1-line block ×4, first 2 shown]
	ds_load_b128 v[18:21], v147 offset:208
	v_mul_u32_u24_e32 v47, 0x10001, v47
	v_mul_u32_u24_e32 v48, 0x10001, v48
	;; [unrolled: 1-line block ×3, first 2 shown]
	v_pk_fma_f16 v34, v16, v41, v34
	v_pk_fma_f16 v26, v16, v46, v26
	;; [unrolled: 1-line block ×5, first 2 shown]
	s_wait_dscnt 0x0
	v_lshrrev_b32_e32 v37, 16, v18
	v_and_b32_e32 v18, 0xffff, v18
	v_dual_lshrrev_b32 v38, 16, v19 :: v_dual_lshrrev_b32 v39, 16, v20
	v_lshrrev_b32_e32 v40, 16, v21
	s_delay_alu instid0(VALU_DEP_4) | instskip(NEXT) | instid1(VALU_DEP_4)
	v_mul_u32_u24_e32 v37, 0x10001, v37
	v_mul_u32_u24_e32 v41, 0x10001, v18
	v_and_b32_e32 v18, 0xffff, v19
	v_mul_u32_u24_e32 v38, 0x10001, v38
	v_mul_u32_u24_e32 v39, 0x10001, v39
	v_pk_fma_f16 v24, v17, v37, v24
	v_pk_fma_f16 v32, v17, v41, v32
	v_mul_u32_u24_e32 v42, 0x10001, v18
	v_and_b32_e32 v18, 0xffff, v20
	v_pk_fma_f16 v29, v17, v38, v29
	v_pk_fma_f16 v31, v17, v39, v31
	s_delay_alu instid0(VALU_DEP_4) | instskip(NEXT) | instid1(VALU_DEP_4)
	v_pk_fma_f16 v25, v17, v42, v25
	v_mul_u32_u24_e32 v43, 0x10001, v18
	v_and_b32_e32 v18, 0xffff, v21
	s_delay_alu instid0(VALU_DEP_2) | instskip(NEXT) | instid1(VALU_DEP_2)
	v_pk_fma_f16 v30, v17, v43, v30
	v_mul_u32_u24_e32 v44, 0x10001, v18
	ds_load_b128 v[18:21], v147 offset:1232
	v_pk_fma_f16 v33, v17, v44, v33
	s_wait_dscnt 0x0
	v_dual_lshrrev_b32 v45, 16, v18 :: v_dual_lshrrev_b32 v46, 16, v19
	v_dual_lshrrev_b32 v47, 16, v20 :: v_dual_lshrrev_b32 v48, 16, v21
	v_and_b32_e32 v18, 0xffff, v18
	v_and_b32_e32 v19, 0xffff, v19
	;; [unrolled: 1-line block ×4, first 2 shown]
	v_mul_u32_u24_e32 v40, 0x10001, v40
	v_mul_u32_u24_e32 v18, 0x10001, v18
	;; [unrolled: 1-line block ×9, first 2 shown]
	v_pk_fma_f16 v34, v17, v40, v34
	v_pk_fma_f16 v35, v17, v18, v35
	;; [unrolled: 1-line block ×9, first 2 shown]
	ds_load_2addr_b32 v[16:17], v150 offset0:192 offset1:224
	ds_load_b128 v[18:21], v147 offset:224
	s_wait_dscnt 0x0
	v_lshrrev_b32_e32 v38, 16, v18
	v_and_b32_e32 v18, 0xffff, v18
	v_dual_lshrrev_b32 v39, 16, v19 :: v_dual_lshrrev_b32 v40, 16, v20
	v_lshrrev_b32_e32 v41, 16, v21
	s_delay_alu instid0(VALU_DEP_4) | instskip(NEXT) | instid1(VALU_DEP_4)
	v_mul_u32_u24_e32 v38, 0x10001, v38
	v_mul_u32_u24_e32 v42, 0x10001, v18
	v_and_b32_e32 v18, 0xffff, v19
	v_mul_u32_u24_e32 v39, 0x10001, v39
	v_mul_u32_u24_e32 v40, 0x10001, v40
	v_pk_fma_f16 v24, v16, v38, v24
	v_pk_fma_f16 v32, v16, v42, v32
	v_mul_u32_u24_e32 v43, 0x10001, v18
	v_and_b32_e32 v18, 0xffff, v20
	v_pk_fma_f16 v29, v16, v39, v29
	v_pk_fma_f16 v31, v16, v40, v31
	s_delay_alu instid0(VALU_DEP_4) | instskip(NEXT) | instid1(VALU_DEP_4)
	v_pk_fma_f16 v25, v16, v43, v25
	v_mul_u32_u24_e32 v44, 0x10001, v18
	v_and_b32_e32 v18, 0xffff, v21
	s_delay_alu instid0(VALU_DEP_2) | instskip(NEXT) | instid1(VALU_DEP_2)
	v_pk_fma_f16 v30, v16, v44, v30
	v_mul_u32_u24_e32 v45, 0x10001, v18
	ds_load_b128 v[18:21], v147 offset:1248
	v_pk_fma_f16 v33, v16, v45, v33
	s_wait_dscnt 0x0
	v_dual_lshrrev_b32 v46, 16, v18 :: v_dual_lshrrev_b32 v47, 16, v19
	v_dual_lshrrev_b32 v48, 16, v20 :: v_dual_lshrrev_b32 v49, 16, v21
	v_and_b32_e32 v18, 0xffff, v18
	v_and_b32_e32 v19, 0xffff, v19
	;; [unrolled: 1-line block ×4, first 2 shown]
	v_mul_u32_u24_e32 v41, 0x10001, v41
	v_mul_u32_u24_e32 v18, 0x10001, v18
	v_mul_u32_u24_e32 v19, 0x10001, v19
	v_mul_u32_u24_e32 v20, 0x10001, v20
	v_mul_u32_u24_e32 v21, 0x10001, v21
	v_mul_u32_u24_e32 v46, 0x10001, v46
	v_pk_fma_f16 v35, v16, v18, v35
	v_pk_fma_f16 v36, v16, v19, v36
	;; [unrolled: 1-line block ×4, first 2 shown]
	ds_load_b128 v[18:21], v147 offset:240
	v_mul_u32_u24_e32 v47, 0x10001, v47
	v_mul_u32_u24_e32 v48, 0x10001, v48
	;; [unrolled: 1-line block ×3, first 2 shown]
	v_pk_fma_f16 v34, v16, v41, v34
	v_pk_fma_f16 v26, v16, v46, v26
	;; [unrolled: 1-line block ×5, first 2 shown]
	s_wait_dscnt 0x0
	v_lshrrev_b32_e32 v37, 16, v18
	v_and_b32_e32 v18, 0xffff, v18
	v_dual_lshrrev_b32 v38, 16, v19 :: v_dual_lshrrev_b32 v39, 16, v20
	v_lshrrev_b32_e32 v40, 16, v21
	s_delay_alu instid0(VALU_DEP_4) | instskip(NEXT) | instid1(VALU_DEP_4)
	v_mul_u32_u24_e32 v37, 0x10001, v37
	v_mul_u32_u24_e32 v41, 0x10001, v18
	v_and_b32_e32 v18, 0xffff, v19
	v_mul_u32_u24_e32 v38, 0x10001, v38
	v_mul_u32_u24_e32 v39, 0x10001, v39
	v_pk_fma_f16 v24, v17, v37, v24
	v_pk_fma_f16 v32, v17, v41, v32
	v_mul_u32_u24_e32 v42, 0x10001, v18
	v_and_b32_e32 v18, 0xffff, v20
	v_pk_fma_f16 v29, v17, v38, v29
	v_pk_fma_f16 v31, v17, v39, v31
	s_delay_alu instid0(VALU_DEP_4) | instskip(NEXT) | instid1(VALU_DEP_4)
	v_pk_fma_f16 v25, v17, v42, v25
	v_mul_u32_u24_e32 v43, 0x10001, v18
	v_and_b32_e32 v18, 0xffff, v21
	s_delay_alu instid0(VALU_DEP_2) | instskip(NEXT) | instid1(VALU_DEP_2)
	v_pk_fma_f16 v30, v17, v43, v30
	v_mul_u32_u24_e32 v44, 0x10001, v18
	ds_load_b128 v[18:21], v147 offset:1264
	v_pk_fma_f16 v33, v17, v44, v33
	s_wait_dscnt 0x0
	v_dual_lshrrev_b32 v45, 16, v18 :: v_dual_lshrrev_b32 v46, 16, v19
	v_dual_lshrrev_b32 v47, 16, v20 :: v_dual_lshrrev_b32 v48, 16, v21
	v_and_b32_e32 v18, 0xffff, v18
	v_and_b32_e32 v19, 0xffff, v19
	;; [unrolled: 1-line block ×4, first 2 shown]
	v_mul_u32_u24_e32 v40, 0x10001, v40
	v_mul_u32_u24_e32 v18, 0x10001, v18
	;; [unrolled: 1-line block ×9, first 2 shown]
	v_pk_fma_f16 v34, v17, v40, v34
	v_pk_fma_f16 v35, v17, v18, v35
	;; [unrolled: 1-line block ×9, first 2 shown]
	ds_load_2addr_b32 v[20:21], v151 offset1:32
	ds_load_b128 v[16:19], v147 offset:256
	s_wait_dscnt 0x0
	v_lshrrev_b32_e32 v38, 16, v16
	v_and_b32_e32 v16, 0xffff, v16
	v_dual_lshrrev_b32 v39, 16, v17 :: v_dual_lshrrev_b32 v40, 16, v18
	v_lshrrev_b32_e32 v41, 16, v19
	s_delay_alu instid0(VALU_DEP_4) | instskip(NEXT) | instid1(VALU_DEP_4)
	v_mul_u32_u24_e32 v38, 0x10001, v38
	v_mul_u32_u24_e32 v42, 0x10001, v16
	v_and_b32_e32 v16, 0xffff, v17
	v_mul_u32_u24_e32 v39, 0x10001, v39
	v_mul_u32_u24_e32 v40, 0x10001, v40
	v_pk_fma_f16 v24, v20, v38, v24
	v_pk_fma_f16 v32, v20, v42, v32
	v_mul_u32_u24_e32 v43, 0x10001, v16
	v_and_b32_e32 v16, 0xffff, v18
	v_pk_fma_f16 v29, v20, v39, v29
	v_pk_fma_f16 v31, v20, v40, v31
	s_delay_alu instid0(VALU_DEP_4) | instskip(NEXT) | instid1(VALU_DEP_4)
	v_pk_fma_f16 v25, v20, v43, v25
	v_mul_u32_u24_e32 v44, 0x10001, v16
	v_and_b32_e32 v16, 0xffff, v19
	s_delay_alu instid0(VALU_DEP_2) | instskip(NEXT) | instid1(VALU_DEP_2)
	v_pk_fma_f16 v30, v20, v44, v30
	v_mul_u32_u24_e32 v45, 0x10001, v16
	ds_load_b128 v[16:19], v147 offset:1280
	v_pk_fma_f16 v33, v20, v45, v33
	s_wait_dscnt 0x0
	v_dual_lshrrev_b32 v46, 16, v16 :: v_dual_lshrrev_b32 v47, 16, v17
	v_dual_lshrrev_b32 v48, 16, v18 :: v_dual_lshrrev_b32 v49, 16, v19
	v_and_b32_e32 v16, 0xffff, v16
	v_and_b32_e32 v17, 0xffff, v17
	;; [unrolled: 1-line block ×4, first 2 shown]
	v_mul_u32_u24_e32 v41, 0x10001, v41
	v_mul_u32_u24_e32 v16, 0x10001, v16
	;; [unrolled: 1-line block ×6, first 2 shown]
	v_pk_fma_f16 v35, v20, v16, v35
	v_pk_fma_f16 v36, v20, v17, v36
	;; [unrolled: 1-line block ×4, first 2 shown]
	ds_load_b128 v[16:19], v147 offset:272
	v_mul_u32_u24_e32 v47, 0x10001, v47
	v_mul_u32_u24_e32 v48, 0x10001, v48
	;; [unrolled: 1-line block ×3, first 2 shown]
	v_pk_fma_f16 v34, v20, v41, v34
	v_pk_fma_f16 v26, v20, v46, v26
	;; [unrolled: 1-line block ×5, first 2 shown]
	s_wait_dscnt 0x0
	v_lshrrev_b32_e32 v37, 16, v16
	v_and_b32_e32 v16, 0xffff, v16
	v_dual_lshrrev_b32 v38, 16, v17 :: v_dual_lshrrev_b32 v39, 16, v18
	v_lshrrev_b32_e32 v40, 16, v19
	s_delay_alu instid0(VALU_DEP_4) | instskip(NEXT) | instid1(VALU_DEP_4)
	v_mul_u32_u24_e32 v37, 0x10001, v37
	v_mul_u32_u24_e32 v41, 0x10001, v16
	v_and_b32_e32 v16, 0xffff, v17
	v_mul_u32_u24_e32 v38, 0x10001, v38
	v_mul_u32_u24_e32 v39, 0x10001, v39
	v_pk_fma_f16 v24, v21, v37, v24
	v_pk_fma_f16 v32, v21, v41, v32
	v_mul_u32_u24_e32 v42, 0x10001, v16
	v_and_b32_e32 v16, 0xffff, v18
	v_pk_fma_f16 v29, v21, v38, v29
	v_pk_fma_f16 v31, v21, v39, v31
	s_delay_alu instid0(VALU_DEP_4) | instskip(NEXT) | instid1(VALU_DEP_4)
	v_pk_fma_f16 v25, v21, v42, v25
	v_mul_u32_u24_e32 v43, 0x10001, v16
	v_and_b32_e32 v16, 0xffff, v19
	s_delay_alu instid0(VALU_DEP_2) | instskip(NEXT) | instid1(VALU_DEP_2)
	v_pk_fma_f16 v30, v21, v43, v30
	v_mul_u32_u24_e32 v44, 0x10001, v16
	ds_load_b128 v[16:19], v147 offset:1296
	v_pk_fma_f16 v33, v21, v44, v33
	s_wait_dscnt 0x0
	v_dual_lshrrev_b32 v45, 16, v16 :: v_dual_lshrrev_b32 v46, 16, v17
	v_dual_lshrrev_b32 v47, 16, v18 :: v_dual_lshrrev_b32 v48, 16, v19
	v_and_b32_e32 v16, 0xffff, v16
	v_and_b32_e32 v17, 0xffff, v17
	;; [unrolled: 1-line block ×4, first 2 shown]
	v_mul_u32_u24_e32 v40, 0x10001, v40
	v_mul_u32_u24_e32 v16, 0x10001, v16
	;; [unrolled: 1-line block ×9, first 2 shown]
	v_pk_fma_f16 v34, v21, v40, v34
	v_pk_fma_f16 v35, v21, v16, v35
	;; [unrolled: 1-line block ×9, first 2 shown]
	ds_load_2addr_b32 v[20:21], v151 offset0:64 offset1:96
	ds_load_b128 v[16:19], v147 offset:288
	s_wait_dscnt 0x0
	v_lshrrev_b32_e32 v38, 16, v16
	v_and_b32_e32 v16, 0xffff, v16
	v_dual_lshrrev_b32 v39, 16, v17 :: v_dual_lshrrev_b32 v40, 16, v18
	v_lshrrev_b32_e32 v41, 16, v19
	s_delay_alu instid0(VALU_DEP_4) | instskip(NEXT) | instid1(VALU_DEP_4)
	v_mul_u32_u24_e32 v38, 0x10001, v38
	v_mul_u32_u24_e32 v42, 0x10001, v16
	v_and_b32_e32 v16, 0xffff, v17
	v_mul_u32_u24_e32 v39, 0x10001, v39
	v_mul_u32_u24_e32 v40, 0x10001, v40
	v_pk_fma_f16 v24, v20, v38, v24
	v_pk_fma_f16 v32, v20, v42, v32
	v_mul_u32_u24_e32 v43, 0x10001, v16
	v_and_b32_e32 v16, 0xffff, v18
	v_pk_fma_f16 v29, v20, v39, v29
	v_pk_fma_f16 v31, v20, v40, v31
	s_delay_alu instid0(VALU_DEP_4) | instskip(NEXT) | instid1(VALU_DEP_4)
	v_pk_fma_f16 v25, v20, v43, v25
	v_mul_u32_u24_e32 v44, 0x10001, v16
	v_and_b32_e32 v16, 0xffff, v19
	s_delay_alu instid0(VALU_DEP_2) | instskip(NEXT) | instid1(VALU_DEP_2)
	v_pk_fma_f16 v30, v20, v44, v30
	v_mul_u32_u24_e32 v45, 0x10001, v16
	ds_load_b128 v[16:19], v147 offset:1312
	v_pk_fma_f16 v33, v20, v45, v33
	s_wait_dscnt 0x0
	v_dual_lshrrev_b32 v46, 16, v16 :: v_dual_lshrrev_b32 v47, 16, v17
	v_dual_lshrrev_b32 v48, 16, v18 :: v_dual_lshrrev_b32 v49, 16, v19
	v_and_b32_e32 v16, 0xffff, v16
	v_and_b32_e32 v17, 0xffff, v17
	;; [unrolled: 1-line block ×4, first 2 shown]
	v_mul_u32_u24_e32 v41, 0x10001, v41
	v_mul_u32_u24_e32 v16, 0x10001, v16
	;; [unrolled: 1-line block ×6, first 2 shown]
	v_pk_fma_f16 v35, v20, v16, v35
	v_pk_fma_f16 v36, v20, v17, v36
	;; [unrolled: 1-line block ×4, first 2 shown]
	ds_load_b128 v[16:19], v147 offset:304
	v_mul_u32_u24_e32 v47, 0x10001, v47
	v_mul_u32_u24_e32 v48, 0x10001, v48
	;; [unrolled: 1-line block ×3, first 2 shown]
	v_pk_fma_f16 v34, v20, v41, v34
	v_pk_fma_f16 v26, v20, v46, v26
	;; [unrolled: 1-line block ×5, first 2 shown]
	s_wait_dscnt 0x0
	v_lshrrev_b32_e32 v37, 16, v16
	v_and_b32_e32 v16, 0xffff, v16
	v_dual_lshrrev_b32 v38, 16, v17 :: v_dual_lshrrev_b32 v39, 16, v18
	v_lshrrev_b32_e32 v40, 16, v19
	s_delay_alu instid0(VALU_DEP_4) | instskip(NEXT) | instid1(VALU_DEP_4)
	v_mul_u32_u24_e32 v37, 0x10001, v37
	v_mul_u32_u24_e32 v41, 0x10001, v16
	v_and_b32_e32 v16, 0xffff, v17
	v_mul_u32_u24_e32 v38, 0x10001, v38
	v_mul_u32_u24_e32 v39, 0x10001, v39
	v_pk_fma_f16 v24, v21, v37, v24
	v_pk_fma_f16 v32, v21, v41, v32
	v_mul_u32_u24_e32 v42, 0x10001, v16
	v_and_b32_e32 v16, 0xffff, v18
	v_pk_fma_f16 v29, v21, v38, v29
	v_pk_fma_f16 v31, v21, v39, v31
	s_delay_alu instid0(VALU_DEP_4) | instskip(NEXT) | instid1(VALU_DEP_4)
	v_pk_fma_f16 v25, v21, v42, v25
	v_mul_u32_u24_e32 v43, 0x10001, v16
	v_and_b32_e32 v16, 0xffff, v19
	s_delay_alu instid0(VALU_DEP_2) | instskip(NEXT) | instid1(VALU_DEP_2)
	v_pk_fma_f16 v30, v21, v43, v30
	v_mul_u32_u24_e32 v44, 0x10001, v16
	ds_load_b128 v[16:19], v147 offset:1328
	v_pk_fma_f16 v33, v21, v44, v33
	s_wait_dscnt 0x0
	v_dual_lshrrev_b32 v45, 16, v16 :: v_dual_lshrrev_b32 v46, 16, v17
	v_dual_lshrrev_b32 v47, 16, v18 :: v_dual_lshrrev_b32 v48, 16, v19
	v_and_b32_e32 v16, 0xffff, v16
	v_and_b32_e32 v17, 0xffff, v17
	;; [unrolled: 1-line block ×4, first 2 shown]
	v_mul_u32_u24_e32 v40, 0x10001, v40
	v_mul_u32_u24_e32 v16, 0x10001, v16
	;; [unrolled: 1-line block ×9, first 2 shown]
	v_pk_fma_f16 v34, v21, v40, v34
	v_pk_fma_f16 v35, v21, v16, v35
	;; [unrolled: 1-line block ×9, first 2 shown]
	ds_load_2addr_b32 v[20:21], v151 offset0:128 offset1:160
	ds_load_b128 v[16:19], v147 offset:320
	s_wait_dscnt 0x0
	v_lshrrev_b32_e32 v38, 16, v16
	v_and_b32_e32 v16, 0xffff, v16
	v_dual_lshrrev_b32 v39, 16, v17 :: v_dual_lshrrev_b32 v40, 16, v18
	v_lshrrev_b32_e32 v41, 16, v19
	s_delay_alu instid0(VALU_DEP_4) | instskip(NEXT) | instid1(VALU_DEP_4)
	v_mul_u32_u24_e32 v38, 0x10001, v38
	v_mul_u32_u24_e32 v42, 0x10001, v16
	v_and_b32_e32 v16, 0xffff, v17
	v_mul_u32_u24_e32 v39, 0x10001, v39
	v_mul_u32_u24_e32 v40, 0x10001, v40
	v_pk_fma_f16 v24, v20, v38, v24
	v_pk_fma_f16 v32, v20, v42, v32
	v_mul_u32_u24_e32 v43, 0x10001, v16
	v_and_b32_e32 v16, 0xffff, v18
	v_pk_fma_f16 v29, v20, v39, v29
	v_pk_fma_f16 v31, v20, v40, v31
	s_delay_alu instid0(VALU_DEP_4) | instskip(NEXT) | instid1(VALU_DEP_4)
	v_pk_fma_f16 v25, v20, v43, v25
	v_mul_u32_u24_e32 v44, 0x10001, v16
	v_and_b32_e32 v16, 0xffff, v19
	s_delay_alu instid0(VALU_DEP_2) | instskip(NEXT) | instid1(VALU_DEP_2)
	v_pk_fma_f16 v30, v20, v44, v30
	v_mul_u32_u24_e32 v45, 0x10001, v16
	ds_load_b128 v[16:19], v147 offset:1344
	v_pk_fma_f16 v33, v20, v45, v33
	s_wait_dscnt 0x0
	v_dual_lshrrev_b32 v46, 16, v16 :: v_dual_lshrrev_b32 v47, 16, v17
	v_dual_lshrrev_b32 v48, 16, v18 :: v_dual_lshrrev_b32 v49, 16, v19
	v_and_b32_e32 v16, 0xffff, v16
	v_and_b32_e32 v17, 0xffff, v17
	;; [unrolled: 1-line block ×4, first 2 shown]
	v_mul_u32_u24_e32 v41, 0x10001, v41
	v_mul_u32_u24_e32 v16, 0x10001, v16
	;; [unrolled: 1-line block ×6, first 2 shown]
	v_pk_fma_f16 v35, v20, v16, v35
	v_pk_fma_f16 v36, v20, v17, v36
	;; [unrolled: 1-line block ×4, first 2 shown]
	ds_load_b128 v[16:19], v147 offset:336
	v_mul_u32_u24_e32 v47, 0x10001, v47
	v_mul_u32_u24_e32 v48, 0x10001, v48
	;; [unrolled: 1-line block ×3, first 2 shown]
	v_pk_fma_f16 v34, v20, v41, v34
	v_pk_fma_f16 v26, v20, v46, v26
	v_pk_fma_f16 v27, v20, v47, v27
	v_pk_fma_f16 v28, v20, v48, v28
	v_pk_fma_f16 v20, v20, v49, v37
	s_wait_dscnt 0x0
	v_lshrrev_b32_e32 v37, 16, v16
	v_and_b32_e32 v16, 0xffff, v16
	v_dual_lshrrev_b32 v38, 16, v17 :: v_dual_lshrrev_b32 v39, 16, v18
	v_lshrrev_b32_e32 v40, 16, v19
	s_delay_alu instid0(VALU_DEP_4) | instskip(NEXT) | instid1(VALU_DEP_4)
	v_mul_u32_u24_e32 v37, 0x10001, v37
	v_mul_u32_u24_e32 v41, 0x10001, v16
	v_and_b32_e32 v16, 0xffff, v17
	v_mul_u32_u24_e32 v38, 0x10001, v38
	v_mul_u32_u24_e32 v39, 0x10001, v39
	v_pk_fma_f16 v24, v21, v37, v24
	v_pk_fma_f16 v32, v21, v41, v32
	v_mul_u32_u24_e32 v42, 0x10001, v16
	v_and_b32_e32 v16, 0xffff, v18
	v_pk_fma_f16 v29, v21, v38, v29
	v_pk_fma_f16 v31, v21, v39, v31
	s_delay_alu instid0(VALU_DEP_4) | instskip(NEXT) | instid1(VALU_DEP_4)
	v_pk_fma_f16 v25, v21, v42, v25
	v_mul_u32_u24_e32 v43, 0x10001, v16
	v_and_b32_e32 v16, 0xffff, v19
	s_delay_alu instid0(VALU_DEP_2) | instskip(NEXT) | instid1(VALU_DEP_2)
	v_pk_fma_f16 v30, v21, v43, v30
	v_mul_u32_u24_e32 v44, 0x10001, v16
	ds_load_b128 v[16:19], v147 offset:1360
	v_pk_fma_f16 v33, v21, v44, v33
	s_wait_dscnt 0x0
	v_dual_lshrrev_b32 v45, 16, v16 :: v_dual_lshrrev_b32 v46, 16, v17
	v_dual_lshrrev_b32 v47, 16, v18 :: v_dual_lshrrev_b32 v48, 16, v19
	v_and_b32_e32 v16, 0xffff, v16
	v_and_b32_e32 v17, 0xffff, v17
	;; [unrolled: 1-line block ×4, first 2 shown]
	v_mul_u32_u24_e32 v40, 0x10001, v40
	v_mul_u32_u24_e32 v16, 0x10001, v16
	;; [unrolled: 1-line block ×9, first 2 shown]
	v_pk_fma_f16 v34, v21, v40, v34
	v_pk_fma_f16 v35, v21, v16, v35
	v_pk_fma_f16 v26, v21, v45, v26
	v_pk_fma_f16 v36, v21, v17, v36
	v_pk_fma_f16 v27, v21, v46, v27
	v_pk_fma_f16 v22, v21, v18, v22
	v_pk_fma_f16 v28, v21, v47, v28
	v_pk_fma_f16 v23, v21, v19, v23
	v_pk_fma_f16 v37, v21, v48, v20
	ds_load_2addr_b32 v[20:21], v151 offset0:192 offset1:224
	ds_load_b128 v[16:19], v147 offset:352
	s_wait_dscnt 0x0
	v_lshrrev_b32_e32 v38, 16, v16
	v_and_b32_e32 v16, 0xffff, v16
	v_dual_lshrrev_b32 v39, 16, v17 :: v_dual_lshrrev_b32 v40, 16, v18
	v_lshrrev_b32_e32 v41, 16, v19
	s_delay_alu instid0(VALU_DEP_4) | instskip(NEXT) | instid1(VALU_DEP_4)
	v_mul_u32_u24_e32 v38, 0x10001, v38
	v_mul_u32_u24_e32 v42, 0x10001, v16
	v_and_b32_e32 v16, 0xffff, v17
	v_mul_u32_u24_e32 v39, 0x10001, v39
	v_mul_u32_u24_e32 v40, 0x10001, v40
	v_pk_fma_f16 v24, v20, v38, v24
	v_pk_fma_f16 v32, v20, v42, v32
	v_mul_u32_u24_e32 v43, 0x10001, v16
	v_and_b32_e32 v16, 0xffff, v18
	v_pk_fma_f16 v29, v20, v39, v29
	v_pk_fma_f16 v31, v20, v40, v31
	s_delay_alu instid0(VALU_DEP_4) | instskip(NEXT) | instid1(VALU_DEP_4)
	v_pk_fma_f16 v25, v20, v43, v25
	v_mul_u32_u24_e32 v44, 0x10001, v16
	v_and_b32_e32 v16, 0xffff, v19
	s_delay_alu instid0(VALU_DEP_2) | instskip(NEXT) | instid1(VALU_DEP_2)
	v_pk_fma_f16 v30, v20, v44, v30
	v_mul_u32_u24_e32 v45, 0x10001, v16
	ds_load_b128 v[16:19], v147 offset:1376
	v_pk_fma_f16 v33, v20, v45, v33
	s_wait_dscnt 0x0
	v_dual_lshrrev_b32 v46, 16, v16 :: v_dual_lshrrev_b32 v47, 16, v17
	v_dual_lshrrev_b32 v48, 16, v18 :: v_dual_lshrrev_b32 v49, 16, v19
	v_and_b32_e32 v16, 0xffff, v16
	v_and_b32_e32 v17, 0xffff, v17
	;; [unrolled: 1-line block ×4, first 2 shown]
	v_mul_u32_u24_e32 v41, 0x10001, v41
	v_mul_u32_u24_e32 v16, 0x10001, v16
	;; [unrolled: 1-line block ×6, first 2 shown]
	v_pk_fma_f16 v35, v20, v16, v35
	v_pk_fma_f16 v36, v20, v17, v36
	;; [unrolled: 1-line block ×4, first 2 shown]
	ds_load_b128 v[16:19], v147 offset:368
	v_mul_u32_u24_e32 v47, 0x10001, v47
	v_mul_u32_u24_e32 v48, 0x10001, v48
	v_mul_u32_u24_e32 v49, 0x10001, v49
	v_pk_fma_f16 v34, v20, v41, v34
	v_pk_fma_f16 v26, v20, v46, v26
	;; [unrolled: 1-line block ×5, first 2 shown]
	s_wait_dscnt 0x0
	v_lshrrev_b32_e32 v37, 16, v16
	v_and_b32_e32 v16, 0xffff, v16
	v_dual_lshrrev_b32 v38, 16, v17 :: v_dual_lshrrev_b32 v39, 16, v18
	v_lshrrev_b32_e32 v40, 16, v19
	s_delay_alu instid0(VALU_DEP_4) | instskip(NEXT) | instid1(VALU_DEP_4)
	v_mul_u32_u24_e32 v37, 0x10001, v37
	v_mul_u32_u24_e32 v41, 0x10001, v16
	v_and_b32_e32 v16, 0xffff, v17
	v_mul_u32_u24_e32 v38, 0x10001, v38
	v_mul_u32_u24_e32 v39, 0x10001, v39
	v_pk_fma_f16 v24, v21, v37, v24
	v_pk_fma_f16 v32, v21, v41, v32
	v_mul_u32_u24_e32 v42, 0x10001, v16
	v_and_b32_e32 v16, 0xffff, v18
	v_pk_fma_f16 v29, v21, v38, v29
	v_pk_fma_f16 v31, v21, v39, v31
	s_delay_alu instid0(VALU_DEP_4) | instskip(NEXT) | instid1(VALU_DEP_4)
	v_pk_fma_f16 v25, v21, v42, v25
	v_mul_u32_u24_e32 v43, 0x10001, v16
	v_and_b32_e32 v16, 0xffff, v19
	s_delay_alu instid0(VALU_DEP_2) | instskip(NEXT) | instid1(VALU_DEP_2)
	v_pk_fma_f16 v30, v21, v43, v30
	v_mul_u32_u24_e32 v44, 0x10001, v16
	ds_load_b128 v[16:19], v147 offset:1392
	v_pk_fma_f16 v33, v21, v44, v33
	s_wait_dscnt 0x0
	v_dual_lshrrev_b32 v45, 16, v16 :: v_dual_lshrrev_b32 v46, 16, v17
	v_dual_lshrrev_b32 v47, 16, v18 :: v_dual_lshrrev_b32 v48, 16, v19
	v_and_b32_e32 v16, 0xffff, v16
	v_and_b32_e32 v17, 0xffff, v17
	;; [unrolled: 1-line block ×4, first 2 shown]
	v_mul_u32_u24_e32 v40, 0x10001, v40
	v_mul_u32_u24_e32 v16, 0x10001, v16
	;; [unrolled: 1-line block ×9, first 2 shown]
	v_pk_fma_f16 v34, v21, v40, v34
	v_pk_fma_f16 v35, v21, v16, v35
	;; [unrolled: 1-line block ×9, first 2 shown]
	ds_load_2addr_b32 v[20:21], v152 offset1:32
	ds_load_b128 v[16:19], v147 offset:384
	s_wait_dscnt 0x0
	v_lshrrev_b32_e32 v38, 16, v16
	v_and_b32_e32 v16, 0xffff, v16
	v_dual_lshrrev_b32 v39, 16, v17 :: v_dual_lshrrev_b32 v40, 16, v18
	v_lshrrev_b32_e32 v41, 16, v19
	s_delay_alu instid0(VALU_DEP_4) | instskip(NEXT) | instid1(VALU_DEP_4)
	v_mul_u32_u24_e32 v38, 0x10001, v38
	v_mul_u32_u24_e32 v42, 0x10001, v16
	v_and_b32_e32 v16, 0xffff, v17
	v_mul_u32_u24_e32 v39, 0x10001, v39
	v_mul_u32_u24_e32 v40, 0x10001, v40
	v_pk_fma_f16 v24, v20, v38, v24
	v_pk_fma_f16 v32, v20, v42, v32
	v_mul_u32_u24_e32 v43, 0x10001, v16
	v_and_b32_e32 v16, 0xffff, v18
	v_pk_fma_f16 v29, v20, v39, v29
	v_pk_fma_f16 v31, v20, v40, v31
	s_delay_alu instid0(VALU_DEP_4) | instskip(NEXT) | instid1(VALU_DEP_4)
	v_pk_fma_f16 v25, v20, v43, v25
	v_mul_u32_u24_e32 v44, 0x10001, v16
	v_and_b32_e32 v16, 0xffff, v19
	s_delay_alu instid0(VALU_DEP_2) | instskip(NEXT) | instid1(VALU_DEP_2)
	v_pk_fma_f16 v30, v20, v44, v30
	v_mul_u32_u24_e32 v45, 0x10001, v16
	ds_load_b128 v[16:19], v147 offset:1408
	v_pk_fma_f16 v33, v20, v45, v33
	s_wait_dscnt 0x0
	v_dual_lshrrev_b32 v46, 16, v16 :: v_dual_lshrrev_b32 v47, 16, v17
	v_dual_lshrrev_b32 v48, 16, v18 :: v_dual_lshrrev_b32 v49, 16, v19
	v_and_b32_e32 v16, 0xffff, v16
	v_and_b32_e32 v17, 0xffff, v17
	;; [unrolled: 1-line block ×4, first 2 shown]
	v_mul_u32_u24_e32 v41, 0x10001, v41
	v_mul_u32_u24_e32 v16, 0x10001, v16
	;; [unrolled: 1-line block ×6, first 2 shown]
	v_pk_fma_f16 v35, v20, v16, v35
	v_pk_fma_f16 v36, v20, v17, v36
	v_pk_fma_f16 v22, v20, v18, v22
	v_pk_fma_f16 v23, v20, v19, v23
	ds_load_b128 v[16:19], v147 offset:400
	v_mul_u32_u24_e32 v47, 0x10001, v47
	v_mul_u32_u24_e32 v48, 0x10001, v48
	;; [unrolled: 1-line block ×3, first 2 shown]
	v_pk_fma_f16 v34, v20, v41, v34
	v_pk_fma_f16 v26, v20, v46, v26
	v_pk_fma_f16 v27, v20, v47, v27
	v_pk_fma_f16 v28, v20, v48, v28
	v_pk_fma_f16 v20, v20, v49, v37
	s_wait_dscnt 0x0
	v_lshrrev_b32_e32 v37, 16, v16
	v_and_b32_e32 v16, 0xffff, v16
	v_dual_lshrrev_b32 v38, 16, v17 :: v_dual_lshrrev_b32 v39, 16, v18
	v_lshrrev_b32_e32 v40, 16, v19
	s_delay_alu instid0(VALU_DEP_4) | instskip(NEXT) | instid1(VALU_DEP_4)
	v_mul_u32_u24_e32 v37, 0x10001, v37
	v_mul_u32_u24_e32 v41, 0x10001, v16
	v_and_b32_e32 v16, 0xffff, v17
	v_mul_u32_u24_e32 v38, 0x10001, v38
	v_mul_u32_u24_e32 v39, 0x10001, v39
	v_pk_fma_f16 v24, v21, v37, v24
	v_pk_fma_f16 v32, v21, v41, v32
	v_mul_u32_u24_e32 v42, 0x10001, v16
	v_and_b32_e32 v16, 0xffff, v18
	v_pk_fma_f16 v29, v21, v38, v29
	v_pk_fma_f16 v31, v21, v39, v31
	s_delay_alu instid0(VALU_DEP_4) | instskip(NEXT) | instid1(VALU_DEP_4)
	v_pk_fma_f16 v25, v21, v42, v25
	v_mul_u32_u24_e32 v43, 0x10001, v16
	v_and_b32_e32 v16, 0xffff, v19
	s_delay_alu instid0(VALU_DEP_2) | instskip(NEXT) | instid1(VALU_DEP_2)
	v_pk_fma_f16 v30, v21, v43, v30
	v_mul_u32_u24_e32 v44, 0x10001, v16
	ds_load_b128 v[16:19], v147 offset:1424
	v_pk_fma_f16 v33, v21, v44, v33
	s_wait_dscnt 0x0
	v_dual_lshrrev_b32 v45, 16, v16 :: v_dual_lshrrev_b32 v46, 16, v17
	v_dual_lshrrev_b32 v47, 16, v18 :: v_dual_lshrrev_b32 v48, 16, v19
	v_and_b32_e32 v16, 0xffff, v16
	v_and_b32_e32 v17, 0xffff, v17
	;; [unrolled: 1-line block ×4, first 2 shown]
	v_mul_u32_u24_e32 v40, 0x10001, v40
	v_mul_u32_u24_e32 v16, 0x10001, v16
	;; [unrolled: 1-line block ×9, first 2 shown]
	v_pk_fma_f16 v34, v21, v40, v34
	v_pk_fma_f16 v35, v21, v16, v35
	;; [unrolled: 1-line block ×9, first 2 shown]
	ds_load_2addr_b32 v[20:21], v152 offset0:64 offset1:96
	ds_load_b128 v[16:19], v147 offset:416
	s_wait_dscnt 0x0
	v_lshrrev_b32_e32 v38, 16, v16
	v_and_b32_e32 v16, 0xffff, v16
	v_dual_lshrrev_b32 v39, 16, v17 :: v_dual_lshrrev_b32 v40, 16, v18
	v_lshrrev_b32_e32 v41, 16, v19
	s_delay_alu instid0(VALU_DEP_4) | instskip(NEXT) | instid1(VALU_DEP_4)
	v_mul_u32_u24_e32 v38, 0x10001, v38
	v_mul_u32_u24_e32 v42, 0x10001, v16
	v_and_b32_e32 v16, 0xffff, v17
	v_mul_u32_u24_e32 v39, 0x10001, v39
	v_mul_u32_u24_e32 v40, 0x10001, v40
	v_pk_fma_f16 v24, v20, v38, v24
	v_pk_fma_f16 v32, v20, v42, v32
	v_mul_u32_u24_e32 v43, 0x10001, v16
	v_and_b32_e32 v16, 0xffff, v18
	v_pk_fma_f16 v29, v20, v39, v29
	v_pk_fma_f16 v31, v20, v40, v31
	s_delay_alu instid0(VALU_DEP_4) | instskip(NEXT) | instid1(VALU_DEP_4)
	v_pk_fma_f16 v25, v20, v43, v25
	v_mul_u32_u24_e32 v44, 0x10001, v16
	v_and_b32_e32 v16, 0xffff, v19
	s_delay_alu instid0(VALU_DEP_2) | instskip(NEXT) | instid1(VALU_DEP_2)
	v_pk_fma_f16 v30, v20, v44, v30
	v_mul_u32_u24_e32 v45, 0x10001, v16
	ds_load_b128 v[16:19], v147 offset:1440
	v_pk_fma_f16 v33, v20, v45, v33
	s_wait_dscnt 0x0
	v_dual_lshrrev_b32 v46, 16, v16 :: v_dual_lshrrev_b32 v47, 16, v17
	v_dual_lshrrev_b32 v48, 16, v18 :: v_dual_lshrrev_b32 v49, 16, v19
	v_and_b32_e32 v16, 0xffff, v16
	v_and_b32_e32 v17, 0xffff, v17
	;; [unrolled: 1-line block ×4, first 2 shown]
	v_mul_u32_u24_e32 v41, 0x10001, v41
	v_mul_u32_u24_e32 v16, 0x10001, v16
	;; [unrolled: 1-line block ×6, first 2 shown]
	v_pk_fma_f16 v35, v20, v16, v35
	v_pk_fma_f16 v36, v20, v17, v36
	;; [unrolled: 1-line block ×4, first 2 shown]
	ds_load_b128 v[16:19], v147 offset:432
	v_mul_u32_u24_e32 v47, 0x10001, v47
	v_mul_u32_u24_e32 v48, 0x10001, v48
	;; [unrolled: 1-line block ×3, first 2 shown]
	v_pk_fma_f16 v34, v20, v41, v34
	v_pk_fma_f16 v26, v20, v46, v26
	;; [unrolled: 1-line block ×5, first 2 shown]
	s_wait_dscnt 0x0
	v_lshrrev_b32_e32 v37, 16, v16
	v_and_b32_e32 v16, 0xffff, v16
	v_dual_lshrrev_b32 v38, 16, v17 :: v_dual_lshrrev_b32 v39, 16, v18
	v_lshrrev_b32_e32 v40, 16, v19
	s_delay_alu instid0(VALU_DEP_4) | instskip(NEXT) | instid1(VALU_DEP_4)
	v_mul_u32_u24_e32 v37, 0x10001, v37
	v_mul_u32_u24_e32 v41, 0x10001, v16
	v_and_b32_e32 v16, 0xffff, v17
	v_mul_u32_u24_e32 v38, 0x10001, v38
	v_mul_u32_u24_e32 v39, 0x10001, v39
	v_pk_fma_f16 v24, v21, v37, v24
	v_pk_fma_f16 v32, v21, v41, v32
	v_mul_u32_u24_e32 v42, 0x10001, v16
	v_and_b32_e32 v16, 0xffff, v18
	v_pk_fma_f16 v29, v21, v38, v29
	v_pk_fma_f16 v31, v21, v39, v31
	s_delay_alu instid0(VALU_DEP_4) | instskip(NEXT) | instid1(VALU_DEP_4)
	v_pk_fma_f16 v25, v21, v42, v25
	v_mul_u32_u24_e32 v43, 0x10001, v16
	v_and_b32_e32 v16, 0xffff, v19
	s_delay_alu instid0(VALU_DEP_2) | instskip(NEXT) | instid1(VALU_DEP_2)
	v_pk_fma_f16 v30, v21, v43, v30
	v_mul_u32_u24_e32 v44, 0x10001, v16
	ds_load_b128 v[16:19], v147 offset:1456
	v_pk_fma_f16 v33, v21, v44, v33
	s_wait_dscnt 0x0
	v_dual_lshrrev_b32 v45, 16, v16 :: v_dual_lshrrev_b32 v46, 16, v17
	v_dual_lshrrev_b32 v47, 16, v18 :: v_dual_lshrrev_b32 v48, 16, v19
	v_and_b32_e32 v16, 0xffff, v16
	v_and_b32_e32 v17, 0xffff, v17
	;; [unrolled: 1-line block ×4, first 2 shown]
	v_mul_u32_u24_e32 v40, 0x10001, v40
	v_mul_u32_u24_e32 v16, 0x10001, v16
	;; [unrolled: 1-line block ×9, first 2 shown]
	v_pk_fma_f16 v34, v21, v40, v34
	v_pk_fma_f16 v35, v21, v16, v35
	;; [unrolled: 1-line block ×9, first 2 shown]
	ds_load_2addr_b32 v[20:21], v152 offset0:128 offset1:160
	ds_load_b128 v[16:19], v147 offset:448
	s_wait_dscnt 0x0
	v_lshrrev_b32_e32 v38, 16, v16
	v_and_b32_e32 v16, 0xffff, v16
	v_dual_lshrrev_b32 v39, 16, v17 :: v_dual_lshrrev_b32 v40, 16, v18
	v_lshrrev_b32_e32 v41, 16, v19
	s_delay_alu instid0(VALU_DEP_4) | instskip(NEXT) | instid1(VALU_DEP_4)
	v_mul_u32_u24_e32 v38, 0x10001, v38
	v_mul_u32_u24_e32 v42, 0x10001, v16
	v_and_b32_e32 v16, 0xffff, v17
	v_mul_u32_u24_e32 v39, 0x10001, v39
	v_mul_u32_u24_e32 v40, 0x10001, v40
	v_pk_fma_f16 v24, v20, v38, v24
	v_pk_fma_f16 v32, v20, v42, v32
	v_mul_u32_u24_e32 v43, 0x10001, v16
	v_and_b32_e32 v16, 0xffff, v18
	v_pk_fma_f16 v29, v20, v39, v29
	v_pk_fma_f16 v31, v20, v40, v31
	s_delay_alu instid0(VALU_DEP_4) | instskip(NEXT) | instid1(VALU_DEP_4)
	v_pk_fma_f16 v25, v20, v43, v25
	v_mul_u32_u24_e32 v44, 0x10001, v16
	v_and_b32_e32 v16, 0xffff, v19
	s_delay_alu instid0(VALU_DEP_2) | instskip(NEXT) | instid1(VALU_DEP_2)
	v_pk_fma_f16 v30, v20, v44, v30
	v_mul_u32_u24_e32 v45, 0x10001, v16
	ds_load_b128 v[16:19], v147 offset:1472
	v_pk_fma_f16 v33, v20, v45, v33
	s_wait_dscnt 0x0
	v_dual_lshrrev_b32 v46, 16, v16 :: v_dual_lshrrev_b32 v47, 16, v17
	v_dual_lshrrev_b32 v48, 16, v18 :: v_dual_lshrrev_b32 v49, 16, v19
	v_and_b32_e32 v16, 0xffff, v16
	v_and_b32_e32 v17, 0xffff, v17
	;; [unrolled: 1-line block ×4, first 2 shown]
	v_mul_u32_u24_e32 v41, 0x10001, v41
	v_mul_u32_u24_e32 v16, 0x10001, v16
	;; [unrolled: 1-line block ×6, first 2 shown]
	v_pk_fma_f16 v35, v20, v16, v35
	v_pk_fma_f16 v36, v20, v17, v36
	;; [unrolled: 1-line block ×4, first 2 shown]
	ds_load_b128 v[16:19], v147 offset:464
	v_mul_u32_u24_e32 v47, 0x10001, v47
	v_mul_u32_u24_e32 v48, 0x10001, v48
	;; [unrolled: 1-line block ×3, first 2 shown]
	v_pk_fma_f16 v34, v20, v41, v34
	v_pk_fma_f16 v26, v20, v46, v26
	;; [unrolled: 1-line block ×5, first 2 shown]
	s_wait_dscnt 0x0
	v_lshrrev_b32_e32 v37, 16, v16
	v_and_b32_e32 v16, 0xffff, v16
	v_dual_lshrrev_b32 v38, 16, v17 :: v_dual_lshrrev_b32 v39, 16, v18
	v_lshrrev_b32_e32 v40, 16, v19
	s_delay_alu instid0(VALU_DEP_4) | instskip(NEXT) | instid1(VALU_DEP_4)
	v_mul_u32_u24_e32 v37, 0x10001, v37
	v_mul_u32_u24_e32 v41, 0x10001, v16
	v_and_b32_e32 v16, 0xffff, v17
	v_mul_u32_u24_e32 v38, 0x10001, v38
	v_mul_u32_u24_e32 v39, 0x10001, v39
	v_pk_fma_f16 v24, v21, v37, v24
	v_pk_fma_f16 v32, v21, v41, v32
	v_mul_u32_u24_e32 v42, 0x10001, v16
	v_and_b32_e32 v16, 0xffff, v18
	v_pk_fma_f16 v29, v21, v38, v29
	v_pk_fma_f16 v31, v21, v39, v31
	s_delay_alu instid0(VALU_DEP_4) | instskip(NEXT) | instid1(VALU_DEP_4)
	v_pk_fma_f16 v25, v21, v42, v25
	v_mul_u32_u24_e32 v43, 0x10001, v16
	v_and_b32_e32 v16, 0xffff, v19
	s_delay_alu instid0(VALU_DEP_2) | instskip(NEXT) | instid1(VALU_DEP_2)
	v_pk_fma_f16 v30, v21, v43, v30
	v_mul_u32_u24_e32 v44, 0x10001, v16
	ds_load_b128 v[16:19], v147 offset:1488
	v_pk_fma_f16 v33, v21, v44, v33
	s_wait_dscnt 0x0
	v_dual_lshrrev_b32 v45, 16, v16 :: v_dual_lshrrev_b32 v46, 16, v17
	v_dual_lshrrev_b32 v47, 16, v18 :: v_dual_lshrrev_b32 v48, 16, v19
	v_and_b32_e32 v16, 0xffff, v16
	v_and_b32_e32 v17, 0xffff, v17
	;; [unrolled: 1-line block ×4, first 2 shown]
	v_mul_u32_u24_e32 v40, 0x10001, v40
	v_mul_u32_u24_e32 v16, 0x10001, v16
	;; [unrolled: 1-line block ×9, first 2 shown]
	v_pk_fma_f16 v34, v21, v40, v34
	v_pk_fma_f16 v35, v21, v16, v35
	;; [unrolled: 1-line block ×9, first 2 shown]
	ds_load_2addr_b32 v[20:21], v152 offset0:192 offset1:224
	ds_load_b128 v[16:19], v147 offset:480
	s_wait_dscnt 0x0
	v_lshrrev_b32_e32 v38, 16, v16
	v_and_b32_e32 v16, 0xffff, v16
	v_dual_lshrrev_b32 v39, 16, v17 :: v_dual_lshrrev_b32 v40, 16, v18
	v_lshrrev_b32_e32 v41, 16, v19
	s_delay_alu instid0(VALU_DEP_4) | instskip(NEXT) | instid1(VALU_DEP_4)
	v_mul_u32_u24_e32 v38, 0x10001, v38
	v_mul_u32_u24_e32 v42, 0x10001, v16
	v_and_b32_e32 v16, 0xffff, v17
	v_mul_u32_u24_e32 v39, 0x10001, v39
	v_mul_u32_u24_e32 v40, 0x10001, v40
	v_pk_fma_f16 v24, v20, v38, v24
	v_pk_fma_f16 v32, v20, v42, v32
	v_mul_u32_u24_e32 v43, 0x10001, v16
	v_and_b32_e32 v16, 0xffff, v18
	v_pk_fma_f16 v29, v20, v39, v29
	v_pk_fma_f16 v31, v20, v40, v31
	s_delay_alu instid0(VALU_DEP_4) | instskip(NEXT) | instid1(VALU_DEP_4)
	v_pk_fma_f16 v25, v20, v43, v25
	v_mul_u32_u24_e32 v44, 0x10001, v16
	v_and_b32_e32 v16, 0xffff, v19
	s_delay_alu instid0(VALU_DEP_2) | instskip(NEXT) | instid1(VALU_DEP_2)
	v_pk_fma_f16 v30, v20, v44, v30
	v_mul_u32_u24_e32 v45, 0x10001, v16
	ds_load_b128 v[16:19], v147 offset:1504
	v_pk_fma_f16 v33, v20, v45, v33
	s_wait_dscnt 0x0
	v_dual_lshrrev_b32 v46, 16, v16 :: v_dual_lshrrev_b32 v47, 16, v17
	v_dual_lshrrev_b32 v48, 16, v18 :: v_dual_lshrrev_b32 v49, 16, v19
	v_and_b32_e32 v16, 0xffff, v16
	v_and_b32_e32 v17, 0xffff, v17
	;; [unrolled: 1-line block ×4, first 2 shown]
	v_mul_u32_u24_e32 v41, 0x10001, v41
	v_mul_u32_u24_e32 v16, 0x10001, v16
	;; [unrolled: 1-line block ×6, first 2 shown]
	v_pk_fma_f16 v35, v20, v16, v35
	v_pk_fma_f16 v36, v20, v17, v36
	;; [unrolled: 1-line block ×4, first 2 shown]
	ds_load_b128 v[16:19], v147 offset:496
	v_mul_u32_u24_e32 v47, 0x10001, v47
	v_mul_u32_u24_e32 v48, 0x10001, v48
	;; [unrolled: 1-line block ×3, first 2 shown]
	v_pk_fma_f16 v34, v20, v41, v34
	v_pk_fma_f16 v26, v20, v46, v26
	v_pk_fma_f16 v27, v20, v47, v27
	v_pk_fma_f16 v28, v20, v48, v28
	v_pk_fma_f16 v20, v20, v49, v37
	s_wait_dscnt 0x0
	v_lshrrev_b32_e32 v37, 16, v16
	v_and_b32_e32 v16, 0xffff, v16
	v_dual_lshrrev_b32 v38, 16, v17 :: v_dual_lshrrev_b32 v39, 16, v18
	v_lshrrev_b32_e32 v40, 16, v19
	s_delay_alu instid0(VALU_DEP_4) | instskip(NEXT) | instid1(VALU_DEP_4)
	v_mul_u32_u24_e32 v37, 0x10001, v37
	v_mul_u32_u24_e32 v41, 0x10001, v16
	v_and_b32_e32 v16, 0xffff, v17
	v_mul_u32_u24_e32 v38, 0x10001, v38
	v_mul_u32_u24_e32 v39, 0x10001, v39
	v_pk_fma_f16 v24, v21, v37, v24
	v_pk_fma_f16 v32, v21, v41, v32
	v_mul_u32_u24_e32 v42, 0x10001, v16
	v_and_b32_e32 v16, 0xffff, v18
	v_pk_fma_f16 v29, v21, v38, v29
	v_pk_fma_f16 v31, v21, v39, v31
	s_delay_alu instid0(VALU_DEP_4) | instskip(NEXT) | instid1(VALU_DEP_4)
	v_pk_fma_f16 v25, v21, v42, v25
	v_mul_u32_u24_e32 v43, 0x10001, v16
	v_and_b32_e32 v16, 0xffff, v19
	s_delay_alu instid0(VALU_DEP_2) | instskip(NEXT) | instid1(VALU_DEP_2)
	v_pk_fma_f16 v30, v21, v43, v30
	v_mul_u32_u24_e32 v44, 0x10001, v16
	ds_load_b128 v[16:19], v147 offset:1520
	v_pk_fma_f16 v33, v21, v44, v33
	s_wait_dscnt 0x0
	v_dual_lshrrev_b32 v45, 16, v16 :: v_dual_lshrrev_b32 v46, 16, v17
	v_dual_lshrrev_b32 v47, 16, v18 :: v_dual_lshrrev_b32 v48, 16, v19
	v_and_b32_e32 v16, 0xffff, v16
	v_and_b32_e32 v17, 0xffff, v17
	;; [unrolled: 1-line block ×4, first 2 shown]
	v_mul_u32_u24_e32 v40, 0x10001, v40
	v_mul_u32_u24_e32 v16, 0x10001, v16
	;; [unrolled: 1-line block ×9, first 2 shown]
	v_pk_fma_f16 v34, v21, v40, v34
	v_pk_fma_f16 v35, v21, v16, v35
	;; [unrolled: 1-line block ×9, first 2 shown]
	ds_load_2addr_b32 v[20:21], v153 offset1:32
	ds_load_b128 v[16:19], v147 offset:512
	s_wait_dscnt 0x0
	v_lshrrev_b32_e32 v38, 16, v16
	v_and_b32_e32 v16, 0xffff, v16
	v_dual_lshrrev_b32 v39, 16, v17 :: v_dual_lshrrev_b32 v40, 16, v18
	v_lshrrev_b32_e32 v41, 16, v19
	s_delay_alu instid0(VALU_DEP_4) | instskip(NEXT) | instid1(VALU_DEP_4)
	v_mul_u32_u24_e32 v38, 0x10001, v38
	v_mul_u32_u24_e32 v42, 0x10001, v16
	v_and_b32_e32 v16, 0xffff, v17
	v_mul_u32_u24_e32 v39, 0x10001, v39
	v_mul_u32_u24_e32 v40, 0x10001, v40
	v_pk_fma_f16 v24, v20, v38, v24
	v_pk_fma_f16 v32, v20, v42, v32
	v_mul_u32_u24_e32 v43, 0x10001, v16
	v_and_b32_e32 v16, 0xffff, v18
	v_pk_fma_f16 v29, v20, v39, v29
	v_pk_fma_f16 v31, v20, v40, v31
	s_delay_alu instid0(VALU_DEP_4) | instskip(NEXT) | instid1(VALU_DEP_4)
	v_pk_fma_f16 v25, v20, v43, v25
	v_mul_u32_u24_e32 v44, 0x10001, v16
	v_and_b32_e32 v16, 0xffff, v19
	s_delay_alu instid0(VALU_DEP_2) | instskip(NEXT) | instid1(VALU_DEP_2)
	v_pk_fma_f16 v30, v20, v44, v30
	v_mul_u32_u24_e32 v45, 0x10001, v16
	ds_load_b128 v[16:19], v147 offset:1536
	v_pk_fma_f16 v33, v20, v45, v33
	s_wait_dscnt 0x0
	v_dual_lshrrev_b32 v46, 16, v16 :: v_dual_lshrrev_b32 v47, 16, v17
	v_dual_lshrrev_b32 v48, 16, v18 :: v_dual_lshrrev_b32 v49, 16, v19
	v_and_b32_e32 v16, 0xffff, v16
	v_and_b32_e32 v17, 0xffff, v17
	;; [unrolled: 1-line block ×4, first 2 shown]
	v_mul_u32_u24_e32 v41, 0x10001, v41
	v_mul_u32_u24_e32 v16, 0x10001, v16
	;; [unrolled: 1-line block ×6, first 2 shown]
	v_pk_fma_f16 v35, v20, v16, v35
	v_pk_fma_f16 v36, v20, v17, v36
	;; [unrolled: 1-line block ×4, first 2 shown]
	ds_load_b128 v[16:19], v147 offset:528
	v_mul_u32_u24_e32 v47, 0x10001, v47
	v_mul_u32_u24_e32 v48, 0x10001, v48
	;; [unrolled: 1-line block ×3, first 2 shown]
	v_pk_fma_f16 v34, v20, v41, v34
	v_pk_fma_f16 v26, v20, v46, v26
	;; [unrolled: 1-line block ×5, first 2 shown]
	s_wait_dscnt 0x0
	v_lshrrev_b32_e32 v37, 16, v16
	v_and_b32_e32 v16, 0xffff, v16
	v_dual_lshrrev_b32 v38, 16, v17 :: v_dual_lshrrev_b32 v39, 16, v18
	v_lshrrev_b32_e32 v40, 16, v19
	s_delay_alu instid0(VALU_DEP_4) | instskip(NEXT) | instid1(VALU_DEP_4)
	v_mul_u32_u24_e32 v37, 0x10001, v37
	v_mul_u32_u24_e32 v41, 0x10001, v16
	v_and_b32_e32 v16, 0xffff, v17
	v_mul_u32_u24_e32 v38, 0x10001, v38
	v_mul_u32_u24_e32 v39, 0x10001, v39
	v_pk_fma_f16 v24, v21, v37, v24
	v_pk_fma_f16 v32, v21, v41, v32
	v_mul_u32_u24_e32 v42, 0x10001, v16
	v_and_b32_e32 v16, 0xffff, v18
	v_pk_fma_f16 v29, v21, v38, v29
	v_pk_fma_f16 v31, v21, v39, v31
	s_delay_alu instid0(VALU_DEP_4) | instskip(NEXT) | instid1(VALU_DEP_4)
	v_pk_fma_f16 v25, v21, v42, v25
	v_mul_u32_u24_e32 v43, 0x10001, v16
	v_and_b32_e32 v16, 0xffff, v19
	s_delay_alu instid0(VALU_DEP_2) | instskip(NEXT) | instid1(VALU_DEP_2)
	v_pk_fma_f16 v30, v21, v43, v30
	v_mul_u32_u24_e32 v44, 0x10001, v16
	ds_load_b128 v[16:19], v147 offset:1552
	v_pk_fma_f16 v33, v21, v44, v33
	s_wait_dscnt 0x0
	v_dual_lshrrev_b32 v45, 16, v16 :: v_dual_lshrrev_b32 v46, 16, v17
	v_dual_lshrrev_b32 v47, 16, v18 :: v_dual_lshrrev_b32 v48, 16, v19
	v_and_b32_e32 v16, 0xffff, v16
	v_and_b32_e32 v17, 0xffff, v17
	;; [unrolled: 1-line block ×4, first 2 shown]
	v_mul_u32_u24_e32 v40, 0x10001, v40
	v_mul_u32_u24_e32 v16, 0x10001, v16
	;; [unrolled: 1-line block ×9, first 2 shown]
	v_pk_fma_f16 v34, v21, v40, v34
	v_pk_fma_f16 v35, v21, v16, v35
	;; [unrolled: 1-line block ×9, first 2 shown]
	ds_load_2addr_b32 v[20:21], v153 offset0:64 offset1:96
	ds_load_b128 v[16:19], v147 offset:544
	s_wait_dscnt 0x0
	v_lshrrev_b32_e32 v38, 16, v16
	v_and_b32_e32 v16, 0xffff, v16
	v_dual_lshrrev_b32 v39, 16, v17 :: v_dual_lshrrev_b32 v40, 16, v18
	v_lshrrev_b32_e32 v41, 16, v19
	s_delay_alu instid0(VALU_DEP_4) | instskip(NEXT) | instid1(VALU_DEP_4)
	v_mul_u32_u24_e32 v38, 0x10001, v38
	v_mul_u32_u24_e32 v42, 0x10001, v16
	v_and_b32_e32 v16, 0xffff, v17
	v_mul_u32_u24_e32 v39, 0x10001, v39
	v_mul_u32_u24_e32 v40, 0x10001, v40
	v_pk_fma_f16 v24, v20, v38, v24
	v_pk_fma_f16 v32, v20, v42, v32
	v_mul_u32_u24_e32 v43, 0x10001, v16
	v_and_b32_e32 v16, 0xffff, v18
	v_pk_fma_f16 v29, v20, v39, v29
	v_pk_fma_f16 v31, v20, v40, v31
	s_delay_alu instid0(VALU_DEP_4) | instskip(NEXT) | instid1(VALU_DEP_4)
	v_pk_fma_f16 v25, v20, v43, v25
	v_mul_u32_u24_e32 v44, 0x10001, v16
	v_and_b32_e32 v16, 0xffff, v19
	s_delay_alu instid0(VALU_DEP_2) | instskip(NEXT) | instid1(VALU_DEP_2)
	v_pk_fma_f16 v30, v20, v44, v30
	v_mul_u32_u24_e32 v45, 0x10001, v16
	ds_load_b128 v[16:19], v147 offset:1568
	v_pk_fma_f16 v33, v20, v45, v33
	s_wait_dscnt 0x0
	v_dual_lshrrev_b32 v46, 16, v16 :: v_dual_lshrrev_b32 v47, 16, v17
	v_dual_lshrrev_b32 v48, 16, v18 :: v_dual_lshrrev_b32 v49, 16, v19
	v_and_b32_e32 v16, 0xffff, v16
	v_and_b32_e32 v17, 0xffff, v17
	;; [unrolled: 1-line block ×4, first 2 shown]
	v_mul_u32_u24_e32 v41, 0x10001, v41
	v_mul_u32_u24_e32 v16, 0x10001, v16
	;; [unrolled: 1-line block ×6, first 2 shown]
	v_pk_fma_f16 v35, v20, v16, v35
	v_pk_fma_f16 v36, v20, v17, v36
	;; [unrolled: 1-line block ×4, first 2 shown]
	ds_load_b128 v[16:19], v147 offset:560
	v_mul_u32_u24_e32 v47, 0x10001, v47
	v_mul_u32_u24_e32 v48, 0x10001, v48
	v_mul_u32_u24_e32 v49, 0x10001, v49
	v_pk_fma_f16 v34, v20, v41, v34
	v_pk_fma_f16 v26, v20, v46, v26
	;; [unrolled: 1-line block ×5, first 2 shown]
	s_wait_dscnt 0x0
	v_lshrrev_b32_e32 v37, 16, v16
	v_and_b32_e32 v16, 0xffff, v16
	v_dual_lshrrev_b32 v38, 16, v17 :: v_dual_lshrrev_b32 v39, 16, v18
	v_lshrrev_b32_e32 v40, 16, v19
	s_delay_alu instid0(VALU_DEP_4) | instskip(NEXT) | instid1(VALU_DEP_4)
	v_mul_u32_u24_e32 v37, 0x10001, v37
	v_mul_u32_u24_e32 v41, 0x10001, v16
	v_and_b32_e32 v16, 0xffff, v17
	v_mul_u32_u24_e32 v38, 0x10001, v38
	v_mul_u32_u24_e32 v39, 0x10001, v39
	v_pk_fma_f16 v24, v21, v37, v24
	v_pk_fma_f16 v32, v21, v41, v32
	v_mul_u32_u24_e32 v42, 0x10001, v16
	v_and_b32_e32 v16, 0xffff, v18
	v_pk_fma_f16 v29, v21, v38, v29
	v_pk_fma_f16 v31, v21, v39, v31
	s_delay_alu instid0(VALU_DEP_4) | instskip(NEXT) | instid1(VALU_DEP_4)
	v_pk_fma_f16 v25, v21, v42, v25
	v_mul_u32_u24_e32 v43, 0x10001, v16
	v_and_b32_e32 v16, 0xffff, v19
	s_delay_alu instid0(VALU_DEP_2) | instskip(NEXT) | instid1(VALU_DEP_2)
	v_pk_fma_f16 v30, v21, v43, v30
	v_mul_u32_u24_e32 v44, 0x10001, v16
	ds_load_b128 v[16:19], v147 offset:1584
	v_pk_fma_f16 v33, v21, v44, v33
	s_wait_dscnt 0x0
	v_dual_lshrrev_b32 v45, 16, v16 :: v_dual_lshrrev_b32 v46, 16, v17
	v_dual_lshrrev_b32 v47, 16, v18 :: v_dual_lshrrev_b32 v48, 16, v19
	v_and_b32_e32 v16, 0xffff, v16
	v_and_b32_e32 v17, 0xffff, v17
	;; [unrolled: 1-line block ×4, first 2 shown]
	v_mul_u32_u24_e32 v40, 0x10001, v40
	v_mul_u32_u24_e32 v16, 0x10001, v16
	;; [unrolled: 1-line block ×9, first 2 shown]
	v_pk_fma_f16 v34, v21, v40, v34
	v_pk_fma_f16 v35, v21, v16, v35
	;; [unrolled: 1-line block ×9, first 2 shown]
	ds_load_2addr_b32 v[20:21], v153 offset0:128 offset1:160
	ds_load_b128 v[16:19], v147 offset:576
	s_wait_dscnt 0x0
	v_lshrrev_b32_e32 v38, 16, v16
	v_and_b32_e32 v16, 0xffff, v16
	v_dual_lshrrev_b32 v39, 16, v17 :: v_dual_lshrrev_b32 v40, 16, v18
	v_lshrrev_b32_e32 v41, 16, v19
	s_delay_alu instid0(VALU_DEP_4) | instskip(NEXT) | instid1(VALU_DEP_4)
	v_mul_u32_u24_e32 v38, 0x10001, v38
	v_mul_u32_u24_e32 v42, 0x10001, v16
	v_and_b32_e32 v16, 0xffff, v17
	v_mul_u32_u24_e32 v39, 0x10001, v39
	v_mul_u32_u24_e32 v40, 0x10001, v40
	v_pk_fma_f16 v24, v20, v38, v24
	v_pk_fma_f16 v32, v20, v42, v32
	v_mul_u32_u24_e32 v43, 0x10001, v16
	v_and_b32_e32 v16, 0xffff, v18
	v_pk_fma_f16 v29, v20, v39, v29
	v_pk_fma_f16 v31, v20, v40, v31
	s_delay_alu instid0(VALU_DEP_4) | instskip(NEXT) | instid1(VALU_DEP_4)
	v_pk_fma_f16 v25, v20, v43, v25
	v_mul_u32_u24_e32 v44, 0x10001, v16
	v_and_b32_e32 v16, 0xffff, v19
	s_delay_alu instid0(VALU_DEP_2) | instskip(NEXT) | instid1(VALU_DEP_2)
	v_pk_fma_f16 v30, v20, v44, v30
	v_mul_u32_u24_e32 v45, 0x10001, v16
	ds_load_b128 v[16:19], v147 offset:1600
	v_pk_fma_f16 v33, v20, v45, v33
	s_wait_dscnt 0x0
	v_dual_lshrrev_b32 v46, 16, v16 :: v_dual_lshrrev_b32 v47, 16, v17
	v_dual_lshrrev_b32 v48, 16, v18 :: v_dual_lshrrev_b32 v49, 16, v19
	v_and_b32_e32 v16, 0xffff, v16
	v_and_b32_e32 v17, 0xffff, v17
	;; [unrolled: 1-line block ×4, first 2 shown]
	v_mul_u32_u24_e32 v41, 0x10001, v41
	v_mul_u32_u24_e32 v16, 0x10001, v16
	;; [unrolled: 1-line block ×6, first 2 shown]
	v_pk_fma_f16 v35, v20, v16, v35
	v_pk_fma_f16 v36, v20, v17, v36
	;; [unrolled: 1-line block ×4, first 2 shown]
	ds_load_b128 v[16:19], v147 offset:592
	v_mul_u32_u24_e32 v47, 0x10001, v47
	v_mul_u32_u24_e32 v48, 0x10001, v48
	;; [unrolled: 1-line block ×3, first 2 shown]
	v_pk_fma_f16 v34, v20, v41, v34
	v_pk_fma_f16 v26, v20, v46, v26
	;; [unrolled: 1-line block ×5, first 2 shown]
	s_wait_dscnt 0x0
	v_lshrrev_b32_e32 v37, 16, v16
	v_and_b32_e32 v16, 0xffff, v16
	v_dual_lshrrev_b32 v38, 16, v17 :: v_dual_lshrrev_b32 v39, 16, v18
	v_lshrrev_b32_e32 v40, 16, v19
	s_delay_alu instid0(VALU_DEP_4) | instskip(NEXT) | instid1(VALU_DEP_4)
	v_mul_u32_u24_e32 v37, 0x10001, v37
	v_mul_u32_u24_e32 v41, 0x10001, v16
	v_and_b32_e32 v16, 0xffff, v17
	v_mul_u32_u24_e32 v38, 0x10001, v38
	v_mul_u32_u24_e32 v39, 0x10001, v39
	v_pk_fma_f16 v24, v21, v37, v24
	v_pk_fma_f16 v32, v21, v41, v32
	v_mul_u32_u24_e32 v42, 0x10001, v16
	v_and_b32_e32 v16, 0xffff, v18
	v_pk_fma_f16 v29, v21, v38, v29
	v_pk_fma_f16 v31, v21, v39, v31
	s_delay_alu instid0(VALU_DEP_4) | instskip(NEXT) | instid1(VALU_DEP_4)
	v_pk_fma_f16 v25, v21, v42, v25
	v_mul_u32_u24_e32 v43, 0x10001, v16
	v_and_b32_e32 v16, 0xffff, v19
	s_delay_alu instid0(VALU_DEP_2) | instskip(NEXT) | instid1(VALU_DEP_2)
	v_pk_fma_f16 v30, v21, v43, v30
	v_mul_u32_u24_e32 v44, 0x10001, v16
	ds_load_b128 v[16:19], v147 offset:1616
	v_pk_fma_f16 v33, v21, v44, v33
	s_wait_dscnt 0x0
	v_dual_lshrrev_b32 v45, 16, v16 :: v_dual_lshrrev_b32 v46, 16, v17
	v_dual_lshrrev_b32 v47, 16, v18 :: v_dual_lshrrev_b32 v48, 16, v19
	v_and_b32_e32 v16, 0xffff, v16
	v_and_b32_e32 v17, 0xffff, v17
	v_and_b32_e32 v18, 0xffff, v18
	v_and_b32_e32 v19, 0xffff, v19
	v_mul_u32_u24_e32 v40, 0x10001, v40
	v_mul_u32_u24_e32 v16, 0x10001, v16
	;; [unrolled: 1-line block ×9, first 2 shown]
	v_pk_fma_f16 v34, v21, v40, v34
	v_pk_fma_f16 v35, v21, v16, v35
	;; [unrolled: 1-line block ×9, first 2 shown]
	ds_load_2addr_b32 v[20:21], v153 offset0:192 offset1:224
	ds_load_b128 v[16:19], v147 offset:608
	s_wait_dscnt 0x0
	v_lshrrev_b32_e32 v38, 16, v16
	v_and_b32_e32 v16, 0xffff, v16
	v_dual_lshrrev_b32 v39, 16, v17 :: v_dual_lshrrev_b32 v40, 16, v18
	v_lshrrev_b32_e32 v41, 16, v19
	s_delay_alu instid0(VALU_DEP_4) | instskip(NEXT) | instid1(VALU_DEP_4)
	v_mul_u32_u24_e32 v38, 0x10001, v38
	v_mul_u32_u24_e32 v42, 0x10001, v16
	v_and_b32_e32 v16, 0xffff, v17
	v_mul_u32_u24_e32 v39, 0x10001, v39
	v_mul_u32_u24_e32 v40, 0x10001, v40
	v_pk_fma_f16 v24, v20, v38, v24
	v_pk_fma_f16 v32, v20, v42, v32
	v_mul_u32_u24_e32 v43, 0x10001, v16
	v_and_b32_e32 v16, 0xffff, v18
	v_pk_fma_f16 v29, v20, v39, v29
	v_pk_fma_f16 v31, v20, v40, v31
	s_delay_alu instid0(VALU_DEP_4) | instskip(NEXT) | instid1(VALU_DEP_4)
	v_pk_fma_f16 v25, v20, v43, v25
	v_mul_u32_u24_e32 v44, 0x10001, v16
	v_and_b32_e32 v16, 0xffff, v19
	s_delay_alu instid0(VALU_DEP_2) | instskip(NEXT) | instid1(VALU_DEP_2)
	v_pk_fma_f16 v30, v20, v44, v30
	v_mul_u32_u24_e32 v45, 0x10001, v16
	ds_load_b128 v[16:19], v147 offset:1632
	v_pk_fma_f16 v33, v20, v45, v33
	s_wait_dscnt 0x0
	v_dual_lshrrev_b32 v46, 16, v16 :: v_dual_lshrrev_b32 v47, 16, v17
	v_dual_lshrrev_b32 v48, 16, v18 :: v_dual_lshrrev_b32 v49, 16, v19
	v_and_b32_e32 v16, 0xffff, v16
	v_and_b32_e32 v17, 0xffff, v17
	;; [unrolled: 1-line block ×4, first 2 shown]
	v_mul_u32_u24_e32 v41, 0x10001, v41
	v_mul_u32_u24_e32 v16, 0x10001, v16
	;; [unrolled: 1-line block ×6, first 2 shown]
	v_pk_fma_f16 v35, v20, v16, v35
	v_pk_fma_f16 v36, v20, v17, v36
	v_pk_fma_f16 v22, v20, v18, v22
	v_pk_fma_f16 v23, v20, v19, v23
	ds_load_b128 v[16:19], v147 offset:624
	v_mul_u32_u24_e32 v47, 0x10001, v47
	v_mul_u32_u24_e32 v48, 0x10001, v48
	;; [unrolled: 1-line block ×3, first 2 shown]
	v_pk_fma_f16 v34, v20, v41, v34
	v_pk_fma_f16 v26, v20, v46, v26
	;; [unrolled: 1-line block ×5, first 2 shown]
	s_wait_dscnt 0x0
	v_lshrrev_b32_e32 v37, 16, v16
	v_and_b32_e32 v16, 0xffff, v16
	v_dual_lshrrev_b32 v38, 16, v17 :: v_dual_lshrrev_b32 v39, 16, v18
	v_lshrrev_b32_e32 v40, 16, v19
	s_delay_alu instid0(VALU_DEP_4) | instskip(NEXT) | instid1(VALU_DEP_4)
	v_mul_u32_u24_e32 v37, 0x10001, v37
	v_mul_u32_u24_e32 v41, 0x10001, v16
	v_and_b32_e32 v16, 0xffff, v17
	v_mul_u32_u24_e32 v38, 0x10001, v38
	v_mul_u32_u24_e32 v39, 0x10001, v39
	v_pk_fma_f16 v24, v21, v37, v24
	v_pk_fma_f16 v32, v21, v41, v32
	v_mul_u32_u24_e32 v42, 0x10001, v16
	v_and_b32_e32 v16, 0xffff, v18
	v_pk_fma_f16 v29, v21, v38, v29
	v_pk_fma_f16 v31, v21, v39, v31
	s_delay_alu instid0(VALU_DEP_4) | instskip(NEXT) | instid1(VALU_DEP_4)
	v_pk_fma_f16 v25, v21, v42, v25
	v_mul_u32_u24_e32 v43, 0x10001, v16
	v_and_b32_e32 v16, 0xffff, v19
	s_delay_alu instid0(VALU_DEP_2) | instskip(NEXT) | instid1(VALU_DEP_2)
	v_pk_fma_f16 v30, v21, v43, v30
	v_mul_u32_u24_e32 v44, 0x10001, v16
	ds_load_b128 v[16:19], v147 offset:1648
	v_pk_fma_f16 v33, v21, v44, v33
	s_wait_dscnt 0x0
	v_dual_lshrrev_b32 v45, 16, v16 :: v_dual_lshrrev_b32 v46, 16, v17
	v_dual_lshrrev_b32 v47, 16, v18 :: v_dual_lshrrev_b32 v48, 16, v19
	v_and_b32_e32 v16, 0xffff, v16
	v_and_b32_e32 v17, 0xffff, v17
	;; [unrolled: 1-line block ×4, first 2 shown]
	v_mul_u32_u24_e32 v40, 0x10001, v40
	v_mul_u32_u24_e32 v16, 0x10001, v16
	;; [unrolled: 1-line block ×9, first 2 shown]
	v_pk_fma_f16 v34, v21, v40, v34
	v_pk_fma_f16 v35, v21, v16, v35
	;; [unrolled: 1-line block ×9, first 2 shown]
	ds_load_2addr_b32 v[20:21], v154 offset1:32
	ds_load_b128 v[16:19], v147 offset:640
	s_wait_dscnt 0x0
	v_lshrrev_b32_e32 v38, 16, v16
	v_and_b32_e32 v16, 0xffff, v16
	v_dual_lshrrev_b32 v39, 16, v17 :: v_dual_lshrrev_b32 v40, 16, v18
	v_lshrrev_b32_e32 v41, 16, v19
	s_delay_alu instid0(VALU_DEP_4) | instskip(NEXT) | instid1(VALU_DEP_4)
	v_mul_u32_u24_e32 v38, 0x10001, v38
	v_mul_u32_u24_e32 v42, 0x10001, v16
	v_and_b32_e32 v16, 0xffff, v17
	v_mul_u32_u24_e32 v39, 0x10001, v39
	v_mul_u32_u24_e32 v40, 0x10001, v40
	v_pk_fma_f16 v24, v20, v38, v24
	v_pk_fma_f16 v32, v20, v42, v32
	v_mul_u32_u24_e32 v43, 0x10001, v16
	v_and_b32_e32 v16, 0xffff, v18
	v_pk_fma_f16 v29, v20, v39, v29
	v_pk_fma_f16 v31, v20, v40, v31
	s_delay_alu instid0(VALU_DEP_4) | instskip(NEXT) | instid1(VALU_DEP_4)
	v_pk_fma_f16 v25, v20, v43, v25
	v_mul_u32_u24_e32 v44, 0x10001, v16
	v_and_b32_e32 v16, 0xffff, v19
	s_delay_alu instid0(VALU_DEP_2) | instskip(NEXT) | instid1(VALU_DEP_2)
	v_pk_fma_f16 v30, v20, v44, v30
	v_mul_u32_u24_e32 v45, 0x10001, v16
	ds_load_b128 v[16:19], v147 offset:1664
	v_pk_fma_f16 v33, v20, v45, v33
	s_wait_dscnt 0x0
	v_dual_lshrrev_b32 v46, 16, v16 :: v_dual_lshrrev_b32 v47, 16, v17
	v_dual_lshrrev_b32 v48, 16, v18 :: v_dual_lshrrev_b32 v49, 16, v19
	v_and_b32_e32 v16, 0xffff, v16
	v_and_b32_e32 v17, 0xffff, v17
	;; [unrolled: 1-line block ×4, first 2 shown]
	v_mul_u32_u24_e32 v41, 0x10001, v41
	v_mul_u32_u24_e32 v16, 0x10001, v16
	;; [unrolled: 1-line block ×6, first 2 shown]
	v_pk_fma_f16 v35, v20, v16, v35
	v_pk_fma_f16 v36, v20, v17, v36
	;; [unrolled: 1-line block ×4, first 2 shown]
	ds_load_b128 v[16:19], v147 offset:656
	v_mul_u32_u24_e32 v47, 0x10001, v47
	v_mul_u32_u24_e32 v48, 0x10001, v48
	;; [unrolled: 1-line block ×3, first 2 shown]
	v_pk_fma_f16 v34, v20, v41, v34
	v_pk_fma_f16 v26, v20, v46, v26
	;; [unrolled: 1-line block ×5, first 2 shown]
	s_wait_dscnt 0x0
	v_lshrrev_b32_e32 v37, 16, v16
	v_and_b32_e32 v16, 0xffff, v16
	v_dual_lshrrev_b32 v38, 16, v17 :: v_dual_lshrrev_b32 v39, 16, v18
	v_lshrrev_b32_e32 v40, 16, v19
	s_delay_alu instid0(VALU_DEP_4) | instskip(NEXT) | instid1(VALU_DEP_4)
	v_mul_u32_u24_e32 v37, 0x10001, v37
	v_mul_u32_u24_e32 v41, 0x10001, v16
	v_and_b32_e32 v16, 0xffff, v17
	v_mul_u32_u24_e32 v38, 0x10001, v38
	v_mul_u32_u24_e32 v39, 0x10001, v39
	v_pk_fma_f16 v24, v21, v37, v24
	v_pk_fma_f16 v32, v21, v41, v32
	v_mul_u32_u24_e32 v42, 0x10001, v16
	v_and_b32_e32 v16, 0xffff, v18
	v_pk_fma_f16 v29, v21, v38, v29
	v_pk_fma_f16 v31, v21, v39, v31
	s_delay_alu instid0(VALU_DEP_4) | instskip(NEXT) | instid1(VALU_DEP_4)
	v_pk_fma_f16 v25, v21, v42, v25
	v_mul_u32_u24_e32 v43, 0x10001, v16
	v_and_b32_e32 v16, 0xffff, v19
	s_delay_alu instid0(VALU_DEP_2) | instskip(NEXT) | instid1(VALU_DEP_2)
	v_pk_fma_f16 v30, v21, v43, v30
	v_mul_u32_u24_e32 v44, 0x10001, v16
	ds_load_b128 v[16:19], v147 offset:1680
	v_pk_fma_f16 v33, v21, v44, v33
	s_wait_dscnt 0x0
	v_dual_lshrrev_b32 v45, 16, v16 :: v_dual_lshrrev_b32 v46, 16, v17
	v_dual_lshrrev_b32 v47, 16, v18 :: v_dual_lshrrev_b32 v48, 16, v19
	v_and_b32_e32 v16, 0xffff, v16
	v_and_b32_e32 v17, 0xffff, v17
	;; [unrolled: 1-line block ×4, first 2 shown]
	v_mul_u32_u24_e32 v40, 0x10001, v40
	v_mul_u32_u24_e32 v16, 0x10001, v16
	;; [unrolled: 1-line block ×9, first 2 shown]
	v_pk_fma_f16 v34, v21, v40, v34
	v_pk_fma_f16 v35, v21, v16, v35
	;; [unrolled: 1-line block ×9, first 2 shown]
	ds_load_2addr_b32 v[20:21], v154 offset0:64 offset1:96
	ds_load_b128 v[16:19], v147 offset:672
	s_wait_dscnt 0x0
	v_lshrrev_b32_e32 v38, 16, v16
	v_and_b32_e32 v16, 0xffff, v16
	v_dual_lshrrev_b32 v39, 16, v17 :: v_dual_lshrrev_b32 v40, 16, v18
	v_lshrrev_b32_e32 v41, 16, v19
	s_delay_alu instid0(VALU_DEP_4) | instskip(NEXT) | instid1(VALU_DEP_4)
	v_mul_u32_u24_e32 v38, 0x10001, v38
	v_mul_u32_u24_e32 v42, 0x10001, v16
	v_and_b32_e32 v16, 0xffff, v17
	v_mul_u32_u24_e32 v39, 0x10001, v39
	v_mul_u32_u24_e32 v40, 0x10001, v40
	v_pk_fma_f16 v24, v20, v38, v24
	v_pk_fma_f16 v32, v20, v42, v32
	v_mul_u32_u24_e32 v43, 0x10001, v16
	v_and_b32_e32 v16, 0xffff, v18
	v_pk_fma_f16 v29, v20, v39, v29
	v_pk_fma_f16 v31, v20, v40, v31
	s_delay_alu instid0(VALU_DEP_4) | instskip(NEXT) | instid1(VALU_DEP_4)
	v_pk_fma_f16 v25, v20, v43, v25
	v_mul_u32_u24_e32 v44, 0x10001, v16
	v_and_b32_e32 v16, 0xffff, v19
	s_delay_alu instid0(VALU_DEP_2) | instskip(NEXT) | instid1(VALU_DEP_2)
	v_pk_fma_f16 v30, v20, v44, v30
	v_mul_u32_u24_e32 v45, 0x10001, v16
	ds_load_b128 v[16:19], v147 offset:1696
	v_pk_fma_f16 v33, v20, v45, v33
	s_wait_dscnt 0x0
	v_dual_lshrrev_b32 v46, 16, v16 :: v_dual_lshrrev_b32 v47, 16, v17
	v_dual_lshrrev_b32 v48, 16, v18 :: v_dual_lshrrev_b32 v49, 16, v19
	v_and_b32_e32 v16, 0xffff, v16
	v_and_b32_e32 v17, 0xffff, v17
	;; [unrolled: 1-line block ×4, first 2 shown]
	v_mul_u32_u24_e32 v41, 0x10001, v41
	v_mul_u32_u24_e32 v16, 0x10001, v16
	;; [unrolled: 1-line block ×6, first 2 shown]
	v_pk_fma_f16 v35, v20, v16, v35
	v_pk_fma_f16 v36, v20, v17, v36
	;; [unrolled: 1-line block ×4, first 2 shown]
	ds_load_b128 v[16:19], v147 offset:688
	v_mul_u32_u24_e32 v47, 0x10001, v47
	v_mul_u32_u24_e32 v48, 0x10001, v48
	;; [unrolled: 1-line block ×3, first 2 shown]
	v_pk_fma_f16 v34, v20, v41, v34
	v_pk_fma_f16 v26, v20, v46, v26
	;; [unrolled: 1-line block ×5, first 2 shown]
	s_wait_dscnt 0x0
	v_lshrrev_b32_e32 v37, 16, v16
	v_and_b32_e32 v16, 0xffff, v16
	v_dual_lshrrev_b32 v38, 16, v17 :: v_dual_lshrrev_b32 v39, 16, v18
	v_lshrrev_b32_e32 v40, 16, v19
	s_delay_alu instid0(VALU_DEP_4) | instskip(NEXT) | instid1(VALU_DEP_4)
	v_mul_u32_u24_e32 v37, 0x10001, v37
	v_mul_u32_u24_e32 v41, 0x10001, v16
	v_and_b32_e32 v16, 0xffff, v17
	v_mul_u32_u24_e32 v38, 0x10001, v38
	v_mul_u32_u24_e32 v39, 0x10001, v39
	v_pk_fma_f16 v24, v21, v37, v24
	v_pk_fma_f16 v32, v21, v41, v32
	v_mul_u32_u24_e32 v42, 0x10001, v16
	v_and_b32_e32 v16, 0xffff, v18
	v_pk_fma_f16 v29, v21, v38, v29
	v_pk_fma_f16 v31, v21, v39, v31
	s_delay_alu instid0(VALU_DEP_4) | instskip(NEXT) | instid1(VALU_DEP_4)
	v_pk_fma_f16 v25, v21, v42, v25
	v_mul_u32_u24_e32 v43, 0x10001, v16
	v_and_b32_e32 v16, 0xffff, v19
	s_delay_alu instid0(VALU_DEP_2) | instskip(NEXT) | instid1(VALU_DEP_2)
	v_pk_fma_f16 v30, v21, v43, v30
	v_mul_u32_u24_e32 v44, 0x10001, v16
	ds_load_b128 v[16:19], v147 offset:1712
	v_pk_fma_f16 v33, v21, v44, v33
	s_wait_dscnt 0x0
	v_dual_lshrrev_b32 v45, 16, v16 :: v_dual_lshrrev_b32 v46, 16, v17
	v_dual_lshrrev_b32 v47, 16, v18 :: v_dual_lshrrev_b32 v48, 16, v19
	v_and_b32_e32 v16, 0xffff, v16
	v_and_b32_e32 v17, 0xffff, v17
	;; [unrolled: 1-line block ×4, first 2 shown]
	v_mul_u32_u24_e32 v40, 0x10001, v40
	v_mul_u32_u24_e32 v16, 0x10001, v16
	;; [unrolled: 1-line block ×9, first 2 shown]
	v_pk_fma_f16 v34, v21, v40, v34
	v_pk_fma_f16 v35, v21, v16, v35
	;; [unrolled: 1-line block ×9, first 2 shown]
	ds_load_2addr_b32 v[20:21], v154 offset0:128 offset1:160
	ds_load_b128 v[16:19], v147 offset:704
	s_wait_dscnt 0x0
	v_lshrrev_b32_e32 v38, 16, v16
	v_and_b32_e32 v16, 0xffff, v16
	v_dual_lshrrev_b32 v39, 16, v17 :: v_dual_lshrrev_b32 v40, 16, v18
	v_lshrrev_b32_e32 v41, 16, v19
	s_delay_alu instid0(VALU_DEP_4) | instskip(NEXT) | instid1(VALU_DEP_4)
	v_mul_u32_u24_e32 v38, 0x10001, v38
	v_mul_u32_u24_e32 v42, 0x10001, v16
	v_and_b32_e32 v16, 0xffff, v17
	v_mul_u32_u24_e32 v39, 0x10001, v39
	v_mul_u32_u24_e32 v40, 0x10001, v40
	v_pk_fma_f16 v24, v20, v38, v24
	v_pk_fma_f16 v32, v20, v42, v32
	v_mul_u32_u24_e32 v43, 0x10001, v16
	v_and_b32_e32 v16, 0xffff, v18
	v_pk_fma_f16 v29, v20, v39, v29
	v_pk_fma_f16 v31, v20, v40, v31
	s_delay_alu instid0(VALU_DEP_4) | instskip(NEXT) | instid1(VALU_DEP_4)
	v_pk_fma_f16 v25, v20, v43, v25
	v_mul_u32_u24_e32 v44, 0x10001, v16
	v_and_b32_e32 v16, 0xffff, v19
	s_delay_alu instid0(VALU_DEP_2) | instskip(NEXT) | instid1(VALU_DEP_2)
	v_pk_fma_f16 v30, v20, v44, v30
	v_mul_u32_u24_e32 v45, 0x10001, v16
	ds_load_b128 v[16:19], v147 offset:1728
	v_pk_fma_f16 v33, v20, v45, v33
	s_wait_dscnt 0x0
	v_dual_lshrrev_b32 v46, 16, v16 :: v_dual_lshrrev_b32 v47, 16, v17
	v_dual_lshrrev_b32 v48, 16, v18 :: v_dual_lshrrev_b32 v49, 16, v19
	v_and_b32_e32 v16, 0xffff, v16
	v_and_b32_e32 v17, 0xffff, v17
	;; [unrolled: 1-line block ×4, first 2 shown]
	v_mul_u32_u24_e32 v41, 0x10001, v41
	v_mul_u32_u24_e32 v16, 0x10001, v16
	;; [unrolled: 1-line block ×6, first 2 shown]
	v_pk_fma_f16 v35, v20, v16, v35
	v_pk_fma_f16 v36, v20, v17, v36
	;; [unrolled: 1-line block ×4, first 2 shown]
	ds_load_b128 v[16:19], v147 offset:720
	v_mul_u32_u24_e32 v47, 0x10001, v47
	v_mul_u32_u24_e32 v48, 0x10001, v48
	;; [unrolled: 1-line block ×3, first 2 shown]
	v_pk_fma_f16 v34, v20, v41, v34
	v_pk_fma_f16 v26, v20, v46, v26
	;; [unrolled: 1-line block ×5, first 2 shown]
	s_wait_dscnt 0x0
	v_lshrrev_b32_e32 v37, 16, v16
	v_and_b32_e32 v16, 0xffff, v16
	v_dual_lshrrev_b32 v38, 16, v17 :: v_dual_lshrrev_b32 v39, 16, v18
	v_lshrrev_b32_e32 v40, 16, v19
	s_delay_alu instid0(VALU_DEP_4) | instskip(NEXT) | instid1(VALU_DEP_4)
	v_mul_u32_u24_e32 v37, 0x10001, v37
	v_mul_u32_u24_e32 v41, 0x10001, v16
	v_and_b32_e32 v16, 0xffff, v17
	v_mul_u32_u24_e32 v38, 0x10001, v38
	v_mul_u32_u24_e32 v39, 0x10001, v39
	v_pk_fma_f16 v24, v21, v37, v24
	v_pk_fma_f16 v32, v21, v41, v32
	v_mul_u32_u24_e32 v42, 0x10001, v16
	v_and_b32_e32 v16, 0xffff, v18
	v_pk_fma_f16 v29, v21, v38, v29
	v_pk_fma_f16 v31, v21, v39, v31
	s_delay_alu instid0(VALU_DEP_4) | instskip(NEXT) | instid1(VALU_DEP_4)
	v_pk_fma_f16 v25, v21, v42, v25
	v_mul_u32_u24_e32 v43, 0x10001, v16
	v_and_b32_e32 v16, 0xffff, v19
	s_delay_alu instid0(VALU_DEP_2) | instskip(NEXT) | instid1(VALU_DEP_2)
	v_pk_fma_f16 v30, v21, v43, v30
	v_mul_u32_u24_e32 v44, 0x10001, v16
	ds_load_b128 v[16:19], v147 offset:1744
	v_pk_fma_f16 v33, v21, v44, v33
	s_wait_dscnt 0x0
	v_dual_lshrrev_b32 v45, 16, v16 :: v_dual_lshrrev_b32 v46, 16, v17
	v_dual_lshrrev_b32 v47, 16, v18 :: v_dual_lshrrev_b32 v48, 16, v19
	v_and_b32_e32 v16, 0xffff, v16
	v_and_b32_e32 v17, 0xffff, v17
	;; [unrolled: 1-line block ×4, first 2 shown]
	v_mul_u32_u24_e32 v40, 0x10001, v40
	v_mul_u32_u24_e32 v16, 0x10001, v16
	;; [unrolled: 1-line block ×9, first 2 shown]
	v_pk_fma_f16 v34, v21, v40, v34
	v_pk_fma_f16 v35, v21, v16, v35
	v_pk_fma_f16 v26, v21, v45, v26
	v_pk_fma_f16 v36, v21, v17, v36
	v_pk_fma_f16 v27, v21, v46, v27
	v_pk_fma_f16 v22, v21, v18, v22
	v_pk_fma_f16 v28, v21, v47, v28
	v_pk_fma_f16 v23, v21, v19, v23
	v_pk_fma_f16 v37, v21, v48, v20
	ds_load_2addr_b32 v[20:21], v154 offset0:192 offset1:224
	ds_load_b128 v[16:19], v147 offset:736
	s_wait_dscnt 0x0
	v_lshrrev_b32_e32 v38, 16, v16
	v_and_b32_e32 v16, 0xffff, v16
	v_dual_lshrrev_b32 v39, 16, v17 :: v_dual_lshrrev_b32 v40, 16, v18
	v_lshrrev_b32_e32 v41, 16, v19
	s_delay_alu instid0(VALU_DEP_4) | instskip(NEXT) | instid1(VALU_DEP_4)
	v_mul_u32_u24_e32 v38, 0x10001, v38
	v_mul_u32_u24_e32 v42, 0x10001, v16
	v_and_b32_e32 v16, 0xffff, v17
	v_mul_u32_u24_e32 v39, 0x10001, v39
	v_mul_u32_u24_e32 v40, 0x10001, v40
	v_pk_fma_f16 v24, v20, v38, v24
	v_pk_fma_f16 v32, v20, v42, v32
	v_mul_u32_u24_e32 v43, 0x10001, v16
	v_and_b32_e32 v16, 0xffff, v18
	v_pk_fma_f16 v29, v20, v39, v29
	v_pk_fma_f16 v31, v20, v40, v31
	s_delay_alu instid0(VALU_DEP_4) | instskip(NEXT) | instid1(VALU_DEP_4)
	v_pk_fma_f16 v25, v20, v43, v25
	v_mul_u32_u24_e32 v44, 0x10001, v16
	v_and_b32_e32 v16, 0xffff, v19
	s_delay_alu instid0(VALU_DEP_2) | instskip(NEXT) | instid1(VALU_DEP_2)
	v_pk_fma_f16 v30, v20, v44, v30
	v_mul_u32_u24_e32 v45, 0x10001, v16
	ds_load_b128 v[16:19], v147 offset:1760
	v_pk_fma_f16 v33, v20, v45, v33
	s_wait_dscnt 0x0
	v_dual_lshrrev_b32 v46, 16, v16 :: v_dual_lshrrev_b32 v47, 16, v17
	v_dual_lshrrev_b32 v48, 16, v18 :: v_dual_lshrrev_b32 v49, 16, v19
	v_and_b32_e32 v16, 0xffff, v16
	v_and_b32_e32 v17, 0xffff, v17
	v_and_b32_e32 v18, 0xffff, v18
	v_and_b32_e32 v19, 0xffff, v19
	v_mul_u32_u24_e32 v41, 0x10001, v41
	v_mul_u32_u24_e32 v16, 0x10001, v16
	;; [unrolled: 1-line block ×6, first 2 shown]
	v_pk_fma_f16 v35, v20, v16, v35
	v_pk_fma_f16 v36, v20, v17, v36
	;; [unrolled: 1-line block ×4, first 2 shown]
	ds_load_b128 v[16:19], v147 offset:752
	v_mul_u32_u24_e32 v47, 0x10001, v47
	v_mul_u32_u24_e32 v48, 0x10001, v48
	v_mul_u32_u24_e32 v49, 0x10001, v49
	v_pk_fma_f16 v34, v20, v41, v34
	v_pk_fma_f16 v26, v20, v46, v26
	;; [unrolled: 1-line block ×5, first 2 shown]
	s_wait_dscnt 0x0
	v_lshrrev_b32_e32 v37, 16, v16
	v_and_b32_e32 v16, 0xffff, v16
	v_dual_lshrrev_b32 v38, 16, v17 :: v_dual_lshrrev_b32 v39, 16, v18
	v_lshrrev_b32_e32 v40, 16, v19
	s_delay_alu instid0(VALU_DEP_4) | instskip(NEXT) | instid1(VALU_DEP_4)
	v_mul_u32_u24_e32 v37, 0x10001, v37
	v_mul_u32_u24_e32 v41, 0x10001, v16
	v_and_b32_e32 v16, 0xffff, v17
	v_mul_u32_u24_e32 v38, 0x10001, v38
	v_mul_u32_u24_e32 v39, 0x10001, v39
	v_pk_fma_f16 v24, v21, v37, v24
	v_pk_fma_f16 v32, v21, v41, v32
	v_mul_u32_u24_e32 v42, 0x10001, v16
	v_and_b32_e32 v16, 0xffff, v18
	v_pk_fma_f16 v29, v21, v38, v29
	v_pk_fma_f16 v31, v21, v39, v31
	s_delay_alu instid0(VALU_DEP_4) | instskip(NEXT) | instid1(VALU_DEP_4)
	v_pk_fma_f16 v25, v21, v42, v25
	v_mul_u32_u24_e32 v43, 0x10001, v16
	v_and_b32_e32 v16, 0xffff, v19
	s_delay_alu instid0(VALU_DEP_2) | instskip(NEXT) | instid1(VALU_DEP_2)
	v_pk_fma_f16 v30, v21, v43, v30
	v_mul_u32_u24_e32 v44, 0x10001, v16
	ds_load_b128 v[16:19], v147 offset:1776
	v_pk_fma_f16 v33, v21, v44, v33
	s_wait_dscnt 0x0
	v_dual_lshrrev_b32 v45, 16, v16 :: v_dual_lshrrev_b32 v46, 16, v17
	v_dual_lshrrev_b32 v47, 16, v18 :: v_dual_lshrrev_b32 v48, 16, v19
	v_and_b32_e32 v16, 0xffff, v16
	v_and_b32_e32 v17, 0xffff, v17
	;; [unrolled: 1-line block ×4, first 2 shown]
	v_mul_u32_u24_e32 v40, 0x10001, v40
	v_mul_u32_u24_e32 v16, 0x10001, v16
	;; [unrolled: 1-line block ×9, first 2 shown]
	v_pk_fma_f16 v34, v21, v40, v34
	v_pk_fma_f16 v35, v21, v16, v35
	;; [unrolled: 1-line block ×9, first 2 shown]
	ds_load_2addr_b32 v[20:21], v155 offset1:32
	ds_load_b128 v[16:19], v147 offset:768
	s_wait_dscnt 0x0
	v_lshrrev_b32_e32 v22, 16, v16
	v_and_b32_e32 v16, 0xffff, v16
	v_dual_lshrrev_b32 v23, 16, v17 :: v_dual_lshrrev_b32 v26, 16, v18
	v_lshrrev_b32_e32 v27, 16, v19
	s_delay_alu instid0(VALU_DEP_4) | instskip(NEXT) | instid1(VALU_DEP_4)
	v_mul_u32_u24_e32 v43, 0x10001, v22
	v_mul_u32_u24_e32 v28, 0x10001, v16
	v_and_b32_e32 v16, 0xffff, v17
	v_mul_u32_u24_e32 v45, 0x10001, v23
	v_mul_u32_u24_e32 v47, 0x10001, v26
	s_delay_alu instid0(VALU_DEP_3) | instskip(SKIP_1) | instid1(VALU_DEP_1)
	v_mul_u32_u24_e32 v44, 0x10001, v16
	v_and_b32_e32 v16, 0xffff, v18
	v_mul_u32_u24_e32 v46, 0x10001, v16
	v_and_b32_e32 v16, 0xffff, v19
	s_delay_alu instid0(VALU_DEP_1)
	v_mul_u32_u24_e32 v48, 0x10001, v16
	ds_load_b128 v[16:19], v147 offset:1792
	s_wait_dscnt 0x0
	v_lshrrev_b32_e32 v22, 16, v16
	v_mul_u32_u24_e32 v49, 0x10001, v27
	v_dual_lshrrev_b32 v23, 16, v17 :: v_dual_lshrrev_b32 v26, 16, v18
	v_lshrrev_b32_e32 v27, 16, v19
	v_and_b32_e32 v16, 0xffff, v16
	v_and_b32_e32 v17, 0xffff, v17
	;; [unrolled: 1-line block ×4, first 2 shown]
	v_mul_u32_u24_e32 v50, 0x10001, v22
	v_mul_u32_u24_e32 v16, 0x10001, v16
	;; [unrolled: 1-line block ×7, first 2 shown]
	v_pk_fma_f16 v22, v20, v28, v32
	v_pk_fma_f16 v23, v20, v43, v24
	;; [unrolled: 1-line block ×10, first 2 shown]
	ds_load_b128 v[16:19], v147 offset:784
	v_pk_fma_f16 v28, v20, v48, v33
	v_pk_fma_f16 v33, v20, v51, v38
	;; [unrolled: 1-line block ×3, first 2 shown]
	s_wait_dscnt 0x0
	v_lshrrev_b32_e32 v38, 16, v16
	v_and_b32_e32 v16, 0xffff, v16
	v_mul_u32_u24_e32 v53, 0x10001, v27
	v_pk_fma_f16 v27, v20, v47, v31
	v_pk_fma_f16 v31, v20, v50, v37
	v_lshrrev_b32_e32 v40, 16, v17
	v_mul_u32_u24_e32 v37, 0x10001, v16
	v_and_b32_e32 v16, 0xffff, v17
	v_pk_fma_f16 v20, v20, v53, v42
	v_dual_lshrrev_b32 v42, 16, v18 :: v_dual_lshrrev_b32 v44, 16, v19
	v_mul_u32_u24_e32 v38, 0x10001, v38
	s_delay_alu instid0(VALU_DEP_4)
	v_mul_u32_u24_e32 v39, 0x10001, v16
	v_and_b32_e32 v16, 0xffff, v18
	v_mul_u32_u24_e32 v40, 0x10001, v40
	v_mul_u32_u24_e32 v42, 0x10001, v42
	v_pk_fma_f16 v22, v21, v37, v22
	v_pk_fma_f16 v23, v21, v38, v23
	v_mul_u32_u24_e32 v41, 0x10001, v16
	v_and_b32_e32 v16, 0xffff, v19
	v_pk_fma_f16 v24, v21, v39, v24
	v_pk_fma_f16 v25, v21, v40, v25
	;; [unrolled: 1-line block ×4, first 2 shown]
	v_mul_u32_u24_e32 v43, 0x10001, v16
	ds_load_b128 v[16:19], v147 offset:1808
	v_pk_fma_f16 v28, v21, v43, v28
	s_wait_dscnt 0x0
	v_dual_lshrrev_b32 v45, 16, v16 :: v_dual_lshrrev_b32 v46, 16, v17
	v_dual_lshrrev_b32 v47, 16, v18 :: v_dual_lshrrev_b32 v48, 16, v19
	v_and_b32_e32 v16, 0xffff, v16
	v_and_b32_e32 v17, 0xffff, v17
	;; [unrolled: 1-line block ×4, first 2 shown]
	v_mul_u32_u24_e32 v44, 0x10001, v44
	v_mul_u32_u24_e32 v16, 0x10001, v16
	;; [unrolled: 1-line block ×9, first 2 shown]
	v_pk_fma_f16 v29, v21, v44, v29
	v_pk_fma_f16 v30, v21, v16, v30
	;; [unrolled: 1-line block ×9, first 2 shown]
	ds_load_2addr_b32 v[16:17], v155 offset0:64 offset1:96
	ds_load_b128 v[18:21], v147 offset:800
	s_wait_dscnt 0x0
	v_lshrrev_b32_e32 v38, 16, v18
	v_and_b32_e32 v18, 0xffff, v18
	v_dual_lshrrev_b32 v39, 16, v19 :: v_dual_lshrrev_b32 v40, 16, v20
	v_lshrrev_b32_e32 v41, 16, v21
	s_delay_alu instid0(VALU_DEP_4) | instskip(NEXT) | instid1(VALU_DEP_4)
	v_mul_u32_u24_e32 v38, 0x10001, v38
	v_mul_u32_u24_e32 v42, 0x10001, v18
	v_and_b32_e32 v18, 0xffff, v19
	v_mul_u32_u24_e32 v39, 0x10001, v39
	v_mul_u32_u24_e32 v40, 0x10001, v40
	s_delay_alu instid0(VALU_DEP_3) | instskip(SKIP_1) | instid1(VALU_DEP_1)
	v_mul_u32_u24_e32 v43, 0x10001, v18
	v_and_b32_e32 v18, 0xffff, v20
	v_mul_u32_u24_e32 v44, 0x10001, v18
	v_and_b32_e32 v18, 0xffff, v21
	s_delay_alu instid0(VALU_DEP_1)
	v_mul_u32_u24_e32 v45, 0x10001, v18
	ds_load_b128 v[18:21], v147 offset:1824
	s_wait_dscnt 0x0
	v_lshrrev_b32_e32 v46, 16, v18
	v_and_b32_e32 v18, 0xffff, v18
	v_dual_lshrrev_b32 v47, 16, v19 :: v_dual_lshrrev_b32 v48, 16, v20
	v_lshrrev_b32_e32 v49, 16, v21
	v_mul_u32_u24_e32 v41, 0x10001, v41
	s_delay_alu instid0(VALU_DEP_4)
	v_mul_u32_u24_e32 v50, 0x10001, v18
	v_and_b32_e32 v18, 0xffff, v19
	v_mul_u32_u24_e32 v46, 0x10001, v46
	v_mul_u32_u24_e32 v47, 0x10001, v47
	;; [unrolled: 1-line block ×5, first 2 shown]
	v_and_b32_e32 v18, 0xffff, v20
	v_pk_fma_f16 v19, v16, v38, v23
	v_pk_fma_f16 v20, v16, v43, v24
	;; [unrolled: 1-line block ×4, first 2 shown]
	v_mul_u32_u24_e32 v52, 0x10001, v18
	v_and_b32_e32 v18, 0xffff, v21
	v_pk_fma_f16 v21, v16, v39, v25
	v_pk_fma_f16 v25, v16, v41, v29
	;; [unrolled: 1-line block ×4, first 2 shown]
	v_mul_u32_u24_e32 v53, 0x10001, v18
	v_pk_fma_f16 v18, v16, v42, v22
	v_pk_fma_f16 v22, v16, v44, v26
	;; [unrolled: 1-line block ×8, first 2 shown]
	ds_load_b128 v[34:37], v147 offset:816
	s_wait_dscnt 0x0
	v_lshrrev_b32_e32 v33, 16, v34
	v_and_b32_e32 v34, 0xffff, v34
	v_dual_lshrrev_b32 v38, 16, v35 :: v_dual_lshrrev_b32 v39, 16, v36
	v_lshrrev_b32_e32 v40, 16, v37
	s_delay_alu instid0(VALU_DEP_4) | instskip(NEXT) | instid1(VALU_DEP_4)
	v_mul_u32_u24_e32 v33, 0x10001, v33
	v_mul_u32_u24_e32 v41, 0x10001, v34
	v_and_b32_e32 v34, 0xffff, v35
	v_mul_u32_u24_e32 v38, 0x10001, v38
	v_mul_u32_u24_e32 v39, 0x10001, v39
	v_pk_fma_f16 v33, v17, v33, v19
	v_pk_fma_f16 v41, v17, v41, v18
	v_mul_u32_u24_e32 v42, 0x10001, v34
	v_and_b32_e32 v34, 0xffff, v36
	v_pk_fma_f16 v38, v17, v38, v21
	v_pk_fma_f16 v23, v17, v39, v23
	s_delay_alu instid0(VALU_DEP_4) | instskip(NEXT) | instid1(VALU_DEP_4)
	v_pk_fma_f16 v42, v17, v42, v20
	v_mul_u32_u24_e32 v43, 0x10001, v34
	v_and_b32_e32 v34, 0xffff, v37
	s_delay_alu instid0(VALU_DEP_2) | instskip(NEXT) | instid1(VALU_DEP_2)
	v_pk_fma_f16 v22, v17, v43, v22
	v_mul_u32_u24_e32 v44, 0x10001, v34
	ds_load_b128 v[34:37], v147 offset:1840
	v_pk_fma_f16 v24, v17, v44, v24
	s_wait_dscnt 0x0
	v_dual_lshrrev_b32 v45, 16, v34 :: v_dual_lshrrev_b32 v46, 16, v35
	v_dual_lshrrev_b32 v47, 16, v36 :: v_dual_lshrrev_b32 v48, 16, v37
	v_and_b32_e32 v34, 0xffff, v34
	v_and_b32_e32 v35, 0xffff, v35
	;; [unrolled: 1-line block ×4, first 2 shown]
	v_mul_u32_u24_e32 v40, 0x10001, v40
	v_mul_u32_u24_e32 v34, 0x10001, v34
	;; [unrolled: 1-line block ×9, first 2 shown]
	v_pk_fma_f16 v25, v17, v40, v25
	v_pk_fma_f16 v26, v17, v34, v26
	;; [unrolled: 1-line block ×9, first 2 shown]
	ds_load_2addr_b32 v[16:17], v155 offset0:128 offset1:160
	ds_load_b128 v[18:21], v147 offset:832
	s_wait_dscnt 0x0
	v_lshrrev_b32_e32 v35, 16, v18
	v_and_b32_e32 v18, 0xffff, v18
	v_dual_lshrrev_b32 v36, 16, v19 :: v_dual_lshrrev_b32 v37, 16, v20
	v_lshrrev_b32_e32 v39, 16, v21
	s_delay_alu instid0(VALU_DEP_4) | instskip(NEXT) | instid1(VALU_DEP_4)
	v_mul_u32_u24_e32 v35, 0x10001, v35
	v_mul_u32_u24_e32 v40, 0x10001, v18
	v_and_b32_e32 v18, 0xffff, v19
	v_mul_u32_u24_e32 v36, 0x10001, v36
	v_mul_u32_u24_e32 v37, 0x10001, v37
	s_delay_alu instid0(VALU_DEP_3) | instskip(SKIP_1) | instid1(VALU_DEP_3)
	v_mul_u32_u24_e32 v43, 0x10001, v18
	v_and_b32_e32 v18, 0xffff, v20
	v_pk_fma_f16 v23, v16, v37, v23
	s_delay_alu instid0(VALU_DEP_2) | instskip(SKIP_1) | instid1(VALU_DEP_2)
	v_mul_u32_u24_e32 v44, 0x10001, v18
	v_and_b32_e32 v18, 0xffff, v21
	v_pk_fma_f16 v22, v16, v44, v22
	s_delay_alu instid0(VALU_DEP_2)
	v_mul_u32_u24_e32 v45, 0x10001, v18
	ds_load_b128 v[18:21], v147 offset:1856
	v_pk_fma_f16 v24, v16, v45, v24
	s_wait_dscnt 0x0
	v_lshrrev_b32_e32 v46, 16, v18
	v_and_b32_e32 v18, 0xffff, v18
	v_dual_lshrrev_b32 v47, 16, v19 :: v_dual_lshrrev_b32 v48, 16, v20
	v_lshrrev_b32_e32 v49, 16, v21
	v_mul_u32_u24_e32 v39, 0x10001, v39
	s_delay_alu instid0(VALU_DEP_4)
	v_mul_u32_u24_e32 v50, 0x10001, v18
	v_and_b32_e32 v18, 0xffff, v19
	v_mul_u32_u24_e32 v46, 0x10001, v46
	v_mul_u32_u24_e32 v47, 0x10001, v47
	;; [unrolled: 1-line block ×5, first 2 shown]
	v_and_b32_e32 v18, 0xffff, v20
	v_pk_fma_f16 v19, v16, v35, v33
	v_pk_fma_f16 v20, v16, v43, v42
	;; [unrolled: 1-line block ×4, first 2 shown]
	v_mul_u32_u24_e32 v52, 0x10001, v18
	v_and_b32_e32 v18, 0xffff, v21
	v_pk_fma_f16 v21, v16, v36, v38
	v_pk_fma_f16 v27, v16, v46, v27
	;; [unrolled: 1-line block ×4, first 2 shown]
	v_mul_u32_u24_e32 v53, 0x10001, v18
	v_pk_fma_f16 v18, v16, v40, v41
	v_pk_fma_f16 v30, v16, v52, v30
	;; [unrolled: 1-line block ×3, first 2 shown]
	s_delay_alu instid0(VALU_DEP_4)
	v_pk_fma_f16 v32, v16, v53, v32
	v_pk_fma_f16 v16, v16, v49, v34
	ds_load_b128 v[34:37], v147 offset:848
	s_wait_dscnt 0x0
	v_lshrrev_b32_e32 v33, 16, v34
	v_and_b32_e32 v34, 0xffff, v34
	v_dual_lshrrev_b32 v38, 16, v35 :: v_dual_lshrrev_b32 v39, 16, v36
	v_lshrrev_b32_e32 v40, 16, v37
	s_delay_alu instid0(VALU_DEP_4) | instskip(NEXT) | instid1(VALU_DEP_4)
	v_mul_u32_u24_e32 v33, 0x10001, v33
	v_mul_u32_u24_e32 v41, 0x10001, v34
	v_and_b32_e32 v34, 0xffff, v35
	v_mul_u32_u24_e32 v38, 0x10001, v38
	v_mul_u32_u24_e32 v39, 0x10001, v39
	v_pk_fma_f16 v33, v17, v33, v19
	v_pk_fma_f16 v41, v17, v41, v18
	v_mul_u32_u24_e32 v42, 0x10001, v34
	v_and_b32_e32 v34, 0xffff, v36
	v_pk_fma_f16 v38, v17, v38, v21
	v_pk_fma_f16 v23, v17, v39, v23
	s_delay_alu instid0(VALU_DEP_4) | instskip(NEXT) | instid1(VALU_DEP_4)
	v_pk_fma_f16 v42, v17, v42, v20
	v_mul_u32_u24_e32 v43, 0x10001, v34
	v_and_b32_e32 v34, 0xffff, v37
	s_delay_alu instid0(VALU_DEP_2) | instskip(NEXT) | instid1(VALU_DEP_2)
	v_pk_fma_f16 v22, v17, v43, v22
	v_mul_u32_u24_e32 v44, 0x10001, v34
	ds_load_b128 v[34:37], v147 offset:1872
	v_pk_fma_f16 v24, v17, v44, v24
	s_wait_dscnt 0x0
	v_dual_lshrrev_b32 v45, 16, v34 :: v_dual_lshrrev_b32 v46, 16, v35
	v_dual_lshrrev_b32 v47, 16, v36 :: v_dual_lshrrev_b32 v48, 16, v37
	v_and_b32_e32 v34, 0xffff, v34
	v_and_b32_e32 v35, 0xffff, v35
	;; [unrolled: 1-line block ×4, first 2 shown]
	v_mul_u32_u24_e32 v40, 0x10001, v40
	v_mul_u32_u24_e32 v34, 0x10001, v34
	;; [unrolled: 1-line block ×9, first 2 shown]
	v_pk_fma_f16 v25, v17, v40, v25
	v_pk_fma_f16 v26, v17, v34, v26
	;; [unrolled: 1-line block ×9, first 2 shown]
	ds_load_2addr_b32 v[16:17], v155 offset0:192 offset1:224
	ds_load_b128 v[18:21], v147 offset:864
	s_wait_dscnt 0x0
	v_lshrrev_b32_e32 v35, 16, v18
	v_and_b32_e32 v18, 0xffff, v18
	v_dual_lshrrev_b32 v36, 16, v19 :: v_dual_lshrrev_b32 v37, 16, v20
	v_lshrrev_b32_e32 v39, 16, v21
	s_delay_alu instid0(VALU_DEP_4) | instskip(NEXT) | instid1(VALU_DEP_4)
	v_mul_u32_u24_e32 v35, 0x10001, v35
	v_mul_u32_u24_e32 v40, 0x10001, v18
	v_and_b32_e32 v18, 0xffff, v19
	v_mul_u32_u24_e32 v36, 0x10001, v36
	v_mul_u32_u24_e32 v37, 0x10001, v37
	s_delay_alu instid0(VALU_DEP_3) | instskip(SKIP_1) | instid1(VALU_DEP_3)
	v_mul_u32_u24_e32 v43, 0x10001, v18
	v_and_b32_e32 v18, 0xffff, v20
	v_pk_fma_f16 v23, v16, v37, v23
	s_delay_alu instid0(VALU_DEP_2) | instskip(SKIP_1) | instid1(VALU_DEP_2)
	v_mul_u32_u24_e32 v44, 0x10001, v18
	v_and_b32_e32 v18, 0xffff, v21
	v_pk_fma_f16 v22, v16, v44, v22
	s_delay_alu instid0(VALU_DEP_2)
	v_mul_u32_u24_e32 v45, 0x10001, v18
	ds_load_b128 v[18:21], v147 offset:1888
	v_pk_fma_f16 v24, v16, v45, v24
	s_wait_dscnt 0x0
	v_lshrrev_b32_e32 v46, 16, v18
	v_and_b32_e32 v18, 0xffff, v18
	v_dual_lshrrev_b32 v47, 16, v19 :: v_dual_lshrrev_b32 v48, 16, v20
	v_lshrrev_b32_e32 v49, 16, v21
	v_mul_u32_u24_e32 v39, 0x10001, v39
	s_delay_alu instid0(VALU_DEP_4)
	v_mul_u32_u24_e32 v50, 0x10001, v18
	v_and_b32_e32 v18, 0xffff, v19
	v_mul_u32_u24_e32 v46, 0x10001, v46
	v_mul_u32_u24_e32 v47, 0x10001, v47
	;; [unrolled: 1-line block ×5, first 2 shown]
	v_and_b32_e32 v18, 0xffff, v20
	v_pk_fma_f16 v19, v16, v35, v33
	v_pk_fma_f16 v20, v16, v43, v42
	;; [unrolled: 1-line block ×4, first 2 shown]
	v_mul_u32_u24_e32 v52, 0x10001, v18
	v_and_b32_e32 v18, 0xffff, v21
	v_pk_fma_f16 v21, v16, v36, v38
	v_pk_fma_f16 v27, v16, v46, v27
	;; [unrolled: 1-line block ×4, first 2 shown]
	v_mul_u32_u24_e32 v53, 0x10001, v18
	v_pk_fma_f16 v18, v16, v40, v41
	v_pk_fma_f16 v30, v16, v52, v30
	;; [unrolled: 1-line block ×3, first 2 shown]
	s_delay_alu instid0(VALU_DEP_4)
	v_pk_fma_f16 v32, v16, v53, v32
	v_pk_fma_f16 v16, v16, v49, v34
	ds_load_b128 v[34:37], v147 offset:880
	s_wait_dscnt 0x0
	v_lshrrev_b32_e32 v33, 16, v34
	v_and_b32_e32 v34, 0xffff, v34
	v_dual_lshrrev_b32 v38, 16, v35 :: v_dual_lshrrev_b32 v39, 16, v36
	v_lshrrev_b32_e32 v40, 16, v37
	s_delay_alu instid0(VALU_DEP_4) | instskip(NEXT) | instid1(VALU_DEP_4)
	v_mul_u32_u24_e32 v33, 0x10001, v33
	v_mul_u32_u24_e32 v41, 0x10001, v34
	v_and_b32_e32 v34, 0xffff, v35
	v_mul_u32_u24_e32 v38, 0x10001, v38
	v_mul_u32_u24_e32 v39, 0x10001, v39
	v_pk_fma_f16 v33, v17, v33, v19
	v_pk_fma_f16 v41, v17, v41, v18
	v_mul_u32_u24_e32 v42, 0x10001, v34
	v_and_b32_e32 v34, 0xffff, v36
	v_pk_fma_f16 v38, v17, v38, v21
	v_pk_fma_f16 v23, v17, v39, v23
	s_delay_alu instid0(VALU_DEP_4) | instskip(NEXT) | instid1(VALU_DEP_4)
	v_pk_fma_f16 v42, v17, v42, v20
	v_mul_u32_u24_e32 v43, 0x10001, v34
	v_and_b32_e32 v34, 0xffff, v37
	s_delay_alu instid0(VALU_DEP_2) | instskip(NEXT) | instid1(VALU_DEP_2)
	v_pk_fma_f16 v22, v17, v43, v22
	v_mul_u32_u24_e32 v44, 0x10001, v34
	ds_load_b128 v[34:37], v147 offset:1904
	v_pk_fma_f16 v24, v17, v44, v24
	s_wait_dscnt 0x0
	v_dual_lshrrev_b32 v45, 16, v34 :: v_dual_lshrrev_b32 v46, 16, v35
	v_dual_lshrrev_b32 v47, 16, v36 :: v_dual_lshrrev_b32 v48, 16, v37
	v_and_b32_e32 v34, 0xffff, v34
	v_and_b32_e32 v35, 0xffff, v35
	;; [unrolled: 1-line block ×4, first 2 shown]
	v_mul_u32_u24_e32 v40, 0x10001, v40
	v_mul_u32_u24_e32 v34, 0x10001, v34
	;; [unrolled: 1-line block ×9, first 2 shown]
	v_pk_fma_f16 v25, v17, v40, v25
	v_pk_fma_f16 v26, v17, v34, v26
	;; [unrolled: 1-line block ×9, first 2 shown]
	ds_load_2addr_b32 v[16:17], v156 offset1:32
	ds_load_b128 v[18:21], v147 offset:896
	s_wait_dscnt 0x0
	v_lshrrev_b32_e32 v35, 16, v18
	v_and_b32_e32 v18, 0xffff, v18
	v_dual_lshrrev_b32 v36, 16, v19 :: v_dual_lshrrev_b32 v37, 16, v20
	v_lshrrev_b32_e32 v39, 16, v21
	s_delay_alu instid0(VALU_DEP_4) | instskip(NEXT) | instid1(VALU_DEP_4)
	v_mul_u32_u24_e32 v35, 0x10001, v35
	v_mul_u32_u24_e32 v40, 0x10001, v18
	v_and_b32_e32 v18, 0xffff, v19
	v_mul_u32_u24_e32 v36, 0x10001, v36
	v_mul_u32_u24_e32 v37, 0x10001, v37
	s_delay_alu instid0(VALU_DEP_3) | instskip(SKIP_1) | instid1(VALU_DEP_3)
	v_mul_u32_u24_e32 v43, 0x10001, v18
	v_and_b32_e32 v18, 0xffff, v20
	v_pk_fma_f16 v23, v16, v37, v23
	s_delay_alu instid0(VALU_DEP_2) | instskip(SKIP_1) | instid1(VALU_DEP_2)
	v_mul_u32_u24_e32 v44, 0x10001, v18
	v_and_b32_e32 v18, 0xffff, v21
	v_pk_fma_f16 v22, v16, v44, v22
	s_delay_alu instid0(VALU_DEP_2)
	v_mul_u32_u24_e32 v45, 0x10001, v18
	ds_load_b128 v[18:21], v147 offset:1920
	v_pk_fma_f16 v24, v16, v45, v24
	s_wait_dscnt 0x0
	v_lshrrev_b32_e32 v46, 16, v18
	v_and_b32_e32 v18, 0xffff, v18
	v_dual_lshrrev_b32 v47, 16, v19 :: v_dual_lshrrev_b32 v48, 16, v20
	v_lshrrev_b32_e32 v49, 16, v21
	v_mul_u32_u24_e32 v39, 0x10001, v39
	s_delay_alu instid0(VALU_DEP_4)
	v_mul_u32_u24_e32 v50, 0x10001, v18
	v_and_b32_e32 v18, 0xffff, v19
	v_mul_u32_u24_e32 v46, 0x10001, v46
	v_mul_u32_u24_e32 v47, 0x10001, v47
	;; [unrolled: 1-line block ×5, first 2 shown]
	v_and_b32_e32 v18, 0xffff, v20
	v_pk_fma_f16 v19, v16, v35, v33
	v_pk_fma_f16 v20, v16, v43, v42
	;; [unrolled: 1-line block ×4, first 2 shown]
	v_mul_u32_u24_e32 v52, 0x10001, v18
	v_and_b32_e32 v18, 0xffff, v21
	v_pk_fma_f16 v21, v16, v36, v38
	v_pk_fma_f16 v27, v16, v46, v27
	;; [unrolled: 1-line block ×4, first 2 shown]
	v_mul_u32_u24_e32 v53, 0x10001, v18
	v_pk_fma_f16 v18, v16, v40, v41
	v_pk_fma_f16 v30, v16, v52, v30
	;; [unrolled: 1-line block ×3, first 2 shown]
	s_delay_alu instid0(VALU_DEP_4)
	v_pk_fma_f16 v32, v16, v53, v32
	v_pk_fma_f16 v16, v16, v49, v34
	ds_load_b128 v[34:37], v147 offset:912
	s_wait_dscnt 0x0
	v_lshrrev_b32_e32 v33, 16, v34
	v_and_b32_e32 v34, 0xffff, v34
	v_dual_lshrrev_b32 v38, 16, v35 :: v_dual_lshrrev_b32 v39, 16, v36
	v_lshrrev_b32_e32 v40, 16, v37
	s_delay_alu instid0(VALU_DEP_4) | instskip(NEXT) | instid1(VALU_DEP_4)
	v_mul_u32_u24_e32 v33, 0x10001, v33
	v_mul_u32_u24_e32 v41, 0x10001, v34
	v_and_b32_e32 v34, 0xffff, v35
	v_mul_u32_u24_e32 v38, 0x10001, v38
	v_mul_u32_u24_e32 v39, 0x10001, v39
	v_pk_fma_f16 v33, v17, v33, v19
	v_pk_fma_f16 v41, v17, v41, v18
	v_mul_u32_u24_e32 v42, 0x10001, v34
	v_and_b32_e32 v34, 0xffff, v36
	v_pk_fma_f16 v38, v17, v38, v21
	v_pk_fma_f16 v23, v17, v39, v23
	s_delay_alu instid0(VALU_DEP_4) | instskip(NEXT) | instid1(VALU_DEP_4)
	v_pk_fma_f16 v42, v17, v42, v20
	v_mul_u32_u24_e32 v43, 0x10001, v34
	v_and_b32_e32 v34, 0xffff, v37
	s_delay_alu instid0(VALU_DEP_2) | instskip(NEXT) | instid1(VALU_DEP_2)
	v_pk_fma_f16 v22, v17, v43, v22
	v_mul_u32_u24_e32 v44, 0x10001, v34
	ds_load_b128 v[34:37], v147 offset:1936
	v_pk_fma_f16 v24, v17, v44, v24
	s_wait_dscnt 0x0
	v_dual_lshrrev_b32 v45, 16, v34 :: v_dual_lshrrev_b32 v46, 16, v35
	v_dual_lshrrev_b32 v47, 16, v36 :: v_dual_lshrrev_b32 v48, 16, v37
	v_and_b32_e32 v34, 0xffff, v34
	v_and_b32_e32 v35, 0xffff, v35
	;; [unrolled: 1-line block ×4, first 2 shown]
	v_mul_u32_u24_e32 v40, 0x10001, v40
	v_mul_u32_u24_e32 v34, 0x10001, v34
	v_mul_u32_u24_e32 v45, 0x10001, v45
	v_mul_u32_u24_e32 v35, 0x10001, v35
	v_mul_u32_u24_e32 v46, 0x10001, v46
	v_mul_u32_u24_e32 v36, 0x10001, v36
	v_mul_u32_u24_e32 v47, 0x10001, v47
	v_mul_u32_u24_e32 v37, 0x10001, v37
	v_mul_u32_u24_e32 v48, 0x10001, v48
	v_pk_fma_f16 v25, v17, v40, v25
	v_pk_fma_f16 v26, v17, v34, v26
	;; [unrolled: 1-line block ×9, first 2 shown]
	ds_load_2addr_b32 v[16:17], v156 offset0:64 offset1:96
	ds_load_b128 v[18:21], v147 offset:928
	s_wait_dscnt 0x0
	v_lshrrev_b32_e32 v35, 16, v18
	v_and_b32_e32 v18, 0xffff, v18
	v_dual_lshrrev_b32 v36, 16, v19 :: v_dual_lshrrev_b32 v37, 16, v20
	v_lshrrev_b32_e32 v39, 16, v21
	s_delay_alu instid0(VALU_DEP_4) | instskip(NEXT) | instid1(VALU_DEP_4)
	v_mul_u32_u24_e32 v35, 0x10001, v35
	v_mul_u32_u24_e32 v40, 0x10001, v18
	v_and_b32_e32 v18, 0xffff, v19
	v_mul_u32_u24_e32 v36, 0x10001, v36
	v_mul_u32_u24_e32 v37, 0x10001, v37
	s_delay_alu instid0(VALU_DEP_3) | instskip(SKIP_1) | instid1(VALU_DEP_3)
	v_mul_u32_u24_e32 v43, 0x10001, v18
	v_and_b32_e32 v18, 0xffff, v20
	v_pk_fma_f16 v23, v16, v37, v23
	s_delay_alu instid0(VALU_DEP_2) | instskip(SKIP_1) | instid1(VALU_DEP_2)
	v_mul_u32_u24_e32 v44, 0x10001, v18
	v_and_b32_e32 v18, 0xffff, v21
	v_pk_fma_f16 v22, v16, v44, v22
	s_delay_alu instid0(VALU_DEP_2)
	v_mul_u32_u24_e32 v45, 0x10001, v18
	ds_load_b128 v[18:21], v147 offset:1952
	v_pk_fma_f16 v24, v16, v45, v24
	s_wait_dscnt 0x0
	v_lshrrev_b32_e32 v46, 16, v18
	v_and_b32_e32 v18, 0xffff, v18
	v_dual_lshrrev_b32 v47, 16, v19 :: v_dual_lshrrev_b32 v48, 16, v20
	v_lshrrev_b32_e32 v49, 16, v21
	v_mul_u32_u24_e32 v39, 0x10001, v39
	s_delay_alu instid0(VALU_DEP_4)
	v_mul_u32_u24_e32 v50, 0x10001, v18
	v_and_b32_e32 v18, 0xffff, v19
	v_mul_u32_u24_e32 v46, 0x10001, v46
	v_mul_u32_u24_e32 v47, 0x10001, v47
	v_mul_u32_u24_e32 v48, 0x10001, v48
	v_mul_u32_u24_e32 v49, 0x10001, v49
	v_mul_u32_u24_e32 v51, 0x10001, v18
	v_and_b32_e32 v18, 0xffff, v20
	v_pk_fma_f16 v19, v16, v35, v33
	v_pk_fma_f16 v20, v16, v43, v42
	;; [unrolled: 1-line block ×4, first 2 shown]
	v_mul_u32_u24_e32 v52, 0x10001, v18
	v_and_b32_e32 v18, 0xffff, v21
	v_pk_fma_f16 v21, v16, v36, v38
	v_pk_fma_f16 v27, v16, v46, v27
	;; [unrolled: 1-line block ×4, first 2 shown]
	v_mul_u32_u24_e32 v53, 0x10001, v18
	v_pk_fma_f16 v18, v16, v40, v41
	v_pk_fma_f16 v30, v16, v52, v30
	;; [unrolled: 1-line block ×3, first 2 shown]
	s_delay_alu instid0(VALU_DEP_4)
	v_pk_fma_f16 v32, v16, v53, v32
	v_pk_fma_f16 v16, v16, v49, v34
	ds_load_b128 v[34:37], v147 offset:944
	s_wait_dscnt 0x0
	v_lshrrev_b32_e32 v33, 16, v34
	v_and_b32_e32 v34, 0xffff, v34
	v_dual_lshrrev_b32 v38, 16, v35 :: v_dual_lshrrev_b32 v39, 16, v36
	v_lshrrev_b32_e32 v40, 16, v37
	s_delay_alu instid0(VALU_DEP_4) | instskip(NEXT) | instid1(VALU_DEP_4)
	v_mul_u32_u24_e32 v33, 0x10001, v33
	v_mul_u32_u24_e32 v41, 0x10001, v34
	v_and_b32_e32 v34, 0xffff, v35
	v_mul_u32_u24_e32 v38, 0x10001, v38
	v_mul_u32_u24_e32 v39, 0x10001, v39
	v_pk_fma_f16 v33, v17, v33, v19
	v_pk_fma_f16 v41, v17, v41, v18
	v_mul_u32_u24_e32 v42, 0x10001, v34
	v_and_b32_e32 v34, 0xffff, v36
	v_pk_fma_f16 v38, v17, v38, v21
	v_pk_fma_f16 v23, v17, v39, v23
	s_delay_alu instid0(VALU_DEP_4) | instskip(NEXT) | instid1(VALU_DEP_4)
	v_pk_fma_f16 v42, v17, v42, v20
	v_mul_u32_u24_e32 v43, 0x10001, v34
	v_and_b32_e32 v34, 0xffff, v37
	s_delay_alu instid0(VALU_DEP_2) | instskip(NEXT) | instid1(VALU_DEP_2)
	v_pk_fma_f16 v22, v17, v43, v22
	v_mul_u32_u24_e32 v44, 0x10001, v34
	ds_load_b128 v[34:37], v147 offset:1968
	v_pk_fma_f16 v24, v17, v44, v24
	s_wait_dscnt 0x0
	v_dual_lshrrev_b32 v45, 16, v34 :: v_dual_lshrrev_b32 v46, 16, v35
	v_dual_lshrrev_b32 v47, 16, v36 :: v_dual_lshrrev_b32 v48, 16, v37
	v_and_b32_e32 v34, 0xffff, v34
	v_and_b32_e32 v35, 0xffff, v35
	;; [unrolled: 1-line block ×4, first 2 shown]
	v_mul_u32_u24_e32 v40, 0x10001, v40
	v_mul_u32_u24_e32 v34, 0x10001, v34
	;; [unrolled: 1-line block ×9, first 2 shown]
	v_pk_fma_f16 v25, v17, v40, v25
	v_pk_fma_f16 v26, v17, v34, v26
	v_pk_fma_f16 v27, v17, v45, v27
	v_pk_fma_f16 v28, v17, v35, v28
	v_pk_fma_f16 v29, v17, v46, v29
	v_pk_fma_f16 v30, v17, v36, v30
	v_pk_fma_f16 v31, v17, v47, v31
	v_pk_fma_f16 v32, v17, v37, v32
	v_pk_fma_f16 v34, v17, v48, v16
	ds_load_2addr_b32 v[16:17], v156 offset0:128 offset1:160
	ds_load_b128 v[18:21], v147 offset:960
	s_wait_dscnt 0x0
	v_lshrrev_b32_e32 v35, 16, v18
	v_and_b32_e32 v18, 0xffff, v18
	v_dual_lshrrev_b32 v36, 16, v19 :: v_dual_lshrrev_b32 v37, 16, v20
	v_lshrrev_b32_e32 v39, 16, v21
	s_delay_alu instid0(VALU_DEP_4) | instskip(NEXT) | instid1(VALU_DEP_4)
	v_mul_u32_u24_e32 v35, 0x10001, v35
	v_mul_u32_u24_e32 v40, 0x10001, v18
	v_and_b32_e32 v18, 0xffff, v19
	v_mul_u32_u24_e32 v36, 0x10001, v36
	v_mul_u32_u24_e32 v37, 0x10001, v37
	s_delay_alu instid0(VALU_DEP_3) | instskip(SKIP_1) | instid1(VALU_DEP_3)
	v_mul_u32_u24_e32 v43, 0x10001, v18
	v_and_b32_e32 v18, 0xffff, v20
	v_pk_fma_f16 v23, v16, v37, v23
	s_delay_alu instid0(VALU_DEP_2) | instskip(SKIP_1) | instid1(VALU_DEP_2)
	v_mul_u32_u24_e32 v44, 0x10001, v18
	v_and_b32_e32 v18, 0xffff, v21
	v_pk_fma_f16 v22, v16, v44, v22
	s_delay_alu instid0(VALU_DEP_2)
	v_mul_u32_u24_e32 v45, 0x10001, v18
	ds_load_b128 v[18:21], v147 offset:1984
	v_pk_fma_f16 v24, v16, v45, v24
	s_wait_dscnt 0x0
	v_lshrrev_b32_e32 v46, 16, v18
	v_and_b32_e32 v18, 0xffff, v18
	v_dual_lshrrev_b32 v47, 16, v19 :: v_dual_lshrrev_b32 v48, 16, v20
	v_lshrrev_b32_e32 v49, 16, v21
	v_mul_u32_u24_e32 v39, 0x10001, v39
	s_delay_alu instid0(VALU_DEP_4)
	v_mul_u32_u24_e32 v50, 0x10001, v18
	v_and_b32_e32 v18, 0xffff, v19
	v_mul_u32_u24_e32 v46, 0x10001, v46
	v_mul_u32_u24_e32 v47, 0x10001, v47
	;; [unrolled: 1-line block ×5, first 2 shown]
	v_and_b32_e32 v18, 0xffff, v20
	v_pk_fma_f16 v19, v16, v35, v33
	v_pk_fma_f16 v20, v16, v43, v42
	;; [unrolled: 1-line block ×4, first 2 shown]
	v_mul_u32_u24_e32 v52, 0x10001, v18
	v_and_b32_e32 v18, 0xffff, v21
	v_pk_fma_f16 v21, v16, v36, v38
	v_pk_fma_f16 v27, v16, v46, v27
	v_pk_fma_f16 v28, v16, v51, v28
	v_pk_fma_f16 v29, v16, v47, v29
	v_mul_u32_u24_e32 v53, 0x10001, v18
	v_pk_fma_f16 v18, v16, v40, v41
	v_pk_fma_f16 v30, v16, v52, v30
	v_pk_fma_f16 v31, v16, v48, v31
	s_delay_alu instid0(VALU_DEP_4)
	v_pk_fma_f16 v32, v16, v53, v32
	v_pk_fma_f16 v16, v16, v49, v34
	ds_load_b128 v[34:37], v147 offset:976
	s_wait_dscnt 0x0
	v_lshrrev_b32_e32 v33, 16, v34
	v_and_b32_e32 v34, 0xffff, v34
	v_dual_lshrrev_b32 v38, 16, v35 :: v_dual_lshrrev_b32 v39, 16, v36
	v_lshrrev_b32_e32 v40, 16, v37
	s_delay_alu instid0(VALU_DEP_4) | instskip(NEXT) | instid1(VALU_DEP_4)
	v_mul_u32_u24_e32 v33, 0x10001, v33
	v_mul_u32_u24_e32 v41, 0x10001, v34
	v_and_b32_e32 v34, 0xffff, v35
	v_mul_u32_u24_e32 v38, 0x10001, v38
	v_mul_u32_u24_e32 v39, 0x10001, v39
	v_pk_fma_f16 v33, v17, v33, v19
	v_pk_fma_f16 v41, v17, v41, v18
	v_mul_u32_u24_e32 v42, 0x10001, v34
	v_and_b32_e32 v34, 0xffff, v36
	v_pk_fma_f16 v38, v17, v38, v21
	v_pk_fma_f16 v39, v17, v39, v23
	s_delay_alu instid0(VALU_DEP_4) | instskip(NEXT) | instid1(VALU_DEP_4)
	v_pk_fma_f16 v42, v17, v42, v20
	v_mul_u32_u24_e32 v43, 0x10001, v34
	v_and_b32_e32 v34, 0xffff, v37
	s_delay_alu instid0(VALU_DEP_2) | instskip(NEXT) | instid1(VALU_DEP_2)
	v_pk_fma_f16 v43, v17, v43, v22
	v_mul_u32_u24_e32 v44, 0x10001, v34
	ds_load_b128 v[34:37], v147 offset:2000
	v_pk_fma_f16 v44, v17, v44, v24
	s_wait_dscnt 0x0
	v_dual_lshrrev_b32 v45, 16, v34 :: v_dual_lshrrev_b32 v46, 16, v35
	v_dual_lshrrev_b32 v47, 16, v36 :: v_dual_lshrrev_b32 v48, 16, v37
	v_and_b32_e32 v34, 0xffff, v34
	v_and_b32_e32 v35, 0xffff, v35
	;; [unrolled: 1-line block ×4, first 2 shown]
	v_mul_u32_u24_e32 v40, 0x10001, v40
	v_mul_u32_u24_e32 v34, 0x10001, v34
	v_mul_u32_u24_e32 v45, 0x10001, v45
	v_mul_u32_u24_e32 v35, 0x10001, v35
	v_mul_u32_u24_e32 v46, 0x10001, v46
	v_mul_u32_u24_e32 v36, 0x10001, v36
	v_mul_u32_u24_e32 v47, 0x10001, v47
	v_mul_u32_u24_e32 v37, 0x10001, v37
	v_mul_u32_u24_e32 v48, 0x10001, v48
	v_pk_fma_f16 v40, v17, v40, v25
	v_pk_fma_f16 v34, v17, v34, v26
	;; [unrolled: 1-line block ×9, first 2 shown]
	ds_load_2addr_b32 v[20:21], v156 offset0:192 offset1:224
	ds_load_b128 v[16:19], v147 offset:992
	s_wait_dscnt 0x0
	v_lshrrev_b32_e32 v22, 16, v16
	v_and_b32_e32 v16, 0xffff, v16
	v_dual_lshrrev_b32 v23, 16, v17 :: v_dual_lshrrev_b32 v24, 16, v18
	v_lshrrev_b32_e32 v25, 16, v19
	s_delay_alu instid0(VALU_DEP_4) | instskip(NEXT) | instid1(VALU_DEP_4)
	v_mul_u32_u24_e32 v27, 0x10001, v22
	v_mul_u32_u24_e32 v26, 0x10001, v16
	v_and_b32_e32 v16, 0xffff, v17
	v_mul_u32_u24_e32 v29, 0x10001, v23
	v_mul_u32_u24_e32 v31, 0x10001, v24
	s_delay_alu instid0(VALU_DEP_3) | instskip(SKIP_1) | instid1(VALU_DEP_1)
	v_mul_u32_u24_e32 v28, 0x10001, v16
	v_and_b32_e32 v16, 0xffff, v18
	v_mul_u32_u24_e32 v30, 0x10001, v16
	v_and_b32_e32 v16, 0xffff, v19
	s_delay_alu instid0(VALU_DEP_1)
	v_mul_u32_u24_e32 v32, 0x10001, v16
	ds_load_b128 v[16:19], v147 offset:2016
	s_wait_dscnt 0x0
	v_lshrrev_b32_e32 v22, 16, v16
	v_mul_u32_u24_e32 v49, 0x10001, v25
	v_dual_lshrrev_b32 v23, 16, v17 :: v_dual_lshrrev_b32 v24, 16, v18
	v_lshrrev_b32_e32 v25, 16, v19
	v_and_b32_e32 v16, 0xffff, v16
	v_and_b32_e32 v17, 0xffff, v17
	;; [unrolled: 1-line block ×4, first 2 shown]
	v_mul_u32_u24_e32 v50, 0x10001, v22
	v_mul_u32_u24_e32 v16, 0x10001, v16
	v_mul_u32_u24_e32 v17, 0x10001, v17
	v_mul_u32_u24_e32 v18, 0x10001, v18
	v_mul_u32_u24_e32 v19, 0x10001, v19
	v_mul_u32_u24_e32 v52, 0x10001, v24
	v_pk_fma_f16 v22, v20, v26, v41
	v_pk_fma_f16 v24, v20, v28, v42
	;; [unrolled: 1-line block ×8, first 2 shown]
	ds_load_b128 v[16:19], v147 offset:1008
	v_mul_u32_u24_e32 v53, 0x10001, v25
	v_pk_fma_f16 v25, v20, v29, v38
	v_mul_u32_u24_e32 v51, 0x10001, v23
	v_pk_fma_f16 v23, v20, v27, v33
	v_pk_fma_f16 v27, v20, v31, v39
	;; [unrolled: 1-line block ×7, first 2 shown]
	s_wait_dscnt 0x0
	v_lshrrev_b32_e32 v38, 16, v16
	v_and_b32_e32 v16, 0xffff, v16
	v_dual_lshrrev_b32 v40, 16, v17 :: v_dual_lshrrev_b32 v42, 16, v18
	v_lshrrev_b32_e32 v44, 16, v19
	s_delay_alu instid0(VALU_DEP_4) | instskip(NEXT) | instid1(VALU_DEP_4)
	v_mul_u32_u24_e32 v38, 0x10001, v38
	v_mul_u32_u24_e32 v37, 0x10001, v16
	v_and_b32_e32 v16, 0xffff, v17
	v_mul_u32_u24_e32 v40, 0x10001, v40
	v_mul_u32_u24_e32 v42, 0x10001, v42
	v_pk_fma_f16 v180, v21, v38, v23
	v_pk_fma_f16 v181, v21, v37, v22
	v_mul_u32_u24_e32 v39, 0x10001, v16
	v_and_b32_e32 v16, 0xffff, v18
	v_pk_fma_f16 v178, v21, v40, v25
	v_pk_fma_f16 v176, v21, v42, v27
	s_delay_alu instid0(VALU_DEP_4) | instskip(NEXT) | instid1(VALU_DEP_4)
	v_pk_fma_f16 v179, v21, v39, v24
	v_mul_u32_u24_e32 v41, 0x10001, v16
	v_and_b32_e32 v16, 0xffff, v19
	s_delay_alu instid0(VALU_DEP_2) | instskip(NEXT) | instid1(VALU_DEP_2)
	v_pk_fma_f16 v177, v21, v41, v26
	v_mul_u32_u24_e32 v43, 0x10001, v16
	ds_load_b128 v[16:19], v147 offset:2032
	s_wait_dscnt 0x0
	s_barrier_signal -1
	s_barrier_wait -1
	s_load_b32 s3, s[10:11], 0x4
	v_pk_fma_f16 v175, v21, v43, v28
	v_dual_lshrrev_b32 v45, 16, v16 :: v_dual_lshrrev_b32 v46, 16, v17
	v_dual_lshrrev_b32 v47, 16, v18 :: v_dual_lshrrev_b32 v48, 16, v19
	v_and_b32_e32 v16, 0xffff, v16
	v_and_b32_e32 v17, 0xffff, v17
	v_and_b32_e32 v18, 0xffff, v18
	v_and_b32_e32 v19, 0xffff, v19
	v_mul_u32_u24_e32 v44, 0x10001, v44
	v_mul_u32_u24_e32 v16, 0x10001, v16
	;; [unrolled: 1-line block ×9, first 2 shown]
	s_wait_kmcnt 0x0
	s_lshl_b32 s3, s3, 6
	v_pk_fma_f16 v174, v21, v44, v29
	v_pk_fma_f16 v173, v21, v16, v30
	;; [unrolled: 1-line block ×9, first 2 shown]
	s_add_co_i32 s4, s3, s4
	s_delay_alu instid0(SALU_CYCLE_1)
	s_cmp_ge_i32 s4, s30
	s_cbranch_scc0 .LBB33_9
; %bb.10:
	s_clause 0x1b
	scratch_load_b32 v135, off, off offset:36
	scratch_load_b32 v136, off, off offset:40
	;; [unrolled: 1-line block ×28, first 2 shown]
	v_dual_mov_b32 v19, v142 :: v_dual_mov_b32 v51, 32
.LBB33_11:
	v_lshlrev_b32_e32 v62, 1, v123
	s_delay_alu instid0(VALU_DEP_2)
	v_cmp_lt_i32_e32 vcc_lo, v143, v51
	s_cmp_lg_u64 s[12:13], 0
	s_cselect_b32 s3, -1, 0
	s_cmp_eq_u32 s33, 0
	v_cndmask_b32_e32 v16, v19, v143, vcc_lo
	v_cmp_lt_i32_e32 vcc_lo, v141, v51
	s_cselect_b32 s4, -1, 0
	s_delay_alu instid0(SALU_CYCLE_1) | instskip(NEXT) | instid1(VALU_DEP_2)
	s_and_b32 s3, s4, s3
	v_dual_cndmask_b32 v28, v19, v141, vcc_lo :: v_dual_lshlrev_b32 v18, 2, v16
	v_cmp_lt_i32_e32 vcc_lo, v139, v51
	s_delay_alu instid0(VALU_DEP_2)
	v_lshlrev_b32_e32 v49, 2, v28
	ds_bpermute_b32 v16, v18, v80
	ds_bpermute_b32 v17, v18, v81
	;; [unrolled: 1-line block ×16, first 2 shown]
	v_cndmask_b32_e32 v18, v19, v139, vcc_lo
	v_cmp_lt_i32_e32 vcc_lo, v140, v51
	s_wait_dscnt 0xe
	v_pk_add_f32 v[16:17], v[80:81], v[16:17]
	s_delay_alu instid0(VALU_DEP_3)
	v_dual_lshlrev_b32 v18, 2, v18 :: v_dual_cndmask_b32 v50, v19, v140, vcc_lo
	s_wait_dscnt 0xc
	v_pk_add_f32 v[20:21], v[78:79], v[20:21]
	s_wait_dscnt 0xa
	v_pk_add_f32 v[22:23], v[86:87], v[22:23]
	ds_bpermute_b32 v34, v49, v16
	s_wait_dscnt 0x9
	v_pk_add_f32 v[24:25], v[84:85], v[24:25]
	ds_bpermute_b32 v35, v49, v17
	;; [unrolled: 3-line block ×6, first 2 shown]
	ds_bpermute_b32 v40, v49, v24
	ds_bpermute_b32 v41, v49, v25
	;; [unrolled: 1-line block ×10, first 2 shown]
	v_cmp_lt_i32_e32 vcc_lo, v138, v51
	s_wait_dscnt 0xe
	v_pk_add_f32 v[16:17], v[16:17], v[34:35]
	v_lshlrev_b32_e32 v50, 2, v50
	s_wait_dscnt 0xc
	v_pk_add_f32 v[20:21], v[20:21], v[36:37]
	ds_bpermute_b32 v34, v18, v16
	ds_bpermute_b32 v35, v18, v17
	v_cndmask_b32_e32 v51, v19, v138, vcc_lo
	s_wait_dscnt 0xc
	v_pk_add_f32 v[22:23], v[22:23], v[38:39]
	ds_bpermute_b32 v36, v18, v20
	s_wait_dscnt 0xb
	v_pk_add_f32 v[24:25], v[24:25], v[40:41]
	ds_bpermute_b32 v37, v18, v21
	;; [unrolled: 3-line block ×6, first 2 shown]
	ds_bpermute_b32 v42, v18, v26
	ds_bpermute_b32 v43, v18, v27
	;; [unrolled: 1-line block ×8, first 2 shown]
	s_wait_dscnt 0xe
	v_pk_add_f32 v[16:17], v[16:17], v[34:35]
	v_lshlrev_b32_e32 v53, 2, v51
	s_and_b32 vcc_lo, exec_lo, s3
	s_wait_dscnt 0xc
	v_pk_add_f32 v[20:21], v[20:21], v[36:37]
	ds_bpermute_b32 v34, v50, v16
	ds_bpermute_b32 v35, v50, v17
	s_wait_dscnt 0xc
	v_pk_add_f32 v[22:23], v[22:23], v[38:39]
	ds_bpermute_b32 v36, v50, v20
	ds_bpermute_b32 v37, v50, v21
	s_wait_dscnt 0xc
	v_pk_add_f32 v[24:25], v[24:25], v[40:41]
	ds_bpermute_b32 v38, v50, v22
	s_wait_dscnt 0xb
	v_pk_add_f32 v[26:27], v[26:27], v[42:43]
	;; [unrolled: 3-line block ×5, first 2 shown]
	ds_bpermute_b32 v42, v50, v26
	ds_bpermute_b32 v43, v50, v27
	;; [unrolled: 1-line block ×8, first 2 shown]
	s_wait_dscnt 0xe
	v_pk_add_f32 v[16:17], v[16:17], v[34:35]
	s_wait_dscnt 0xc
	v_pk_add_f32 v[20:21], v[20:21], v[36:37]
	ds_bpermute_b32 v34, v53, v16
	s_wait_dscnt 0xb
	v_pk_add_f32 v[22:23], v[22:23], v[38:39]
	ds_bpermute_b32 v35, v53, v17
	ds_bpermute_b32 v36, v53, v20
	;; [unrolled: 1-line block ×3, first 2 shown]
	s_wait_dscnt 0xc
	v_pk_add_f32 v[24:25], v[24:25], v[40:41]
	ds_bpermute_b32 v38, v53, v22
	ds_bpermute_b32 v39, v53, v23
	s_wait_dscnt 0xc
	v_pk_add_f32 v[26:27], v[26:27], v[42:43]
	s_wait_dscnt 0xa
	v_pk_add_f32 v[28:29], v[28:29], v[32:33]
	ds_bpermute_b32 v40, v53, v24
	s_wait_dscnt 0x9
	v_pk_add_f32 v[30:31], v[30:31], v[44:45]
	ds_bpermute_b32 v41, v53, v25
	;; [unrolled: 3-line block ×3, first 2 shown]
	ds_bpermute_b32 v33, v53, v27
	ds_bpermute_b32 v48, v53, v28
	;; [unrolled: 1-line block ×7, first 2 shown]
	s_wait_dscnt 0xe
	v_pk_add_f32 v[46:47], v[16:17], v[34:35]
	s_wait_dscnt 0xc
	v_pk_add_f32 v[44:45], v[20:21], v[36:37]
	;; [unrolled: 2-line block ×8, first 2 shown]
	s_cbranch_vccz .LBB33_13
; %bb.12:
	s_ashr_i32 s3, s2, 31
	v_dual_mov_b32 v16, 0 :: v_dual_max_num_f32 v17, v1, v1
	s_lshl_b64 s[4:5], s[2:3], 2
	v_dual_max_num_f32 v21, v5, v5 :: v_dual_max_num_f32 v22, v6, v6
	s_add_nc_u64 s[4:5], s[12:13], s[4:5]
	v_max_num_f32_e32 v18, v2, v2
	global_load_b64 v[48:49], v16, s[4:5]
	s_wait_xcnt 0x0
	v_dual_max_num_f32 v16, v0, v0 :: v_dual_max_num_f32 v25, v9, v9
	v_dual_max_num_f32 v23, v7, v7 :: v_dual_max_num_f32 v24, v8, v8
	;; [unrolled: 1-line block ×4, first 2 shown]
	s_wait_loadcnt 0x0
	v_dual_max_num_f32 v26, v10, v10 :: v_dual_max_num_f32 v31, v49, v49
	s_delay_alu instid0(VALU_DEP_1) | instskip(NEXT) | instid1(VALU_DEP_1)
	v_dual_max_num_f32 v30, v48, v48 :: v_dual_max_num_f32 v17, v17, v31
	v_dual_max_num_f32 v16, v16, v30 :: v_dual_max_num_f32 v18, v18, v30
	;; [unrolled: 1-line block ×3, first 2 shown]
	s_delay_alu instid0(VALU_DEP_4) | instskip(NEXT) | instid1(VALU_DEP_3)
	v_dual_max_num_f32 v23, v23, v31 :: v_dual_max_num_f32 v26, v26, v30
	v_dual_max_num_f32 v27, v27, v31 :: v_dual_sub_f32 v0, v0, v16
	v_dual_sub_f32 v50, v49, v17 :: v_dual_max_num_f32 v24, v24, v30
	v_dual_max_num_f32 v25, v25, v31 :: v_dual_sub_f32 v29, v48, v16
	v_sub_f32_e32 v51, v2, v18
	v_dual_sub_f32 v60, v48, v22 :: v_dual_sub_f32 v63, v7, v23
	v_dual_sub_f32 v61, v49, v27 :: v_dual_mul_f32 v2, 0x3fb8aa3b, v0
	v_dual_max_num_f32 v20, v20, v30 :: v_dual_max_num_f32 v21, v21, v31
	v_dual_max_num_f32 v28, v28, v30 :: v_dual_sub_f32 v1, v1, v17
	v_dual_sub_f32 v52, v48, v18 :: v_dual_sub_f32 v53, v3, v19
	v_dual_sub_f32 v68, v49, v25 :: v_dual_sub_f32 v69, v10, v26
	v_mul_f32_e32 v3, 0x3fb8aa3b, v29
	v_dual_mul_f32 v75, 0x3fb8aa3b, v60 :: v_dual_mul_f32 v76, 0x3fb8aa3b, v63
	v_fma_f32 v86, 0x3fb8aa3b, v0, -v2
	v_rndne_f32_e32 v87, v2
	v_dual_sub_f32 v54, v49, v19 :: v_dual_sub_f32 v55, v4, v20
	v_dual_sub_f32 v58, v49, v21 :: v_dual_sub_f32 v59, v6, v22
	v_dual_sub_f32 v64, v49, v23 :: v_dual_sub_f32 v65, v8, v24
	v_mul_f32_e32 v4, 0x3fb8aa3b, v1
	v_dual_mul_f32 v6, 0x3fb8aa3b, v51 :: v_dual_mul_f32 v81, 0x3fb8aa3b, v68
	v_mul_f32_e32 v82, 0x3fb8aa3b, v69
	v_dual_mul_f32 v85, 0x3fb8aa3b, v61 :: v_dual_sub_f32 v2, v2, v87
	v_fma_f32 v88, 0x3fb8aa3b, v29, -v3
	v_rndne_f32_e32 v89, v3
	v_rndne_f32_e32 v115, v76
	v_fmac_f32_e32 v86, 0x32a5705f, v0
	v_dual_sub_f32 v70, v48, v26 :: v_dual_sub_f32 v71, v11, v27
	v_dual_sub_f32 v56, v48, v20 :: v_dual_sub_f32 v57, v5, v21
	v_mul_f32_e32 v5, 0x3fb8aa3b, v50
	v_dual_mul_f32 v77, 0x3fb8aa3b, v64 :: v_dual_mul_f32 v78, 0x3fb8aa3b, v65
	v_fma_f32 v90, 0x3fb8aa3b, v1, -v4
	v_rndne_f32_e32 v91, v4
	v_fma_f32 v114, 0x3fb8aa3b, v63, -v76
	v_fma_f32 v125, 0x3fb8aa3b, v68, -v81
	v_fmac_f32_e32 v88, 0x32a5705f, v29
	v_dual_sub_f32 v3, v3, v89 :: v_dual_sub_f32 v76, v76, v115
	v_dual_add_f32 v2, v2, v86 :: v_dual_sub_f32 v66, v48, v24
	v_sub_f32_e32 v67, v9, v25
	v_dual_mul_f32 v73, 0x3fb8aa3b, v58 :: v_dual_mul_f32 v74, 0x3fb8aa3b, v59
	v_dual_mul_f32 v83, 0x3fb8aa3b, v70 :: v_dual_mul_f32 v84, 0x3fb8aa3b, v71
	;; [unrolled: 1-line block ×3, first 2 shown]
	v_fma_f32 v92, 0x3fb8aa3b, v50, -v5
	v_rndne_f32_e32 v93, v5
	v_rndne_f32_e32 v119, v78
	;; [unrolled: 1-line block ×3, first 2 shown]
	v_fmac_f32_e32 v90, 0x32a5705f, v1
	s_delay_alu instid0(VALU_DEP_4)
	v_dual_sub_f32 v4, v4, v91 :: v_dual_sub_f32 v5, v5, v93
	v_dual_fmac_f32 v125, 0x32a5705f, v68 :: v_dual_fmac_f32 v114, 0x32a5705f, v63
	v_add_f32_e32 v3, v3, v88
	v_exp_f32_e32 v2, v2
	v_dual_mul_f32 v9, 0x3fb8aa3b, v54 :: v_dual_mul_f32 v10, 0x3fb8aa3b, v55
	v_dual_mul_f32 v79, 0x3fb8aa3b, v66 :: v_dual_mul_f32 v80, 0x3fb8aa3b, v67
	v_fma_f32 v108, 0x3fb8aa3b, v58, -v73
	v_rndne_f32_e32 v111, v74
	v_fma_f32 v131, 0x3fb8aa3b, v71, -v84
	v_rndne_f32_e32 v132, v84
	v_cvt_i32_f32_e32 v87, v87
	v_dual_mul_f32 v11, 0x3fb8aa3b, v56 :: v_dual_mul_f32 v72, 0x3fb8aa3b, v57
	v_fma_f32 v94, 0x3fb8aa3b, v51, -v6
	v_rndne_f32_e32 v95, v6
	v_rndne_f32_e32 v97, v7
	v_fma_f32 v118, 0x3fb8aa3b, v65, -v78
	v_fmac_f32_e32 v92, 0x32a5705f, v50
	v_dual_sub_f32 v81, v81, v126 :: v_dual_sub_f32 v78, v78, v119
	v_add_f32_e32 v4, v4, v90
	v_exp_f32_e32 v3, v3
	v_fma_f32 v100, 0x3fb8aa3b, v54, -v9
	v_rndne_f32_e32 v101, v9
	v_rndne_f32_e32 v103, v10
	v_fma_f32 v110, 0x3fb8aa3b, v59, -v74
	v_rndne_f32_e32 v117, v77
	v_fma_f32 v122, 0x3fb8aa3b, v67, -v80
	v_rndne_f32_e32 v124, v80
	v_cvt_i32_f32_e32 v89, v89
	v_dual_fmac_f32 v108, 0x32a5705f, v58 :: v_dual_fmac_f32 v131, 0x32a5705f, v71
	v_dual_sub_f32 v74, v74, v111 :: v_dual_sub_f32 v84, v84, v132
	v_ldexp_f32 v2, v2, v87
	v_cmp_ngt_f32_e32 vcc_lo, 0xc2ce8ed0, v0
	v_fma_f32 v96, 0x3fb8aa3b, v52, -v7
	v_fma_f32 v104, 0x3fb8aa3b, v56, -v11
	v_rndne_f32_e32 v105, v11
	v_fma_f32 v127, 0x3fb8aa3b, v69, -v82
	v_dual_fmac_f32 v94, 0x32a5705f, v51 :: v_dual_sub_f32 v9, v9, v101
	s_delay_alu instid0(VALU_DEP_3)
	v_dual_sub_f32 v6, v6, v95 :: v_dual_sub_f32 v11, v11, v105
	v_sub_f32_e32 v7, v7, v97
	v_dual_fmac_f32 v118, 0x32a5705f, v65 :: v_dual_add_f32 v5, v5, v92
	v_exp_f32_e32 v4, v4
	v_fma_f32 v102, 0x3fb8aa3b, v55, -v10
	v_fma_f32 v116, 0x3fb8aa3b, v64, -v77
	v_cvt_i32_f32_e32 v91, v91
	v_dual_fmac_f32 v100, 0x32a5705f, v54 :: v_dual_sub_f32 v77, v77, v117
	v_dual_sub_f32 v10, v10, v103 :: v_dual_sub_f32 v80, v80, v124
	s_delay_alu instid0(VALU_DEP_2)
	v_dual_fmac_f32 v122, 0x32a5705f, v67 :: v_dual_add_f32 v9, v9, v100
	v_dual_add_f32 v84, v84, v131 :: v_dual_cndmask_b32 v2, 0, v2, vcc_lo
	v_ldexp_f32 v3, v3, v89
	v_cmp_ngt_f32_e32 vcc_lo, 0xc2ce8ed0, v29
	v_fma_f32 v98, 0x3fb8aa3b, v53, -v8
	v_rndne_f32_e32 v99, v8
	v_rndne_f32_e32 v109, v73
	v_fma_f32 v120, 0x3fb8aa3b, v66, -v79
	v_fmac_f32_e32 v96, 0x32a5705f, v52
	v_dual_fmac_f32 v104, 0x32a5705f, v56 :: v_dual_fmac_f32 v127, 0x32a5705f, v69
	v_add_f32_e32 v6, v6, v94
	v_exp_f32_e32 v5, v5
	v_cvt_i32_f32_e32 v93, v93
	v_dual_add_f32 v80, v80, v122 :: v_dual_cndmask_b32 v3, 0, v3
	v_ldexp_f32 v4, v4, v91
	v_cmp_ngt_f32_e32 vcc_lo, 0xc2ce8ed0, v1
	v_rndne_f32_e32 v113, v75
	v_fma_f32 v129, 0x3fb8aa3b, v70, -v83
	v_fmac_f32_e32 v98, 0x32a5705f, v53
	v_dual_sub_f32 v8, v8, v99 :: v_dual_sub_f32 v73, v73, v109
	v_dual_fmac_f32 v120, 0x32a5705f, v66 :: v_dual_add_f32 v7, v7, v96
	v_add_f32_e32 v11, v11, v104
	v_exp_f32_e32 v6, v6
	v_cvt_i32_f32_e32 v95, v95
	v_ldexp_f32 v5, v5, v93
	v_cndmask_b32_e32 v4, 0, v4, vcc_lo
	v_cmp_ngt_f32_e32 vcc_lo, 0xc2ce8ed0, v50
	v_fma_f32 v112, 0x3fb8aa3b, v60, -v75
	v_sub_f32_e32 v75, v75, v113
	v_fmac_f32_e32 v129, 0x32a5705f, v70
	v_dual_add_f32 v8, v8, v98 :: v_dual_add_f32 v73, v73, v108
	v_exp_f32_e32 v7, v7
	v_cvt_i32_f32_e32 v97, v97
	v_ldexp_f32 v6, v6, v95
	v_cndmask_b32_e32 v5, 0, v5, vcc_lo
	v_cmp_ngt_f32_e32 vcc_lo, 0xc2ce8ed0, v51
	v_rndne_f32_e32 v121, v79
	v_rndne_f32_e32 v134, v85
	v_fmac_f32_e32 v102, 0x32a5705f, v55
	v_exp_f32_e32 v8, v8
	v_cvt_i32_f32_e32 v99, v99
	v_ldexp_f32 v7, v7, v97
	v_cndmask_b32_e32 v6, 0, v6, vcc_lo
	v_cmp_ngt_f32_e32 vcc_lo, 0xc2ce8ed0, v52
	v_fma_f32 v106, 0x3fb8aa3b, v57, -v72
	v_rndne_f32_e32 v107, v72
	v_fma_f32 v133, 0x3fb8aa3b, v61, -v85
	v_dual_fmac_f32 v112, 0x32a5705f, v60 :: v_dual_sub_f32 v85, v85, v134
	v_dual_sub_f32 v79, v79, v121 :: v_dual_add_f32 v10, v10, v102
	v_exp_f32_e32 v9, v9
	v_cvt_i32_f32_e32 v101, v101
	v_ldexp_f32 v8, v8, v99
	v_cndmask_b32_e32 v7, 0, v7, vcc_lo
	v_cmp_ngt_f32_e32 vcc_lo, 0xc2ce8ed0, v53
	v_rndne_f32_e32 v128, v82
	v_rndne_f32_e32 v130, v83
	v_fmac_f32_e32 v106, 0x32a5705f, v57
	v_dual_sub_f32 v72, v72, v107 :: v_dual_add_f32 v75, v75, v112
	v_exp_f32_e32 v10, v10
	v_cvt_i32_f32_e32 v103, v103
	v_ldexp_f32 v9, v9, v101
	v_cndmask_b32_e32 v8, 0, v8, vcc_lo
	v_cmp_ngt_f32_e32 vcc_lo, 0xc2ce8ed0, v54
	v_dual_fmac_f32 v116, 0x32a5705f, v64 :: v_dual_add_f32 v81, v81, v125
	v_dual_sub_f32 v82, v82, v128 :: v_dual_sub_f32 v83, v83, v130
	s_delay_alu instid0(VALU_DEP_2)
	v_dual_add_f32 v72, v72, v106 :: v_dual_add_f32 v77, v77, v116
	v_exp_f32_e32 v11, v11
	v_cvt_i32_f32_e32 v105, v105
	v_ldexp_f32 v10, v10, v103
	v_cndmask_b32_e32 v9, 0, v9, vcc_lo
	v_cmp_ngt_f32_e32 vcc_lo, 0xc2ce8ed0, v55
	v_dual_fmac_f32 v110, 0x32a5705f, v59 :: v_dual_fmac_f32 v133, 0x32a5705f, v61
	v_exp_f32_e32 v72, v72
	v_cvt_i32_f32_e32 v107, v107
	v_ldexp_f32 v11, v11, v105
	v_cndmask_b32_e32 v10, 0, v10, vcc_lo
	v_cmp_ngt_f32_e32 vcc_lo, 0xc2ce8ed0, v56
	v_dual_add_f32 v74, v74, v110 :: v_dual_add_f32 v79, v79, v120
	v_exp_f32_e32 v73, v73
	v_cvt_i32_f32_e32 v109, v109
	v_ldexp_f32 v72, v72, v107
	v_cndmask_b32_e32 v11, 0, v11, vcc_lo
	v_cmp_ngt_f32_e32 vcc_lo, 0xc2ce8ed0, v57
	v_exp_f32_e32 v74, v74
	v_cvt_i32_f32_e32 v111, v111
	v_ldexp_f32 v73, v73, v109
	v_dual_add_f32 v76, v76, v114 :: v_dual_add_f32 v82, v82, v127
	v_cndmask_b32_e32 v72, 0, v72, vcc_lo
	v_cmp_ngt_f32_e32 vcc_lo, 0xc2ce8ed0, v58
	v_exp_f32_e32 v75, v75
	v_cvt_i32_f32_e32 v113, v113
	v_ldexp_f32 v74, v74, v111
	v_exp_f32_e32 v76, v76
	v_cndmask_b32_e32 v73, 0, v73, vcc_lo
	v_cmp_ngt_f32_e32 vcc_lo, 0xc2ce8ed0, v59
	v_cvt_i32_f32_e32 v115, v115
	v_ldexp_f32 v75, v75, v113
	v_dual_add_f32 v78, v78, v118 :: v_dual_add_f32 v83, v83, v129
	v_cndmask_b32_e32 v74, 0, v74, vcc_lo
	v_cmp_ngt_f32_e32 vcc_lo, 0xc2ce8ed0, v60
	v_exp_f32_e32 v77, v77
	v_cvt_i32_f32_e32 v117, v117
	v_ldexp_f32 v76, v76, v115
	v_exp_f32_e32 v78, v78
	v_cndmask_b32_e32 v75, 0, v75, vcc_lo
	v_cmp_ngt_f32_e32 vcc_lo, 0xc2ce8ed0, v63
	v_cvt_i32_f32_e32 v119, v119
	v_ldexp_f32 v77, v77, v117
	v_exp_f32_e32 v79, v79
	v_cvt_i32_f32_e32 v121, v121
	v_cndmask_b32_e32 v76, 0, v76, vcc_lo
	v_cmp_ngt_f32_e32 vcc_lo, 0xc2ce8ed0, v64
	v_ldexp_f32 v78, v78, v119
	v_exp_f32_e32 v80, v80
	v_cvt_i32_f32_e32 v124, v124
	v_ldexp_f32 v79, v79, v121
	v_cndmask_b32_e32 v77, 0, v77, vcc_lo
	v_cmp_ngt_f32_e32 vcc_lo, 0xc2ce8ed0, v65
	v_exp_f32_e32 v81, v81
	v_cvt_i32_f32_e32 v126, v126
	v_ldexp_f32 v80, v80, v124
	v_exp_f32_e32 v82, v82
	v_cndmask_b32_e32 v78, 0, v78, vcc_lo
	v_cmp_ngt_f32_e32 vcc_lo, 0xc2ce8ed0, v66
	v_cvt_i32_f32_e32 v128, v128
	v_ldexp_f32 v81, v81, v126
	v_exp_f32_e32 v83, v83
	v_cvt_i32_f32_e32 v130, v130
	v_cndmask_b32_e32 v79, 0, v79, vcc_lo
	v_cmp_ngt_f32_e32 vcc_lo, 0xc2ce8ed0, v67
	v_ldexp_f32 v82, v82, v128
	v_exp_f32_e32 v84, v84
	v_cvt_i32_f32_e32 v132, v132
	v_ldexp_f32 v83, v83, v130
	v_cndmask_b32_e32 v80, 0, v80, vcc_lo
	v_cmp_ngt_f32_e32 vcc_lo, 0xc2ce8ed0, v68
	v_sub_f32_e32 v12, v12, v28
	s_delay_alu instid0(TRANS32_DEP_1)
	v_ldexp_f32 v84, v84, v132
	v_cndmask_b32_e32 v81, 0, v81, vcc_lo
	v_cmp_ngt_f32_e32 vcc_lo, 0xc2ce8ed0, v69
	v_cndmask_b32_e32 v82, 0, v82, vcc_lo
	v_cmp_ngt_f32_e32 vcc_lo, 0xc2ce8ed0, v70
	v_cndmask_b32_e32 v83, 0, v83, vcc_lo
	v_cmp_nlt_f32_e32 vcc_lo, 0x42b17218, v0
	v_cndmask_b32_e32 v0, 0x7f800000, v2, vcc_lo
	v_cmp_nlt_f32_e32 vcc_lo, 0x42b17218, v29
	;; [unrolled: 2-line block ×13, first 2 shown]
	v_cvt_f16_f32_e32 v59, v1
	v_cndmask_b32_e32 v50, 0x7f800000, v74, vcc_lo
	v_cmp_nlt_f32_e32 vcc_lo, 0x42b17218, v60
	s_delay_alu instid0(VALU_DEP_3) | instskip(SKIP_3) | instid1(VALU_DEP_4)
	v_and_b32_e32 v59, 0xffff, v59
	v_cndmask_b32_e32 v52, 0x7f800000, v75, vcc_lo
	v_cmp_nlt_f32_e32 vcc_lo, 0x42b17218, v63
	v_cvt_f16_f32_e32 v63, v4
	v_mul_u32_u24_e32 v59, 0x10001, v59
	v_cndmask_b32_e32 v51, 0x7f800000, v76, vcc_lo
	v_cmp_nlt_f32_e32 vcc_lo, 0x42b17218, v64
	s_delay_alu instid0(VALU_DEP_4)
	v_and_b32_e32 v63, 0xffff, v63
	v_cvt_f16_f32_e32 v64, v5
	v_pk_mul_f16 v180, v180, v59
	v_cndmask_b32_e32 v53, 0x7f800000, v77, vcc_lo
	v_cmp_nlt_f32_e32 vcc_lo, 0x42b17218, v65
	v_mul_u32_u24_e32 v63, 0x10001, v63
	v_cvt_f16_f32_e32 v65, v8
	v_and_b32_e32 v64, 0xffff, v64
	v_cndmask_b32_e32 v54, 0x7f800000, v78, vcc_lo
	v_cmp_nlt_f32_e32 vcc_lo, 0x42b17218, v66
	v_pk_mul_f16 v179, v179, v63
	v_add_f32_e32 v63, v85, v133
	v_cvt_f16_f32_e32 v29, v0
	v_cvt_f16_f32_e32 v66, v9
	v_cndmask_b32_e32 v56, 0x7f800000, v79, vcc_lo
	v_cmp_nlt_f32_e32 vcc_lo, 0x42b17218, v67
	v_and_b32_e32 v65, 0xffff, v65
	v_and_b32_e32 v29, 0xffff, v29
	;; [unrolled: 1-line block ×3, first 2 shown]
	v_mul_u32_u24_e32 v64, 0x10001, v64
	v_cndmask_b32_e32 v55, 0x7f800000, v80, vcc_lo
	v_cmp_nlt_f32_e32 vcc_lo, 0x42b17218, v68
	v_mul_u32_u24_e32 v29, 0x10001, v29
	v_mul_u32_u24_e32 v65, 0x10001, v65
	;; [unrolled: 1-line block ×3, first 2 shown]
	v_pk_mul_f16 v178, v178, v64
	v_cndmask_b32_e32 v57, 0x7f800000, v81, vcc_lo
	v_cmp_nlt_f32_e32 vcc_lo, 0x42b17218, v69
	v_pk_mul_f16 v181, v181, v29
	v_cvt_f16_f32_e32 v69, v54
	v_pk_mul_f16 v177, v177, v65
	v_mul_f32_e32 v65, 0x3fb8aa3b, v12
	v_cndmask_b32_e32 v58, 0x7f800000, v82, vcc_lo
	v_cmp_nlt_f32_e32 vcc_lo, 0x42b17218, v70
	v_and_b32_e32 v69, 0xffff, v69
	v_pk_mul_f16 v176, v176, v66
	v_rndne_f32_e32 v66, v65
	v_cvt_f16_f32_e32 v72, v58
	v_cndmask_b32_e32 v60, 0x7f800000, v83, vcc_lo
	v_cmp_ngt_f32_e32 vcc_lo, 0xc2ce8ed0, v71
	v_mul_u32_u24_e32 v69, 0x10001, v69
	v_cvt_f16_f32_e32 v67, v50
	v_and_b32_e32 v72, 0xffff, v72
	v_cvt_f16_f32_e32 v68, v51
	v_cndmask_b32_e32 v29, 0, v84, vcc_lo
	v_cmp_nlt_f32_e32 vcc_lo, 0x42b17218, v71
	v_pk_mul_f16 v173, v173, v69
	v_mul_u32_u24_e32 v64, 0x10001, v72
	v_and_b32_e32 v67, 0xffff, v67
	v_and_b32_e32 v68, 0xffff, v68
	v_cndmask_b32_e32 v59, 0x7f800000, v29, vcc_lo
	v_exp_f32_e32 v29, v63
	v_pk_mul_f16 v171, v171, v64
	v_cvt_i32_f32_e32 v63, v134
	v_fma_f32 v64, 0x3fb8aa3b, v12, -v65
	v_cmp_ngt_f32_e32 vcc_lo, 0xc2ce8ed0, v61
	v_mul_u32_u24_e32 v67, 0x10001, v67
	v_cvt_f16_f32_e32 v70, v55
	v_ldexp_f32 v29, v29, v63
	v_dual_fmac_f32 v64, 0x32a5705f, v12 :: v_dual_sub_f32 v63, v65, v66
	v_cvt_i32_f32_e32 v66, v66
	v_mul_u32_u24_e32 v68, 0x10001, v68
	s_delay_alu instid0(VALU_DEP_4)
	v_cndmask_b32_e32 v69, 0, v29, vcc_lo
	v_pk_mul_f16 v175, v175, v67
	v_add_f32_e32 v29, v63, v64
	v_cvt_f16_f32_e32 v67, v59
	v_and_b32_e32 v70, 0xffff, v70
	v_pk_mul_f16 v174, v174, v68
	v_sub_f32_e32 v68, v48, v28
	v_exp_f32_e32 v71, v29
	v_and_b32_e32 v65, 0xffff, v67
	v_mul_u32_u24_e32 v70, 0x10001, v70
	v_cmp_nlt_f32_e32 vcc_lo, 0x42b17218, v61
	s_delay_alu instid0(VALU_DEP_3) | instskip(NEXT) | instid1(TRANS32_DEP_1)
	v_mul_u32_u24_e32 v63, 0x10001, v65
	v_ldexp_f32 v66, v71, v66
	v_dual_max_num_f32 v71, v14, v14 :: v_dual_max_num_f32 v65, v13, v13
	v_pk_mul_f16 v172, v172, v70
	v_cndmask_b32_e32 v61, 0x7f800000, v69, vcc_lo
	v_cmp_ngt_f32_e32 vcc_lo, 0xc2ce8ed0, v12
	s_delay_alu instid0(VALU_DEP_4) | instskip(SKIP_3) | instid1(VALU_DEP_4)
	v_dual_max_num_f32 v30, v71, v30 :: v_dual_max_num_f32 v29, v65, v31
	v_pk_mul_f16 v170, v170, v63
	v_pk_fma_f32 v[46:47], v[46:47], v[0:1], v[2:3]
	v_cndmask_b32_e32 v63, 0, v66, vcc_lo
	v_sub_f32_e32 v71, v14, v30
	v_mul_f32_e32 v67, 0x3fb8aa3b, v68
	v_sub_f32_e32 v13, v13, v29
	v_cmp_nlt_f32_e32 vcc_lo, 0x42b17218, v12
	v_sub_f32_e32 v69, v49, v29
	s_delay_alu instid0(VALU_DEP_4) | instskip(SKIP_3) | instid1(VALU_DEP_3)
	v_fma_f32 v64, 0x3fb8aa3b, v68, -v67
	v_rndne_f32_e32 v70, v67
	v_cndmask_b32_e32 v12, 0x7f800000, v63, vcc_lo
	v_cmp_ngt_f32_e32 vcc_lo, 0xc2ce8ed0, v68
	v_dual_fmac_f32 v64, 0x32a5705f, v68 :: v_dual_sub_f32 v65, v67, v70
	v_cvt_i32_f32_e32 v66, v70
	v_mul_f32_e32 v70, 0x3fb8aa3b, v69
	s_delay_alu instid0(VALU_DEP_3) | instskip(NEXT) | instid1(VALU_DEP_2)
	v_add_f32_e32 v64, v65, v64
	v_rndne_f32_e32 v72, v70
	s_delay_alu instid0(VALU_DEP_2) | instskip(SKIP_1) | instid1(TRANS32_DEP_1)
	v_exp_f32_e32 v64, v64
	v_nop
	v_ldexp_f32 v64, v64, v66
	v_mul_f32_e32 v65, 0x3fb8aa3b, v13
	v_cvt_f16_f32_e32 v66, v12
	s_delay_alu instid0(VALU_DEP_3) | instskip(NEXT) | instid1(VALU_DEP_3)
	v_cndmask_b32_e32 v64, 0, v64, vcc_lo
	v_fma_f32 v63, 0x3fb8aa3b, v13, -v65
	v_rndne_f32_e32 v67, v65
	v_cmp_nlt_f32_e32 vcc_lo, 0x42b17218, v68
	s_delay_alu instid0(VALU_DEP_3) | instskip(NEXT) | instid1(VALU_DEP_3)
	v_fmac_f32_e32 v63, 0x32a5705f, v13
	v_sub_f32_e32 v65, v65, v67
	v_cvt_i32_f32_e32 v67, v67
	v_cndmask_b32_e32 v14, 0x7f800000, v64, vcc_lo
	v_cmp_ngt_f32_e32 vcc_lo, 0xc2ce8ed0, v13
	s_delay_alu instid0(VALU_DEP_4)
	v_add_f32_e32 v63, v65, v63
	v_and_b32_e32 v65, 0xffff, v66
	v_fma_f32 v66, 0x3fb8aa3b, v69, -v70
	v_sub_f32_e32 v70, v70, v72
	v_pk_fma_f32 v[42:43], v[42:43], v[8:9], v[10:11]
	v_exp_f32_e32 v63, v63
	v_mul_u32_u24_e32 v65, 0x10001, v65
	s_delay_alu instid0(VALU_DEP_1) | instskip(NEXT) | instid1(TRANS32_DEP_1)
	v_pk_mul_f16 v169, v169, v65
	v_ldexp_f32 v63, v63, v67
	s_delay_alu instid0(VALU_DEP_1) | instskip(NEXT) | instid1(VALU_DEP_1)
	v_dual_fmac_f32 v66, 0x32a5705f, v69 :: v_dual_cndmask_b32 v63, 0, v63
	v_add_f32_e32 v64, v70, v66
	v_mul_f32_e32 v66, 0x3fb8aa3b, v71
	v_cmp_nlt_f32_e32 vcc_lo, 0x42b17218, v13
	v_max_num_f32_e32 v70, v15, v15
	v_pk_fma_f32 v[44:45], v[44:45], v[4:5], v[6:7]
	v_exp_f32_e32 v64, v64
	v_fma_f32 v67, 0x3fb8aa3b, v71, -v66
	v_rndne_f32_e32 v68, v66
	v_cndmask_b32_e32 v13, 0x7f800000, v63, vcc_lo
	v_cvt_i32_f32_e32 v63, v72
	v_cmp_ngt_f32_e32 vcc_lo, 0xc2ce8ed0, v69
	s_delay_alu instid0(VALU_DEP_4) | instskip(SKIP_1) | instid1(VALU_DEP_4)
	v_dual_fmac_f32 v67, 0x32a5705f, v71 :: v_dual_sub_f32 v66, v66, v68
	v_pk_fma_f32 v[40:41], v[40:41], v[50:51], v[52:53]
	v_ldexp_f32 v63, v64, v63
	v_cvt_f16_f32_e32 v64, v13
	s_delay_alu instid0(VALU_DEP_4) | instskip(SKIP_1) | instid1(VALU_DEP_3)
	v_dual_add_f32 v65, v66, v67 :: v_dual_sub_f32 v66, v48, v30
	v_max_num_f32_e32 v31, v70, v31
	v_and_b32_e32 v48, 0xffff, v64
	v_cvt_i32_f32_e32 v67, v68
	s_delay_alu instid0(VALU_DEP_4) | instskip(NEXT) | instid1(VALU_DEP_3)
	v_exp_f32_e32 v64, v65
	v_dual_mul_f32 v68, 0x3fb8aa3b, v66 :: v_dual_sub_f32 v65, v15, v31
	v_cndmask_b32_e32 v63, 0, v63, vcc_lo
	v_cmp_nlt_f32_e32 vcc_lo, 0x42b17218, v69
	v_mul_u32_u24_e32 v69, 0x10001, v48
	v_sub_f32_e32 v72, v49, v31
	s_delay_alu instid0(TRANS32_DEP_1)
	v_ldexp_f32 v48, v64, v67
	v_fma_f32 v64, 0x3fb8aa3b, v66, -v68
	v_rndne_f32_e32 v67, v68
	v_pk_mul_f16 v168, v168, v69
	v_mul_f32_e32 v73, 0x3fb8aa3b, v72
	v_pk_fma_f32 v[38:39], v[38:39], v[54:55], v[56:57]
	v_fmac_f32_e32 v64, 0x32a5705f, v66
	v_sub_f32_e32 v68, v68, v67
	v_cvt_i32_f32_e32 v67, v67
	v_rndne_f32_e32 v74, v73
	s_delay_alu instid0(VALU_DEP_3) | instskip(SKIP_2) | instid1(VALU_DEP_3)
	v_add_f32_e32 v64, v68, v64
	v_fma_f32 v68, 0x3fb8aa3b, v72, -v73
	v_pk_fma_f32 v[36:37], v[36:37], v[58:59], v[60:61]
	v_exp_f32_e32 v64, v64
	s_delay_alu instid0(VALU_DEP_2) | instskip(SKIP_2) | instid1(TRANS32_DEP_1)
	v_fmac_f32_e32 v68, 0x32a5705f, v72
	v_cndmask_b32_e32 v15, 0x7f800000, v63, vcc_lo
	v_cmp_ngt_f32_e32 vcc_lo, 0xc2ce8ed0, v71
	v_ldexp_f32 v64, v64, v67
	v_dual_cndmask_b32 v48, 0, v48 :: v_dual_mul_f32 v63, 0x3fb8aa3b, v65
	v_cmp_nlt_f32_e32 vcc_lo, 0x42b17218, v71
	s_delay_alu instid0(VALU_DEP_2) | instskip(SKIP_1) | instid1(VALU_DEP_4)
	v_fma_f32 v70, 0x3fb8aa3b, v65, -v63
	v_rndne_f32_e32 v49, v63
	v_cndmask_b32_e32 v48, 0x7f800000, v48, vcc_lo
	v_cmp_ngt_f32_e32 vcc_lo, 0xc2ce8ed0, v65
	s_delay_alu instid0(VALU_DEP_4) | instskip(NEXT) | instid1(VALU_DEP_4)
	v_fmac_f32_e32 v70, 0x32a5705f, v65
	v_sub_f32_e32 v63, v63, v49
	v_cvt_i32_f32_e32 v49, v49
	s_delay_alu instid0(VALU_DEP_2) | instskip(SKIP_1) | instid1(VALU_DEP_2)
	v_add_f32_e32 v63, v63, v70
	v_sub_f32_e32 v70, v73, v74
	v_exp_f32_e32 v63, v63
	v_nop
	s_delay_alu instid0(TRANS32_DEP_1) | instskip(NEXT) | instid1(VALU_DEP_1)
	v_ldexp_f32 v49, v63, v49
	v_dual_cndmask_b32 v49, 0, v49 :: v_dual_add_f32 v68, v70, v68
	v_cmp_ngt_f32_e32 vcc_lo, 0xc2ce8ed0, v66
	v_cvt_f16_f32_e32 v70, v48
	v_pk_fma_f32 v[34:35], v[34:35], v[12:13], v[14:15]
	s_delay_alu instid0(VALU_DEP_4)
	v_exp_f32_e32 v63, v68
	v_nop
	v_cvt_i32_f32_e32 v68, v74
	v_cndmask_b32_e32 v64, 0, v64, vcc_lo
	v_cmp_nlt_f32_e32 vcc_lo, 0x42b17218, v65
	v_and_b32_e32 v67, 0xffff, v70
	s_delay_alu instid0(TRANS32_DEP_1) | instid1(VALU_DEP_4)
	v_ldexp_f32 v63, v63, v68
	v_cndmask_b32_e32 v49, 0x7f800000, v49, vcc_lo
	v_cmp_ngt_f32_e32 vcc_lo, 0xc2ce8ed0, v72
	s_delay_alu instid0(VALU_DEP_4) | instskip(NEXT) | instid1(VALU_DEP_4)
	v_mul_u32_u24_e32 v67, 0x10001, v67
	v_cndmask_b32_e32 v63, 0, v63, vcc_lo
	v_cmp_nlt_f32_e32 vcc_lo, 0x42b17218, v66
	v_cvt_f16_f32_e32 v66, v49
	s_delay_alu instid0(VALU_DEP_4) | instskip(SKIP_2) | instid1(VALU_DEP_4)
	v_pk_mul_f16 v167, v167, v67
	v_cndmask_b32_e32 v64, 0x7f800000, v64, vcc_lo
	v_cmp_nlt_f32_e32 vcc_lo, 0x42b17218, v72
	v_and_b32_e32 v0, 0xffff, v66
	v_cndmask_b32_e32 v65, 0x7f800000, v63, vcc_lo
	s_delay_alu instid0(VALU_DEP_2)
	v_mul_u32_u24_e32 v50, 0x10001, v0
	v_mov_b64_e32 v[0:1], v[16:17]
	v_mov_b64_e32 v[2:3], v[18:19]
	;; [unrolled: 1-line block ×8, first 2 shown]
	v_pk_fma_f32 v[32:33], v[32:33], v[48:49], v[64:65]
	v_pk_mul_f16 v166, v166, v50
.LBB33_13:
	s_mov_b32 s3, exec_lo
	s_wait_loadcnt 0x9
	s_wait_xcnt 0x0
	v_cmpx_gt_i32_e64 s22, v159
	s_cbranch_execz .LBB33_92
; %bb.14:
	s_load_b32 s0, s[0:1], 0xd4
	v_mov_b32_e32 v16, 1.0
	s_wait_kmcnt 0x0
	s_cmp_lg_u32 s0, 1
	s_cselect_b32 s3, -1, 0
	s_cmp_eq_u32 s0, 1
	s_cselect_b32 s4, -1, 0
	s_and_b32 vcc_lo, exec_lo, s3
	s_cbranch_vccnz .LBB33_16
; %bb.15:
	v_div_scale_f32 v16, null, v46, v46, 1.0
	s_delay_alu instid0(VALU_DEP_1) | instskip(SKIP_1) | instid1(TRANS32_DEP_1)
	v_rcp_f32_e32 v17, v16
	v_nop
	v_fma_f32 v18, -v16, v17, 1.0
	s_delay_alu instid0(VALU_DEP_1) | instskip(SKIP_1) | instid1(VALU_DEP_1)
	v_fmac_f32_e32 v17, v18, v17
	v_div_scale_f32 v18, vcc_lo, 1.0, v46, 1.0
	v_mul_f32_e32 v19, v18, v17
	s_delay_alu instid0(VALU_DEP_1) | instskip(NEXT) | instid1(VALU_DEP_1)
	v_fma_f32 v20, -v16, v19, v18
	v_fmac_f32_e32 v19, v20, v17
	s_delay_alu instid0(VALU_DEP_1) | instskip(NEXT) | instid1(VALU_DEP_1)
	v_fma_f32 v16, -v16, v19, v18
	v_div_fmas_f32 v16, v16, v17, v19
	s_delay_alu instid0(VALU_DEP_1)
	v_div_fixup_f32 v16, v16, v46, 1.0
.LBB33_16:
	s_mul_i32 s1, s28, s22
	v_cvt_f32_f16_e64 v22, v181
	s_add_co_i32 s1, s1, s31
	v_cmp_eq_u32_e32 vcc_lo, 0, v123
	v_dual_add_nc_u32 v17, s1, v156 :: v_dual_lshrrev_b32 v19, 16, v181
	v_mov_b32_e32 v21, 0
	s_and_b32 s3, vcc_lo, s3
	s_delay_alu instid0(VALU_DEP_2) | instskip(NEXT) | instid1(VALU_DEP_3)
	v_mul_lo_u32 v17, v17, s23
	v_cvt_f32_f16_e32 v23, v19
	s_delay_alu instid0(VALU_DEP_2) | instskip(NEXT) | instid1(VALU_DEP_2)
	v_add_nc_u32_e32 v18, s2, v17
	v_pk_mul_f32 v[22:23], v[16:17], v[22:23] op_sel_hi:[0,1]
	s_delay_alu instid0(VALU_DEP_2) | instskip(NEXT) | instid1(VALU_DEP_1)
	v_mad_u32 v18, s0, v18, s33
	v_lshl_add_u32 v20, v18, 6, v62
	s_delay_alu instid0(VALU_DEP_1)
	v_lshl_add_u64 v[20:21], v[20:21], 2, s[16:17]
	global_store_b64 v[20:21], v[22:23], off
	s_wait_xcnt 0x0
	s_and_saveexec_b32 s5, s3
	s_cbranch_execz .LBB33_18
; %bb.17:
	v_dual_mov_b32 v20, v0 :: v_dual_mov_b32 v21, v46
	global_store_b64 v18, v[20:21], s[18:19] scale_offset
.LBB33_18:
	s_wait_xcnt 0x0
	s_or_b32 exec_lo, exec_lo, s5
	v_cndmask_b32_e64 v16, 0, 1, s4
	v_mov_b32_e32 v0, 1.0
	s_and_not1_b32 vcc_lo, exec_lo, s4
	s_cbranch_vccnz .LBB33_20
; %bb.19:
	v_div_scale_f32 v0, null, v47, v47, 1.0
	s_delay_alu instid0(VALU_DEP_1) | instskip(SKIP_1) | instid1(TRANS32_DEP_1)
	v_rcp_f32_e32 v18, v0
	v_nop
	v_fma_f32 v19, -v0, v18, 1.0
	s_delay_alu instid0(VALU_DEP_1) | instskip(SKIP_1) | instid1(VALU_DEP_1)
	v_fmac_f32_e32 v18, v19, v18
	v_div_scale_f32 v19, vcc_lo, 1.0, v47, 1.0
	v_mul_f32_e32 v20, v19, v18
	s_delay_alu instid0(VALU_DEP_1) | instskip(NEXT) | instid1(VALU_DEP_1)
	v_fma_f32 v21, -v0, v20, v19
	v_fmac_f32_e32 v20, v21, v18
	s_delay_alu instid0(VALU_DEP_1) | instskip(NEXT) | instid1(VALU_DEP_1)
	v_fma_f32 v0, -v0, v20, v19
	v_div_fmas_f32 v0, v0, v18, v20
	s_delay_alu instid0(VALU_DEP_1)
	v_div_fixup_f32 v0, v0, v47, 1.0
.LBB33_20:
	s_add_co_i32 s4, s2, 1
	s_delay_alu instid0(SALU_CYCLE_1) | instskip(SKIP_2) | instid1(VALU_DEP_3)
	v_dual_mov_b32 v19, 0 :: v_dual_add_nc_u32 v17, s4, v17
	v_lshrrev_b32_e32 v21, 16, v180
	v_cvt_f32_f16_e64 v20, v180
	v_mad_u32 v17, s0, v17, s33
	s_delay_alu instid0(VALU_DEP_3) | instskip(NEXT) | instid1(VALU_DEP_1)
	v_cvt_f32_f16_e32 v21, v21
	v_pk_mul_f32 v[20:21], v[0:1], v[20:21] op_sel_hi:[0,1]
	s_delay_alu instid0(VALU_DEP_3) | instskip(NEXT) | instid1(VALU_DEP_1)
	v_lshl_add_u32 v18, v17, 6, v62
	v_lshl_add_u64 v[18:19], v[18:19], 2, s[16:17]
	global_store_b64 v[18:19], v[20:21], off
	s_wait_xcnt 0x0
	s_and_saveexec_b32 s5, s3
	s_cbranch_execz .LBB33_22
; %bb.21:
	v_mov_b32_e32 v46, v1
	global_store_b64 v17, v[46:47], s[18:19] scale_offset
.LBB33_22:
	s_wait_xcnt 0x0
	s_or_b32 exec_lo, exec_lo, s5
	s_wait_loadcnt 0x0
	v_cmp_gt_i32_e32 vcc_lo, s22, v184
	s_and_b32 exec_lo, exec_lo, vcc_lo
	s_cbranch_execz .LBB33_92
; %bb.23:
	v_cmp_ne_u32_e32 vcc_lo, 1, v16
	v_mov_b32_e32 v0, 1.0
	s_cbranch_vccnz .LBB33_25
; %bb.24:
	v_div_scale_f32 v0, null, v44, v44, 1.0
	s_delay_alu instid0(VALU_DEP_1) | instskip(SKIP_1) | instid1(TRANS32_DEP_1)
	v_rcp_f32_e32 v1, v0
	v_nop
	v_fma_f32 v17, -v0, v1, 1.0
	s_delay_alu instid0(VALU_DEP_1) | instskip(SKIP_1) | instid1(VALU_DEP_1)
	v_fmac_f32_e32 v1, v17, v1
	v_div_scale_f32 v17, vcc_lo, 1.0, v44, 1.0
	v_mul_f32_e32 v18, v17, v1
	s_delay_alu instid0(VALU_DEP_1) | instskip(NEXT) | instid1(VALU_DEP_1)
	v_fma_f32 v19, -v0, v18, v17
	v_fmac_f32_e32 v18, v19, v1
	s_delay_alu instid0(VALU_DEP_1) | instskip(NEXT) | instid1(VALU_DEP_1)
	v_fma_f32 v0, -v0, v18, v17
	v_div_fmas_f32 v0, v0, v1, v18
	s_delay_alu instid0(VALU_DEP_1)
	v_div_fixup_f32 v0, v0, v44, 1.0
.LBB33_25:
	v_dual_add_nc_u32 v1, s1, v183 :: v_dual_mov_b32 v19, 0
	v_lshrrev_b32_e32 v17, 16, v179
	v_cvt_f32_f16_e64 v20, v179
	s_delay_alu instid0(VALU_DEP_3) | instskip(NEXT) | instid1(VALU_DEP_3)
	v_mad_u32 v1, v1, s23, s2
	v_cvt_f32_f16_e32 v21, v17
	s_delay_alu instid0(VALU_DEP_2) | instskip(NEXT) | instid1(VALU_DEP_1)
	v_mad_u32 v1, s0, v1, s33
	v_lshl_add_u32 v18, v1, 6, v62
	s_delay_alu instid0(VALU_DEP_3) | instskip(NEXT) | instid1(VALU_DEP_2)
	v_pk_mul_f32 v[20:21], v[0:1], v[20:21] op_sel_hi:[0,1]
	v_lshl_add_u64 v[18:19], v[18:19], 2, s[16:17]
	global_store_b64 v[18:19], v[20:21], off
	s_wait_xcnt 0x0
	s_and_saveexec_b32 s5, s3
	s_cbranch_execz .LBB33_27
; %bb.26:
	v_dual_mov_b32 v18, v2 :: v_dual_mov_b32 v19, v44
	global_store_b64 v1, v[18:19], s[18:19] scale_offset
.LBB33_27:
	s_wait_xcnt 0x0
	s_or_b32 exec_lo, exec_lo, s5
	v_cmp_gt_i32_e32 vcc_lo, s22, v182
	s_and_b32 exec_lo, exec_lo, vcc_lo
	s_cbranch_execz .LBB33_92
; %bb.28:
	v_cmp_ne_u32_e32 vcc_lo, 1, v16
	v_mov_b32_e32 v0, 1.0
	s_cbranch_vccnz .LBB33_30
; %bb.29:
	v_div_scale_f32 v0, null, v45, v45, 1.0
	s_delay_alu instid0(VALU_DEP_1) | instskip(SKIP_1) | instid1(TRANS32_DEP_1)
	v_rcp_f32_e32 v1, v0
	v_nop
	v_fma_f32 v2, -v0, v1, 1.0
	s_delay_alu instid0(VALU_DEP_1) | instskip(SKIP_1) | instid1(VALU_DEP_1)
	v_fmac_f32_e32 v1, v2, v1
	v_div_scale_f32 v2, vcc_lo, 1.0, v45, 1.0
	v_mul_f32_e32 v17, v2, v1
	s_delay_alu instid0(VALU_DEP_1) | instskip(NEXT) | instid1(VALU_DEP_1)
	v_fma_f32 v18, -v0, v17, v2
	v_fmac_f32_e32 v17, v18, v1
	s_delay_alu instid0(VALU_DEP_1) | instskip(NEXT) | instid1(VALU_DEP_1)
	v_fma_f32 v0, -v0, v17, v2
	v_div_fmas_f32 v0, v0, v1, v17
	s_delay_alu instid0(VALU_DEP_1)
	v_div_fixup_f32 v0, v0, v45, 1.0
.LBB33_30:
	v_dual_add_nc_u32 v1, s1, v165 :: v_dual_lshrrev_b32 v2, 16, v178
	v_mov_b32_e32 v19, 0
	v_cvt_f32_f16_e64 v20, v178
	s_delay_alu instid0(VALU_DEP_3) | instskip(NEXT) | instid1(VALU_DEP_4)
	v_mad_u32 v1, v1, s23, s4
	v_cvt_f32_f16_e32 v21, v2
	s_delay_alu instid0(VALU_DEP_2) | instskip(NEXT) | instid1(VALU_DEP_1)
	v_mad_u32 v1, s0, v1, s33
	v_lshl_add_u32 v18, v1, 6, v62
	s_delay_alu instid0(VALU_DEP_3) | instskip(NEXT) | instid1(VALU_DEP_2)
	v_pk_mul_f32 v[20:21], v[0:1], v[20:21] op_sel_hi:[0,1]
	v_lshl_add_u64 v[18:19], v[18:19], 2, s[16:17]
	global_store_b64 v[18:19], v[20:21], off
	s_wait_xcnt 0x0
	s_and_saveexec_b32 s5, s3
	s_cbranch_execz .LBB33_32
; %bb.31:
	v_mov_b32_e32 v44, v3
	global_store_b64 v1, v[44:45], s[18:19] scale_offset
.LBB33_32:
	s_wait_xcnt 0x0
	s_or_b32 exec_lo, exec_lo, s5
	v_cmp_gt_i32_e32 vcc_lo, s22, v164
	s_and_b32 exec_lo, exec_lo, vcc_lo
	s_cbranch_execz .LBB33_92
; %bb.33:
	v_cmp_ne_u32_e32 vcc_lo, 1, v16
	v_mov_b32_e32 v0, 1.0
	s_cbranch_vccnz .LBB33_35
; %bb.34:
	v_div_scale_f32 v0, null, v42, v42, 1.0
	s_delay_alu instid0(VALU_DEP_1) | instskip(SKIP_1) | instid1(TRANS32_DEP_1)
	v_rcp_f32_e32 v1, v0
	v_nop
	v_fma_f32 v2, -v0, v1, 1.0
	s_delay_alu instid0(VALU_DEP_1) | instskip(SKIP_1) | instid1(VALU_DEP_1)
	v_fmac_f32_e32 v1, v2, v1
	v_div_scale_f32 v2, vcc_lo, 1.0, v42, 1.0
	v_mul_f32_e32 v3, v2, v1
	s_delay_alu instid0(VALU_DEP_1) | instskip(NEXT) | instid1(VALU_DEP_1)
	v_fma_f32 v17, -v0, v3, v2
	v_fmac_f32_e32 v3, v17, v1
	s_delay_alu instid0(VALU_DEP_1) | instskip(NEXT) | instid1(VALU_DEP_1)
	v_fma_f32 v0, -v0, v3, v2
	v_div_fmas_f32 v0, v0, v1, v3
	s_delay_alu instid0(VALU_DEP_1)
	v_div_fixup_f32 v0, v0, v42, 1.0
.LBB33_35:
	v_dual_add_nc_u32 v1, s1, v163 :: v_dual_lshrrev_b32 v17, 16, v177
	v_mov_b32_e32 v3, 0
	v_cvt_f32_f16_e64 v18, v177
	s_delay_alu instid0(VALU_DEP_3) | instskip(NEXT) | instid1(VALU_DEP_4)
	v_mad_u32 v1, v1, s23, s2
	v_cvt_f32_f16_e32 v19, v17
	s_delay_alu instid0(VALU_DEP_2) | instskip(NEXT) | instid1(VALU_DEP_1)
	v_mad_u32 v1, s0, v1, s33
	v_lshl_add_u32 v2, v1, 6, v62
	s_delay_alu instid0(VALU_DEP_3) | instskip(NEXT) | instid1(VALU_DEP_2)
	v_pk_mul_f32 v[18:19], v[0:1], v[18:19] op_sel_hi:[0,1]
	v_lshl_add_u64 v[2:3], v[2:3], 2, s[16:17]
	global_store_b64 v[2:3], v[18:19], off
	s_wait_xcnt 0x0
	s_and_saveexec_b32 s5, s3
	s_cbranch_execz .LBB33_37
; %bb.36:
	v_dual_mov_b32 v2, v4 :: v_dual_mov_b32 v3, v42
	global_store_b64 v1, v[2:3], s[18:19] scale_offset
.LBB33_37:
	s_wait_xcnt 0x0
	s_or_b32 exec_lo, exec_lo, s5
	v_cmp_gt_i32_e32 vcc_lo, s22, v162
	s_and_b32 exec_lo, exec_lo, vcc_lo
	s_cbranch_execz .LBB33_92
; %bb.38:
	v_cmp_ne_u32_e32 vcc_lo, 1, v16
	v_mov_b32_e32 v0, 1.0
	s_cbranch_vccnz .LBB33_40
; %bb.39:
	v_div_scale_f32 v0, null, v43, v43, 1.0
	s_delay_alu instid0(VALU_DEP_1) | instskip(SKIP_1) | instid1(TRANS32_DEP_1)
	v_rcp_f32_e32 v1, v0
	v_nop
	v_fma_f32 v2, -v0, v1, 1.0
	s_delay_alu instid0(VALU_DEP_1) | instskip(SKIP_1) | instid1(VALU_DEP_1)
	v_fmac_f32_e32 v1, v2, v1
	v_div_scale_f32 v2, vcc_lo, 1.0, v43, 1.0
	v_mul_f32_e32 v3, v2, v1
	s_delay_alu instid0(VALU_DEP_1) | instskip(NEXT) | instid1(VALU_DEP_1)
	v_fma_f32 v4, -v0, v3, v2
	v_fmac_f32_e32 v3, v4, v1
	s_delay_alu instid0(VALU_DEP_1) | instskip(NEXT) | instid1(VALU_DEP_1)
	v_fma_f32 v0, -v0, v3, v2
	v_div_fmas_f32 v0, v0, v1, v3
	s_delay_alu instid0(VALU_DEP_1)
	v_div_fixup_f32 v0, v0, v43, 1.0
.LBB33_40:
	v_dual_add_nc_u32 v1, s1, v161 :: v_dual_lshrrev_b32 v4, 16, v176
	v_mov_b32_e32 v3, 0
	v_cvt_f32_f16_e64 v18, v176
	s_delay_alu instid0(VALU_DEP_3) | instskip(NEXT) | instid1(VALU_DEP_4)
	v_mad_u32 v1, v1, s23, s4
	v_cvt_f32_f16_e32 v19, v4
	s_delay_alu instid0(VALU_DEP_2) | instskip(NEXT) | instid1(VALU_DEP_1)
	v_mad_u32 v1, s0, v1, s33
	v_lshl_add_u32 v2, v1, 6, v62
	s_delay_alu instid0(VALU_DEP_3) | instskip(NEXT) | instid1(VALU_DEP_2)
	v_pk_mul_f32 v[18:19], v[0:1], v[18:19] op_sel_hi:[0,1]
	v_lshl_add_u64 v[2:3], v[2:3], 2, s[16:17]
	global_store_b64 v[2:3], v[18:19], off
	s_wait_xcnt 0x0
	s_and_saveexec_b32 s5, s3
	s_cbranch_execz .LBB33_42
; %bb.41:
	v_mov_b32_e32 v42, v5
	global_store_b64 v1, v[42:43], s[18:19] scale_offset
.LBB33_42:
	s_wait_xcnt 0x0
	s_or_b32 exec_lo, exec_lo, s5
	v_cmp_gt_i32_e32 vcc_lo, s22, v160
	s_and_b32 exec_lo, exec_lo, vcc_lo
	s_cbranch_execz .LBB33_92
; %bb.43:
	v_cmp_ne_u32_e32 vcc_lo, 1, v16
	v_mov_b32_e32 v0, 1.0
	s_cbranch_vccnz .LBB33_45
; %bb.44:
	v_div_scale_f32 v0, null, v40, v40, 1.0
	s_delay_alu instid0(VALU_DEP_1) | instskip(SKIP_1) | instid1(TRANS32_DEP_1)
	v_rcp_f32_e32 v1, v0
	v_nop
	v_fma_f32 v2, -v0, v1, 1.0
	s_delay_alu instid0(VALU_DEP_1) | instskip(SKIP_1) | instid1(VALU_DEP_1)
	v_fmac_f32_e32 v1, v2, v1
	v_div_scale_f32 v2, vcc_lo, 1.0, v40, 1.0
	v_mul_f32_e32 v3, v2, v1
	s_delay_alu instid0(VALU_DEP_1) | instskip(NEXT) | instid1(VALU_DEP_1)
	v_fma_f32 v4, -v0, v3, v2
	v_fmac_f32_e32 v3, v4, v1
	s_delay_alu instid0(VALU_DEP_1) | instskip(NEXT) | instid1(VALU_DEP_1)
	v_fma_f32 v0, -v0, v3, v2
	v_div_fmas_f32 v0, v0, v1, v3
	s_delay_alu instid0(VALU_DEP_1)
	v_div_fixup_f32 v0, v0, v40, 1.0
.LBB33_45:
	v_dual_add_nc_u32 v1, s1, v158 :: v_dual_lshrrev_b32 v5, 16, v175
	v_mov_b32_e32 v3, 0
	v_cvt_f32_f16_e64 v4, v175
	s_delay_alu instid0(VALU_DEP_3) | instskip(NEXT) | instid1(VALU_DEP_4)
	v_mad_u32 v1, v1, s23, s2
	v_cvt_f32_f16_e32 v5, v5
	s_delay_alu instid0(VALU_DEP_2) | instskip(NEXT) | instid1(VALU_DEP_1)
	v_mad_u32 v1, s0, v1, s33
	v_lshl_add_u32 v2, v1, 6, v62
	s_delay_alu instid0(VALU_DEP_3) | instskip(NEXT) | instid1(VALU_DEP_2)
	v_pk_mul_f32 v[4:5], v[0:1], v[4:5] op_sel_hi:[0,1]
	v_lshl_add_u64 v[2:3], v[2:3], 2, s[16:17]
	global_store_b64 v[2:3], v[4:5], off
	s_wait_xcnt 0x0
	s_and_saveexec_b32 s5, s3
	s_cbranch_execz .LBB33_47
; %bb.46:
	v_dual_mov_b32 v2, v6 :: v_dual_mov_b32 v3, v40
	global_store_b64 v1, v[2:3], s[18:19] scale_offset
.LBB33_47:
	s_wait_xcnt 0x0
	s_or_b32 exec_lo, exec_lo, s5
	v_cmp_gt_i32_e32 vcc_lo, s22, v157
	s_and_b32 exec_lo, exec_lo, vcc_lo
	s_cbranch_execz .LBB33_92
; %bb.48:
	v_cmp_ne_u32_e32 vcc_lo, 1, v16
	v_mov_b32_e32 v0, 1.0
	s_cbranch_vccnz .LBB33_50
; %bb.49:
	v_div_scale_f32 v0, null, v41, v41, 1.0
	s_delay_alu instid0(VALU_DEP_1) | instskip(SKIP_1) | instid1(TRANS32_DEP_1)
	v_rcp_f32_e32 v1, v0
	v_nop
	v_fma_f32 v2, -v0, v1, 1.0
	s_delay_alu instid0(VALU_DEP_1) | instskip(SKIP_1) | instid1(VALU_DEP_1)
	v_fmac_f32_e32 v1, v2, v1
	v_div_scale_f32 v2, vcc_lo, 1.0, v41, 1.0
	v_mul_f32_e32 v3, v2, v1
	s_delay_alu instid0(VALU_DEP_1) | instskip(NEXT) | instid1(VALU_DEP_1)
	v_fma_f32 v4, -v0, v3, v2
	v_fmac_f32_e32 v3, v4, v1
	s_delay_alu instid0(VALU_DEP_1) | instskip(NEXT) | instid1(VALU_DEP_1)
	v_fma_f32 v0, -v0, v3, v2
	v_div_fmas_f32 v0, v0, v1, v3
	s_delay_alu instid0(VALU_DEP_1)
	v_div_fixup_f32 v0, v0, v41, 1.0
.LBB33_50:
	v_dual_add_nc_u32 v1, s1, v153 :: v_dual_lshrrev_b32 v5, 16, v174
	v_mov_b32_e32 v3, 0
	v_cvt_f32_f16_e64 v4, v174
	s_delay_alu instid0(VALU_DEP_3) | instskip(NEXT) | instid1(VALU_DEP_4)
	v_mad_u32 v1, v1, s23, s4
	v_cvt_f32_f16_e32 v5, v5
	s_delay_alu instid0(VALU_DEP_2) | instskip(NEXT) | instid1(VALU_DEP_1)
	v_mad_u32 v1, s0, v1, s33
	v_lshl_add_u32 v2, v1, 6, v62
	s_delay_alu instid0(VALU_DEP_3) | instskip(NEXT) | instid1(VALU_DEP_2)
	v_pk_mul_f32 v[4:5], v[0:1], v[4:5] op_sel_hi:[0,1]
	v_lshl_add_u64 v[2:3], v[2:3], 2, s[16:17]
	global_store_b64 v[2:3], v[4:5], off
	s_wait_xcnt 0x0
	s_and_saveexec_b32 s5, s3
	s_cbranch_execz .LBB33_52
; %bb.51:
	v_mov_b32_e32 v40, v7
	global_store_b64 v1, v[40:41], s[18:19] scale_offset
.LBB33_52:
	s_wait_xcnt 0x0
	s_or_b32 exec_lo, exec_lo, s5
	v_cmp_gt_i32_e32 vcc_lo, s22, v152
	s_and_b32 exec_lo, exec_lo, vcc_lo
	s_cbranch_execz .LBB33_92
; %bb.53:
	v_cmp_ne_u32_e32 vcc_lo, 1, v16
	v_mov_b32_e32 v0, 1.0
	s_cbranch_vccnz .LBB33_55
; %bb.54:
	v_div_scale_f32 v0, null, v38, v38, 1.0
	s_delay_alu instid0(VALU_DEP_1) | instskip(SKIP_1) | instid1(TRANS32_DEP_1)
	v_rcp_f32_e32 v1, v0
	v_nop
	v_fma_f32 v2, -v0, v1, 1.0
	s_delay_alu instid0(VALU_DEP_1) | instskip(SKIP_1) | instid1(VALU_DEP_1)
	v_fmac_f32_e32 v1, v2, v1
	v_div_scale_f32 v2, vcc_lo, 1.0, v38, 1.0
	v_mul_f32_e32 v3, v2, v1
	s_delay_alu instid0(VALU_DEP_1) | instskip(NEXT) | instid1(VALU_DEP_1)
	v_fma_f32 v4, -v0, v3, v2
	v_fmac_f32_e32 v3, v4, v1
	s_delay_alu instid0(VALU_DEP_1) | instskip(NEXT) | instid1(VALU_DEP_1)
	v_fma_f32 v0, -v0, v3, v2
	v_div_fmas_f32 v0, v0, v1, v3
	s_delay_alu instid0(VALU_DEP_1)
	v_div_fixup_f32 v0, v0, v38, 1.0
.LBB33_55:
	v_dual_add_nc_u32 v1, s1, v145 :: v_dual_mov_b32 v3, 0
	v_lshrrev_b32_e32 v5, 16, v173
	v_cvt_f32_f16_e64 v4, v173
	s_delay_alu instid0(VALU_DEP_3) | instskip(NEXT) | instid1(VALU_DEP_3)
	v_mad_u32 v1, v1, s23, s2
	v_cvt_f32_f16_e32 v5, v5
	s_delay_alu instid0(VALU_DEP_2) | instskip(NEXT) | instid1(VALU_DEP_1)
	v_mad_u32 v1, s0, v1, s33
	v_lshl_add_u32 v2, v1, 6, v62
	s_delay_alu instid0(VALU_DEP_3) | instskip(NEXT) | instid1(VALU_DEP_2)
	v_pk_mul_f32 v[4:5], v[0:1], v[4:5] op_sel_hi:[0,1]
	v_lshl_add_u64 v[2:3], v[2:3], 2, s[16:17]
	global_store_b64 v[2:3], v[4:5], off
	s_wait_xcnt 0x0
	s_and_saveexec_b32 s5, s3
	s_cbranch_execz .LBB33_57
; %bb.56:
	v_dual_mov_b32 v2, v8 :: v_dual_mov_b32 v3, v38
	global_store_b64 v1, v[2:3], s[18:19] scale_offset
.LBB33_57:
	s_wait_xcnt 0x0
	s_or_b32 exec_lo, exec_lo, s5
	v_cmp_gt_i32_e32 vcc_lo, s22, v146
	s_and_b32 exec_lo, exec_lo, vcc_lo
	s_cbranch_execz .LBB33_92
; %bb.58:
	v_cmp_ne_u32_e32 vcc_lo, 1, v16
	v_mov_b32_e32 v0, 1.0
	s_cbranch_vccnz .LBB33_60
; %bb.59:
	v_div_scale_f32 v0, null, v39, v39, 1.0
	s_delay_alu instid0(VALU_DEP_1) | instskip(SKIP_1) | instid1(TRANS32_DEP_1)
	v_rcp_f32_e32 v1, v0
	v_nop
	v_fma_f32 v2, -v0, v1, 1.0
	s_delay_alu instid0(VALU_DEP_1) | instskip(SKIP_1) | instid1(VALU_DEP_1)
	v_fmac_f32_e32 v1, v2, v1
	v_div_scale_f32 v2, vcc_lo, 1.0, v39, 1.0
	v_mul_f32_e32 v3, v2, v1
	s_delay_alu instid0(VALU_DEP_1) | instskip(NEXT) | instid1(VALU_DEP_1)
	v_fma_f32 v4, -v0, v3, v2
	v_fmac_f32_e32 v3, v4, v1
	s_delay_alu instid0(VALU_DEP_1) | instskip(NEXT) | instid1(VALU_DEP_1)
	v_fma_f32 v0, -v0, v3, v2
	v_div_fmas_f32 v0, v0, v1, v3
	s_delay_alu instid0(VALU_DEP_1)
	v_div_fixup_f32 v0, v0, v39, 1.0
.LBB33_60:
	v_dual_add_nc_u32 v1, s1, v136 :: v_dual_mov_b32 v3, 0
	v_lshrrev_b32_e32 v5, 16, v172
	v_cvt_f32_f16_e64 v4, v172
	s_delay_alu instid0(VALU_DEP_3) | instskip(NEXT) | instid1(VALU_DEP_3)
	v_mad_u32 v1, v1, s23, s4
	v_cvt_f32_f16_e32 v5, v5
	s_delay_alu instid0(VALU_DEP_2) | instskip(NEXT) | instid1(VALU_DEP_1)
	v_mad_u32 v1, s0, v1, s33
	v_lshl_add_u32 v2, v1, 6, v62
	s_delay_alu instid0(VALU_DEP_3) | instskip(NEXT) | instid1(VALU_DEP_2)
	v_pk_mul_f32 v[4:5], v[0:1], v[4:5] op_sel_hi:[0,1]
	v_lshl_add_u64 v[2:3], v[2:3], 2, s[16:17]
	global_store_b64 v[2:3], v[4:5], off
	s_wait_xcnt 0x0
	s_and_saveexec_b32 s5, s3
	s_cbranch_execz .LBB33_62
; %bb.61:
	v_mov_b32_e32 v38, v9
	global_store_b64 v1, v[38:39], s[18:19] scale_offset
.LBB33_62:
	s_wait_xcnt 0x0
	s_or_b32 exec_lo, exec_lo, s5
	v_cmp_gt_i32_e32 vcc_lo, s22, v149
	s_and_b32 exec_lo, exec_lo, vcc_lo
	s_cbranch_execz .LBB33_92
; %bb.63:
	v_cmp_ne_u32_e32 vcc_lo, 1, v16
	v_mov_b32_e32 v0, 1.0
	s_cbranch_vccnz .LBB33_65
; %bb.64:
	v_div_scale_f32 v0, null, v36, v36, 1.0
	s_delay_alu instid0(VALU_DEP_1) | instskip(SKIP_1) | instid1(TRANS32_DEP_1)
	v_rcp_f32_e32 v1, v0
	v_nop
	v_fma_f32 v2, -v0, v1, 1.0
	s_delay_alu instid0(VALU_DEP_1) | instskip(SKIP_1) | instid1(VALU_DEP_1)
	v_fmac_f32_e32 v1, v2, v1
	v_div_scale_f32 v2, vcc_lo, 1.0, v36, 1.0
	v_mul_f32_e32 v3, v2, v1
	s_delay_alu instid0(VALU_DEP_1) | instskip(NEXT) | instid1(VALU_DEP_1)
	v_fma_f32 v4, -v0, v3, v2
	v_fmac_f32_e32 v3, v4, v1
	s_delay_alu instid0(VALU_DEP_1) | instskip(NEXT) | instid1(VALU_DEP_1)
	v_fma_f32 v0, -v0, v3, v2
	v_div_fmas_f32 v0, v0, v1, v3
	s_delay_alu instid0(VALU_DEP_1)
	v_div_fixup_f32 v0, v0, v36, 1.0
.LBB33_65:
	v_dual_add_nc_u32 v1, s1, v135 :: v_dual_mov_b32 v3, 0
	v_lshrrev_b32_e32 v5, 16, v171
	v_cvt_f32_f16_e64 v4, v171
	s_delay_alu instid0(VALU_DEP_3) | instskip(NEXT) | instid1(VALU_DEP_3)
	v_mad_u32 v1, v1, s23, s2
	v_cvt_f32_f16_e32 v5, v5
	s_delay_alu instid0(VALU_DEP_2) | instskip(NEXT) | instid1(VALU_DEP_1)
	v_mad_u32 v1, s0, v1, s33
	v_lshl_add_u32 v2, v1, 6, v62
	s_delay_alu instid0(VALU_DEP_3) | instskip(NEXT) | instid1(VALU_DEP_2)
	v_pk_mul_f32 v[4:5], v[0:1], v[4:5] op_sel_hi:[0,1]
	v_lshl_add_u64 v[2:3], v[2:3], 2, s[16:17]
	global_store_b64 v[2:3], v[4:5], off
	s_wait_xcnt 0x0
	s_and_saveexec_b32 s5, s3
	s_cbranch_execz .LBB33_67
; %bb.66:
	v_dual_mov_b32 v2, v10 :: v_dual_mov_b32 v3, v36
	global_store_b64 v1, v[2:3], s[18:19] scale_offset
.LBB33_67:
	s_wait_xcnt 0x0
	s_or_b32 exec_lo, exec_lo, s5
	v_cmp_gt_i32_e32 vcc_lo, s22, v154
	s_and_b32 exec_lo, exec_lo, vcc_lo
	s_cbranch_execz .LBB33_92
; %bb.68:
	v_cmp_ne_u32_e32 vcc_lo, 1, v16
	v_mov_b32_e32 v0, 1.0
	s_cbranch_vccnz .LBB33_70
; %bb.69:
	v_div_scale_f32 v0, null, v37, v37, 1.0
	s_delay_alu instid0(VALU_DEP_1) | instskip(SKIP_1) | instid1(TRANS32_DEP_1)
	v_rcp_f32_e32 v1, v0
	v_nop
	v_fma_f32 v2, -v0, v1, 1.0
	s_delay_alu instid0(VALU_DEP_1) | instskip(SKIP_1) | instid1(VALU_DEP_1)
	v_fmac_f32_e32 v1, v2, v1
	v_div_scale_f32 v2, vcc_lo, 1.0, v37, 1.0
	v_mul_f32_e32 v3, v2, v1
	s_delay_alu instid0(VALU_DEP_1) | instskip(NEXT) | instid1(VALU_DEP_1)
	v_fma_f32 v4, -v0, v3, v2
	v_fmac_f32_e32 v3, v4, v1
	s_delay_alu instid0(VALU_DEP_1) | instskip(NEXT) | instid1(VALU_DEP_1)
	v_fma_f32 v0, -v0, v3, v2
	v_div_fmas_f32 v0, v0, v1, v3
	s_delay_alu instid0(VALU_DEP_1)
	v_div_fixup_f32 v0, v0, v37, 1.0
.LBB33_70:
	v_dual_add_nc_u32 v1, s1, v150 :: v_dual_mov_b32 v3, 0
	v_lshrrev_b32_e32 v5, 16, v170
	v_cvt_f32_f16_e64 v4, v170
	s_delay_alu instid0(VALU_DEP_3) | instskip(NEXT) | instid1(VALU_DEP_3)
	v_mad_u32 v1, v1, s23, s4
	v_cvt_f32_f16_e32 v5, v5
	s_delay_alu instid0(VALU_DEP_2) | instskip(NEXT) | instid1(VALU_DEP_1)
	v_mad_u32 v1, s0, v1, s33
	v_lshl_add_u32 v2, v1, 6, v62
	s_delay_alu instid0(VALU_DEP_3) | instskip(NEXT) | instid1(VALU_DEP_2)
	v_pk_mul_f32 v[4:5], v[0:1], v[4:5] op_sel_hi:[0,1]
	v_lshl_add_u64 v[2:3], v[2:3], 2, s[16:17]
	global_store_b64 v[2:3], v[4:5], off
	s_wait_xcnt 0x0
	s_and_saveexec_b32 s5, s3
	s_cbranch_execz .LBB33_72
; %bb.71:
	v_mov_b32_e32 v36, v11
	global_store_b64 v1, v[36:37], s[18:19] scale_offset
.LBB33_72:
	s_wait_xcnt 0x0
	s_or_b32 exec_lo, exec_lo, s5
	v_cmp_gt_i32_e32 vcc_lo, s22, v147
	s_and_b32 exec_lo, exec_lo, vcc_lo
	s_cbranch_execz .LBB33_92
; %bb.73:
	v_cmp_ne_u32_e32 vcc_lo, 1, v16
	v_mov_b32_e32 v0, 1.0
	s_cbranch_vccnz .LBB33_75
; %bb.74:
	v_div_scale_f32 v0, null, v34, v34, 1.0
	s_delay_alu instid0(VALU_DEP_1) | instskip(SKIP_1) | instid1(TRANS32_DEP_1)
	v_rcp_f32_e32 v1, v0
	v_nop
	v_fma_f32 v2, -v0, v1, 1.0
	s_delay_alu instid0(VALU_DEP_1) | instskip(SKIP_1) | instid1(VALU_DEP_1)
	v_fmac_f32_e32 v1, v2, v1
	v_div_scale_f32 v2, vcc_lo, 1.0, v34, 1.0
	v_mul_f32_e32 v3, v2, v1
	s_delay_alu instid0(VALU_DEP_1) | instskip(NEXT) | instid1(VALU_DEP_1)
	v_fma_f32 v4, -v0, v3, v2
	v_fmac_f32_e32 v3, v4, v1
	s_delay_alu instid0(VALU_DEP_1) | instskip(NEXT) | instid1(VALU_DEP_1)
	v_fma_f32 v0, -v0, v3, v2
	v_div_fmas_f32 v0, v0, v1, v3
	s_delay_alu instid0(VALU_DEP_1)
	v_div_fixup_f32 v0, v0, v34, 1.0
.LBB33_75:
	v_dual_add_nc_u32 v1, s1, v137 :: v_dual_mov_b32 v3, 0
	v_lshrrev_b32_e32 v5, 16, v169
	v_cvt_f32_f16_e64 v4, v169
	s_delay_alu instid0(VALU_DEP_3) | instskip(NEXT) | instid1(VALU_DEP_3)
	v_mad_u32 v1, v1, s23, s2
	v_cvt_f32_f16_e32 v5, v5
	s_delay_alu instid0(VALU_DEP_2) | instskip(NEXT) | instid1(VALU_DEP_1)
	v_mad_u32 v1, s0, v1, s33
	v_lshl_add_u32 v2, v1, 6, v62
	s_delay_alu instid0(VALU_DEP_3) | instskip(NEXT) | instid1(VALU_DEP_2)
	v_pk_mul_f32 v[4:5], v[0:1], v[4:5] op_sel_hi:[0,1]
	v_lshl_add_u64 v[2:3], v[2:3], 2, s[16:17]
	global_store_b64 v[2:3], v[4:5], off
	s_wait_xcnt 0x0
	s_and_saveexec_b32 s5, s3
	s_cbranch_execz .LBB33_77
; %bb.76:
	v_dual_mov_b32 v2, v12 :: v_dual_mov_b32 v3, v34
	global_store_b64 v1, v[2:3], s[18:19] scale_offset
.LBB33_77:
	s_wait_xcnt 0x0
	s_or_b32 exec_lo, exec_lo, s5
	v_cmp_gt_i32_e32 vcc_lo, s22, v155
	s_and_b32 exec_lo, exec_lo, vcc_lo
	s_cbranch_execz .LBB33_92
; %bb.78:
	v_cmp_ne_u32_e32 vcc_lo, 1, v16
	v_mov_b32_e32 v0, 1.0
	s_cbranch_vccnz .LBB33_80
; %bb.79:
	v_div_scale_f32 v0, null, v35, v35, 1.0
	s_delay_alu instid0(VALU_DEP_1) | instskip(SKIP_1) | instid1(TRANS32_DEP_1)
	v_rcp_f32_e32 v1, v0
	v_nop
	v_fma_f32 v2, -v0, v1, 1.0
	s_delay_alu instid0(VALU_DEP_1) | instskip(SKIP_1) | instid1(VALU_DEP_1)
	v_fmac_f32_e32 v1, v2, v1
	v_div_scale_f32 v2, vcc_lo, 1.0, v35, 1.0
	v_mul_f32_e32 v3, v2, v1
	s_delay_alu instid0(VALU_DEP_1) | instskip(NEXT) | instid1(VALU_DEP_1)
	v_fma_f32 v4, -v0, v3, v2
	v_fmac_f32_e32 v3, v4, v1
	s_delay_alu instid0(VALU_DEP_1) | instskip(NEXT) | instid1(VALU_DEP_1)
	v_fma_f32 v0, -v0, v3, v2
	v_div_fmas_f32 v0, v0, v1, v3
	s_delay_alu instid0(VALU_DEP_1)
	v_div_fixup_f32 v0, v0, v35, 1.0
.LBB33_80:
	v_dual_add_nc_u32 v1, s1, v151 :: v_dual_lshrrev_b32 v5, 16, v168
	v_mov_b32_e32 v3, 0
	v_cvt_f32_f16_e64 v4, v168
	s_delay_alu instid0(VALU_DEP_3) | instskip(NEXT) | instid1(VALU_DEP_4)
	v_mad_u32 v1, v1, s23, s4
	v_cvt_f32_f16_e32 v5, v5
	s_delay_alu instid0(VALU_DEP_2) | instskip(NEXT) | instid1(VALU_DEP_1)
	v_mad_u32 v1, s0, v1, s33
	v_lshl_add_u32 v2, v1, 6, v62
	s_delay_alu instid0(VALU_DEP_3) | instskip(NEXT) | instid1(VALU_DEP_2)
	v_pk_mul_f32 v[4:5], v[0:1], v[4:5] op_sel_hi:[0,1]
	v_lshl_add_u64 v[2:3], v[2:3], 2, s[16:17]
	global_store_b64 v[2:3], v[4:5], off
	s_wait_xcnt 0x0
	s_and_saveexec_b32 s5, s3
	s_cbranch_execz .LBB33_82
; %bb.81:
	v_mov_b32_e32 v34, v13
	global_store_b64 v1, v[34:35], s[18:19] scale_offset
.LBB33_82:
	s_wait_xcnt 0x0
	s_or_b32 exec_lo, exec_lo, s5
	v_cmp_gt_i32_e32 vcc_lo, s22, v148
	s_and_b32 exec_lo, exec_lo, vcc_lo
	s_cbranch_execz .LBB33_92
; %bb.83:
	v_cmp_ne_u32_e32 vcc_lo, 1, v16
	v_mov_b32_e32 v0, 1.0
	s_cbranch_vccnz .LBB33_85
; %bb.84:
	v_div_scale_f32 v0, null, v32, v32, 1.0
	s_delay_alu instid0(VALU_DEP_1) | instskip(SKIP_1) | instid1(TRANS32_DEP_1)
	v_rcp_f32_e32 v1, v0
	v_nop
	v_fma_f32 v2, -v0, v1, 1.0
	s_delay_alu instid0(VALU_DEP_1) | instskip(SKIP_1) | instid1(VALU_DEP_1)
	v_fmac_f32_e32 v1, v2, v1
	v_div_scale_f32 v2, vcc_lo, 1.0, v32, 1.0
	v_mul_f32_e32 v3, v2, v1
	s_delay_alu instid0(VALU_DEP_1) | instskip(NEXT) | instid1(VALU_DEP_1)
	v_fma_f32 v4, -v0, v3, v2
	v_fmac_f32_e32 v3, v4, v1
	s_delay_alu instid0(VALU_DEP_1) | instskip(NEXT) | instid1(VALU_DEP_1)
	v_fma_f32 v0, -v0, v3, v2
	v_div_fmas_f32 v0, v0, v1, v3
	s_delay_alu instid0(VALU_DEP_1)
	v_div_fixup_f32 v0, v0, v32, 1.0
.LBB33_85:
	v_dual_add_nc_u32 v1, s1, v144 :: v_dual_lshrrev_b32 v5, 16, v167
	v_mov_b32_e32 v3, 0
	v_cvt_f32_f16_e64 v4, v167
	s_delay_alu instid0(VALU_DEP_3) | instskip(NEXT) | instid1(VALU_DEP_4)
	v_mad_u32 v1, v1, s23, s2
	v_cvt_f32_f16_e32 v5, v5
	s_delay_alu instid0(VALU_DEP_2) | instskip(NEXT) | instid1(VALU_DEP_1)
	v_mad_u32 v1, s0, v1, s33
	v_lshl_add_u32 v2, v1, 6, v62
	s_delay_alu instid0(VALU_DEP_3) | instskip(NEXT) | instid1(VALU_DEP_2)
	v_pk_mul_f32 v[4:5], v[0:1], v[4:5] op_sel_hi:[0,1]
	v_lshl_add_u64 v[2:3], v[2:3], 2, s[16:17]
	global_store_b64 v[2:3], v[4:5], off
	s_wait_xcnt 0x0
	s_and_saveexec_b32 s2, s3
	s_cbranch_execz .LBB33_87
; %bb.86:
	v_dual_mov_b32 v2, v14 :: v_dual_mov_b32 v3, v32
	global_store_b64 v1, v[2:3], s[18:19] scale_offset
.LBB33_87:
	s_wait_xcnt 0x0
	s_or_b32 exec_lo, exec_lo, s2
	scratch_load_b32 v0, off, off offset:28 th:TH_LOAD_LU ; 4-byte Folded Reload
	s_wait_loadcnt 0x0
	v_cmp_gt_i32_e32 vcc_lo, s22, v0
	s_wait_xcnt 0x0
	s_and_b32 exec_lo, exec_lo, vcc_lo
	s_cbranch_execz .LBB33_92
; %bb.88:
	v_cmp_ne_u32_e32 vcc_lo, 1, v16
	v_mov_b32_e32 v0, 1.0
	s_cbranch_vccnz .LBB33_90
; %bb.89:
	v_div_scale_f32 v0, null, v33, v33, 1.0
	s_delay_alu instid0(VALU_DEP_1) | instskip(SKIP_1) | instid1(TRANS32_DEP_1)
	v_rcp_f32_e32 v1, v0
	v_nop
	v_fma_f32 v2, -v0, v1, 1.0
	s_delay_alu instid0(VALU_DEP_1) | instskip(SKIP_1) | instid1(VALU_DEP_1)
	v_fmac_f32_e32 v1, v2, v1
	v_div_scale_f32 v2, vcc_lo, 1.0, v33, 1.0
	v_mul_f32_e32 v3, v2, v1
	s_delay_alu instid0(VALU_DEP_1) | instskip(NEXT) | instid1(VALU_DEP_1)
	v_fma_f32 v4, -v0, v3, v2
	v_fmac_f32_e32 v3, v4, v1
	s_delay_alu instid0(VALU_DEP_1) | instskip(NEXT) | instid1(VALU_DEP_1)
	v_fma_f32 v0, -v0, v3, v2
	v_div_fmas_f32 v0, v0, v1, v3
	s_delay_alu instid0(VALU_DEP_1)
	v_div_fixup_f32 v0, v0, v33, 1.0
.LBB33_90:
	scratch_load_b32 v1, off, off offset:32 th:TH_LOAD_LU ; 4-byte Folded Reload
	v_mov_b32_e32 v3, 0
	v_cvt_f32_f16_e64 v4, v166
	v_lshrrev_b32_e32 v5, 16, v166
	s_delay_alu instid0(VALU_DEP_1) | instskip(SKIP_2) | instid1(VALU_DEP_1)
	v_cvt_f32_f16_e32 v5, v5
	s_wait_loadcnt 0x0
	v_add_nc_u32_e32 v1, s1, v1
	v_mad_u32 v1, v1, s23, s4
	s_delay_alu instid0(VALU_DEP_1) | instskip(NEXT) | instid1(VALU_DEP_1)
	v_mad_u32 v1, s0, v1, s33
	v_lshl_add_u32 v2, v1, 6, v62
	v_pk_mul_f32 v[4:5], v[0:1], v[4:5] op_sel_hi:[0,1]
	s_delay_alu instid0(VALU_DEP_2)
	v_lshl_add_u64 v[2:3], v[2:3], 2, s[16:17]
	global_store_b64 v[2:3], v[4:5], off
	s_wait_xcnt 0x0
	s_and_b32 exec_lo, exec_lo, s3
	s_cbranch_execz .LBB33_92
; %bb.91:
	v_mov_b32_e32 v32, v15
	global_store_b64 v1, v[32:33], s[18:19] scale_offset
.LBB33_92:
	s_sendmsg sendmsg(MSG_DEALLOC_VGPRS)
	s_endpgm
	.section	.rodata,"a",@progbits
	.p2align	6, 0x0
	.amdhsa_kernel _ZL15flash_attn_tileILi64ELi64ELi32ELi2ELb0EEvPKcS1_S1_S1_S1_PKiPfP15HIP_vector_typeIfLj2EEffffjfiS5_IjLj3EEiiiiiiiiiiiliiliiiiil
		.amdhsa_group_segment_fixed_size 25600
		.amdhsa_private_segment_fixed_size 152
		.amdhsa_kernarg_size 464
		.amdhsa_user_sgpr_count 2
		.amdhsa_user_sgpr_dispatch_ptr 0
		.amdhsa_user_sgpr_queue_ptr 0
		.amdhsa_user_sgpr_kernarg_segment_ptr 1
		.amdhsa_user_sgpr_dispatch_id 0
		.amdhsa_user_sgpr_kernarg_preload_length 0
		.amdhsa_user_sgpr_kernarg_preload_offset 0
		.amdhsa_user_sgpr_private_segment_size 0
		.amdhsa_wavefront_size32 1
		.amdhsa_uses_dynamic_stack 0
		.amdhsa_enable_private_segment 1
		.amdhsa_system_sgpr_workgroup_id_x 1
		.amdhsa_system_sgpr_workgroup_id_y 1
		.amdhsa_system_sgpr_workgroup_id_z 1
		.amdhsa_system_sgpr_workgroup_info 0
		.amdhsa_system_vgpr_workitem_id 1
		.amdhsa_next_free_vgpr 192
		.amdhsa_next_free_sgpr 47
		.amdhsa_named_barrier_count 0
		.amdhsa_reserve_vcc 1
		.amdhsa_float_round_mode_32 0
		.amdhsa_float_round_mode_16_64 0
		.amdhsa_float_denorm_mode_32 3
		.amdhsa_float_denorm_mode_16_64 3
		.amdhsa_fp16_overflow 0
		.amdhsa_memory_ordered 1
		.amdhsa_forward_progress 1
		.amdhsa_inst_pref_size 255
		.amdhsa_round_robin_scheduling 0
		.amdhsa_exception_fp_ieee_invalid_op 0
		.amdhsa_exception_fp_denorm_src 0
		.amdhsa_exception_fp_ieee_div_zero 0
		.amdhsa_exception_fp_ieee_overflow 0
		.amdhsa_exception_fp_ieee_underflow 0
		.amdhsa_exception_fp_ieee_inexact 0
		.amdhsa_exception_int_div_zero 0
	.end_amdhsa_kernel
	.section	.text._ZL15flash_attn_tileILi64ELi64ELi32ELi2ELb0EEvPKcS1_S1_S1_S1_PKiPfP15HIP_vector_typeIfLj2EEffffjfiS5_IjLj3EEiiiiiiiiiiiliiliiiiil,"axG",@progbits,_ZL15flash_attn_tileILi64ELi64ELi32ELi2ELb0EEvPKcS1_S1_S1_S1_PKiPfP15HIP_vector_typeIfLj2EEffffjfiS5_IjLj3EEiiiiiiiiiiiliiliiiiil,comdat
.Lfunc_end33:
	.size	_ZL15flash_attn_tileILi64ELi64ELi32ELi2ELb0EEvPKcS1_S1_S1_S1_PKiPfP15HIP_vector_typeIfLj2EEffffjfiS5_IjLj3EEiiiiiiiiiiiliiliiiiil, .Lfunc_end33-_ZL15flash_attn_tileILi64ELi64ELi32ELi2ELb0EEvPKcS1_S1_S1_S1_PKiPfP15HIP_vector_typeIfLj2EEffffjfiS5_IjLj3EEiiiiiiiiiiiliiliiiiil
                                        ; -- End function
	.set _ZL15flash_attn_tileILi64ELi64ELi32ELi2ELb0EEvPKcS1_S1_S1_S1_PKiPfP15HIP_vector_typeIfLj2EEffffjfiS5_IjLj3EEiiiiiiiiiiiliiliiiiil.num_vgpr, 192
	.set _ZL15flash_attn_tileILi64ELi64ELi32ELi2ELb0EEvPKcS1_S1_S1_S1_PKiPfP15HIP_vector_typeIfLj2EEffffjfiS5_IjLj3EEiiiiiiiiiiiliiliiiiil.num_agpr, 0
	.set _ZL15flash_attn_tileILi64ELi64ELi32ELi2ELb0EEvPKcS1_S1_S1_S1_PKiPfP15HIP_vector_typeIfLj2EEffffjfiS5_IjLj3EEiiiiiiiiiiiliiliiiiil.numbered_sgpr, 47
	.set _ZL15flash_attn_tileILi64ELi64ELi32ELi2ELb0EEvPKcS1_S1_S1_S1_PKiPfP15HIP_vector_typeIfLj2EEffffjfiS5_IjLj3EEiiiiiiiiiiiliiliiiiil.num_named_barrier, 0
	.set _ZL15flash_attn_tileILi64ELi64ELi32ELi2ELb0EEvPKcS1_S1_S1_S1_PKiPfP15HIP_vector_typeIfLj2EEffffjfiS5_IjLj3EEiiiiiiiiiiiliiliiiiil.private_seg_size, 152
	.set _ZL15flash_attn_tileILi64ELi64ELi32ELi2ELb0EEvPKcS1_S1_S1_S1_PKiPfP15HIP_vector_typeIfLj2EEffffjfiS5_IjLj3EEiiiiiiiiiiiliiliiiiil.uses_vcc, 1
	.set _ZL15flash_attn_tileILi64ELi64ELi32ELi2ELb0EEvPKcS1_S1_S1_S1_PKiPfP15HIP_vector_typeIfLj2EEffffjfiS5_IjLj3EEiiiiiiiiiiiliiliiiiil.uses_flat_scratch, 1
	.set _ZL15flash_attn_tileILi64ELi64ELi32ELi2ELb0EEvPKcS1_S1_S1_S1_PKiPfP15HIP_vector_typeIfLj2EEffffjfiS5_IjLj3EEiiiiiiiiiiiliiliiiiil.has_dyn_sized_stack, 0
	.set _ZL15flash_attn_tileILi64ELi64ELi32ELi2ELb0EEvPKcS1_S1_S1_S1_PKiPfP15HIP_vector_typeIfLj2EEffffjfiS5_IjLj3EEiiiiiiiiiiiliiliiiiil.has_recursion, 0
	.set _ZL15flash_attn_tileILi64ELi64ELi32ELi2ELb0EEvPKcS1_S1_S1_S1_PKiPfP15HIP_vector_typeIfLj2EEffffjfiS5_IjLj3EEiiiiiiiiiiiliiliiiiil.has_indirect_call, 0
	.section	.AMDGPU.csdata,"",@progbits
; Kernel info:
; codeLenInByte = 51380
; TotalNumSgprs: 49
; NumVgprs: 192
; ScratchSize: 152
; MemoryBound: 0
; FloatMode: 240
; IeeeMode: 1
; LDSByteSize: 25600 bytes/workgroup (compile time only)
; SGPRBlocks: 0
; VGPRBlocks: 11
; NumSGPRsForWavesPerEU: 49
; NumVGPRsForWavesPerEU: 192
; NamedBarCnt: 0
; Occupancy: 5
; WaveLimiterHint : 0
; COMPUTE_PGM_RSRC2:SCRATCH_EN: 1
; COMPUTE_PGM_RSRC2:USER_SGPR: 2
; COMPUTE_PGM_RSRC2:TRAP_HANDLER: 0
; COMPUTE_PGM_RSRC2:TGID_X_EN: 1
; COMPUTE_PGM_RSRC2:TGID_Y_EN: 1
; COMPUTE_PGM_RSRC2:TGID_Z_EN: 1
; COMPUTE_PGM_RSRC2:TIDIG_COMP_CNT: 1
	.section	.text._ZL25flash_attn_mask_to_KV_maxILi32EEvPK7__half2Piiii,"axG",@progbits,_ZL25flash_attn_mask_to_KV_maxILi32EEvPK7__half2Piiii,comdat
	.globl	_ZL25flash_attn_mask_to_KV_maxILi32EEvPK7__half2Piiii ; -- Begin function _ZL25flash_attn_mask_to_KV_maxILi32EEvPK7__half2Piiii
	.p2align	8
	.type	_ZL25flash_attn_mask_to_KV_maxILi32EEvPK7__half2Piiii,@function
_ZL25flash_attn_mask_to_KV_maxILi32EEvPK7__half2Piiii: ; @_ZL25flash_attn_mask_to_KV_maxILi32EEvPK7__half2Piiii
; %bb.0:
	s_load_b128 s[4:7], s[0:1], 0x0
	s_mov_b32 s2, exec_lo
	v_cmpx_gt_u32_e32 32, v0
; %bb.1:
	v_dual_mov_b32 v2, 1 :: v_dual_lshlrev_b32 v1, 2, v0
	ds_store_b32 v1, v2
; %bb.2:
	s_or_b32 exec_lo, exec_lo, s2
	s_clause 0x1
	s_load_b96 s[8:10], s[0:1], 0x10
	s_load_b32 s11, s[0:1], 0x20
	s_wait_xcnt 0x0
	s_bfe_u32 s1, ttmp6, 0x4000c
	s_bfe_u32 s2, ttmp6, 0x40010
	s_add_co_i32 s1, s1, 1
	s_add_co_i32 s2, s2, 1
	s_and_b32 s0, ttmp6, 15
	s_bfe_u32 s3, ttmp6, 0x40004
	s_mul_i32 s1, ttmp9, s1
	s_mul_i32 s2, ttmp7, s2
	s_getreg_b32 s12, hwreg(HW_REG_IB_STS2, 6, 4)
	s_add_co_i32 s0, s0, s1
	s_add_co_i32 s3, s3, s2
	s_cmp_eq_u32 s12, 0
	v_dual_lshrrev_b32 v1, 3, v0 :: v_dual_bitop2_b32 v2, 31, v0 bitop3:0x40
	s_cselect_b32 s1, ttmp9, s0
	s_cselect_b32 s12, ttmp7, s3
	s_wait_dscnt 0x0
	s_barrier_signal -1
	s_wait_kmcnt 0x0
	s_mul_i32 s0, s1, s9
	s_mul_i32 s2, s10, s12
	s_lshl_b32 s0, s0, 5
	s_barrier_wait -1
	s_add_co_i32 s2, s2, s0
	v_cmp_eq_u32_e64 s0, 0, v2
	s_ashr_i32 s3, s2, 31
	v_lshlrev_b32_e32 v2, 2, v2
	s_lshl_b64 s[2:3], s[2:3], 2
	s_delay_alu instid0(SALU_CYCLE_1)
	s_add_nc_u64 s[2:3], s[4:5], s[2:3]
	s_lshl_b32 s5, s8, 8
	s_branch .LBB34_4
.LBB34_3:                               ;   in Loop: Header=BB34_4 Depth=1
	s_or_b32 exec_lo, exec_lo, s8
	s_wait_dscnt 0x0
	s_barrier_signal -1
	s_barrier_wait -1
	ds_load_b32 v3, v2
	s_wait_dscnt 0x0
	s_barrier_signal -1
	s_barrier_wait -1
	v_cmp_ne_u32_e32 vcc_lo, 0, v3
	s_cmp_lg_u32 vcc_lo, exec_lo
	s_cselect_b32 s8, -1, 0
	s_delay_alu instid0(SALU_CYCLE_1)
	s_and_b32 vcc_lo, exec_lo, s8
	s_cbranch_vccnz .LBB34_132
.LBB34_4:                               ; =>This Inner Loop Header: Depth=1
	s_mov_b32 s4, s5
	s_addk_co_i32 s5, 0xff00
	s_delay_alu instid0(SALU_CYCLE_1)
	s_cmp_lt_i32 s5, 0
	s_cbranch_scc1 .LBB34_131
; %bb.5:                                ;   in Loop: Header=BB34_4 Depth=1
	s_lshr_b32 s8, s5, 1
	s_delay_alu instid0(SALU_CYCLE_1) | instskip(SKIP_4) | instid1(VALU_DEP_2)
	v_add_nc_u32_e32 v3, s8, v0
	global_load_b32 v4, v3, s[2:3] scale_offset
	s_wait_loadcnt 0x0
	v_lshrrev_b32_e32 v5, 16, v4
	v_cmp_class_f16_e64 s8, v4, 0x204
	v_cmp_class_f16_e64 s10, v5, 0x204
	s_and_b32 s13, s8, s10
	s_mov_b32 s10, 0
	s_and_saveexec_b32 s8, s13
	s_cbranch_execz .LBB34_129
; %bb.6:                                ;   in Loop: Header=BB34_4 Depth=1
	v_add_nc_u32_e32 v3, s9, v3
	s_mov_b32 s13, 0
	global_load_b32 v4, v3, s[2:3] scale_offset
	s_wait_loadcnt 0x0
	v_cmp_class_f16_e64 s14, v4, 0x204
	s_and_saveexec_b32 s10, s14
	s_cbranch_execz .LBB34_128
; %bb.7:                                ;   in Loop: Header=BB34_4 Depth=1
	v_lshrrev_b32_e32 v4, 16, v4
	s_mov_b32 s14, 0
	s_delay_alu instid0(VALU_DEP_1)
	v_cmp_class_f16_e64 s15, v4, 0x204
	s_and_saveexec_b32 s13, s15
	s_cbranch_execz .LBB34_127
; %bb.8:                                ;   in Loop: Header=BB34_4 Depth=1
	v_add_nc_u32_e32 v3, s9, v3
	s_mov_b32 s15, 0
	global_load_b32 v4, v3, s[2:3] scale_offset
	s_wait_loadcnt 0x0
	v_cmp_class_f16_e64 s16, v4, 0x204
	s_and_saveexec_b32 s14, s16
	s_cbranch_execz .LBB34_126
; %bb.9:                                ;   in Loop: Header=BB34_4 Depth=1
	v_lshrrev_b32_e32 v4, 16, v4
	s_mov_b32 s16, 0
	s_delay_alu instid0(VALU_DEP_1)
	v_cmp_class_f16_e64 s17, v4, 0x204
	s_and_saveexec_b32 s15, s17
	s_cbranch_execz .LBB34_125
; %bb.10:                               ;   in Loop: Header=BB34_4 Depth=1
	v_add_nc_u32_e32 v3, s9, v3
	s_mov_b32 s17, 0
	global_load_b32 v4, v3, s[2:3] scale_offset
	s_wait_loadcnt 0x0
	v_cmp_class_f16_e64 s18, v4, 0x204
	s_and_saveexec_b32 s16, s18
	s_cbranch_execz .LBB34_124
; %bb.11:                               ;   in Loop: Header=BB34_4 Depth=1
	v_lshrrev_b32_e32 v4, 16, v4
	s_mov_b32 s18, 0
	s_delay_alu instid0(VALU_DEP_1)
	v_cmp_class_f16_e64 s19, v4, 0x204
	s_and_saveexec_b32 s17, s19
	s_cbranch_execz .LBB34_123
; %bb.12:                               ;   in Loop: Header=BB34_4 Depth=1
	v_add_nc_u32_e32 v3, s9, v3
	s_mov_b32 s19, 0
	global_load_b32 v4, v3, s[2:3] scale_offset
	s_wait_loadcnt 0x0
	v_cmp_class_f16_e64 s20, v4, 0x204
	s_and_saveexec_b32 s18, s20
	s_cbranch_execz .LBB34_122
; %bb.13:                               ;   in Loop: Header=BB34_4 Depth=1
	;; [unrolled: 15-line block ×28, first 2 shown]
	v_lshrrev_b32_e32 v4, 16, v4
	s_mov_b32 s73, 0
	s_delay_alu instid0(VALU_DEP_1)
	v_cmp_class_f16_e64 s74, v4, 0x204
	s_and_saveexec_b32 s72, s74
	s_cbranch_execz .LBB34_69
; %bb.66:                               ;   in Loop: Header=BB34_4 Depth=1
	v_add_nc_u32_e32 v3, s9, v3
	global_load_b32 v3, v3, s[2:3] scale_offset
	s_wait_loadcnt 0x0
	v_cmp_class_f16_e64 s75, v3, 0x204
	s_and_saveexec_b32 s74, s75
; %bb.67:                               ;   in Loop: Header=BB34_4 Depth=1
	v_lshrrev_b32_e32 v3, 16, v3
	s_delay_alu instid0(VALU_DEP_1)
	v_cmp_class_f16_e64 s73, v3, 0x204
	s_and_b32 s73, s73, exec_lo
; %bb.68:                               ;   in Loop: Header=BB34_4 Depth=1
	s_or_b32 exec_lo, exec_lo, s74
	s_delay_alu instid0(SALU_CYCLE_1)
	s_and_b32 s73, s73, exec_lo
.LBB34_69:                              ;   in Loop: Header=BB34_4 Depth=1
	s_or_b32 exec_lo, exec_lo, s72
	s_delay_alu instid0(SALU_CYCLE_1)
	s_and_b32 s72, s73, exec_lo
.LBB34_70:                              ;   in Loop: Header=BB34_4 Depth=1
	s_or_b32 exec_lo, exec_lo, s71
	s_delay_alu instid0(SALU_CYCLE_1)
	s_and_b32 s71, s72, exec_lo
.LBB34_71:                              ;   in Loop: Header=BB34_4 Depth=1
	s_or_b32 exec_lo, exec_lo, s70
	s_delay_alu instid0(SALU_CYCLE_1)
	s_and_b32 s70, s71, exec_lo
.LBB34_72:                              ;   in Loop: Header=BB34_4 Depth=1
	s_or_b32 exec_lo, exec_lo, s69
	s_delay_alu instid0(SALU_CYCLE_1)
	s_and_b32 s69, s70, exec_lo
.LBB34_73:                              ;   in Loop: Header=BB34_4 Depth=1
	s_or_b32 exec_lo, exec_lo, s68
	s_delay_alu instid0(SALU_CYCLE_1)
	s_and_b32 s68, s69, exec_lo
.LBB34_74:                              ;   in Loop: Header=BB34_4 Depth=1
	s_or_b32 exec_lo, exec_lo, s67
	s_delay_alu instid0(SALU_CYCLE_1)
	s_and_b32 s67, s68, exec_lo
.LBB34_75:                              ;   in Loop: Header=BB34_4 Depth=1
	s_or_b32 exec_lo, exec_lo, s66
	s_delay_alu instid0(SALU_CYCLE_1)
	s_and_b32 s66, s67, exec_lo
.LBB34_76:                              ;   in Loop: Header=BB34_4 Depth=1
	s_or_b32 exec_lo, exec_lo, s65
	s_delay_alu instid0(SALU_CYCLE_1)
	s_and_b32 s65, s66, exec_lo
.LBB34_77:                              ;   in Loop: Header=BB34_4 Depth=1
	s_or_b32 exec_lo, exec_lo, s64
	s_delay_alu instid0(SALU_CYCLE_1)
	s_and_b32 s64, s65, exec_lo
.LBB34_78:                              ;   in Loop: Header=BB34_4 Depth=1
	s_or_b32 exec_lo, exec_lo, s63
	s_delay_alu instid0(SALU_CYCLE_1)
	s_and_b32 s63, s64, exec_lo
.LBB34_79:                              ;   in Loop: Header=BB34_4 Depth=1
	s_or_b32 exec_lo, exec_lo, s62
	s_delay_alu instid0(SALU_CYCLE_1)
	s_and_b32 s62, s63, exec_lo
.LBB34_80:                              ;   in Loop: Header=BB34_4 Depth=1
	s_or_b32 exec_lo, exec_lo, s61
	s_delay_alu instid0(SALU_CYCLE_1)
	s_and_b32 s61, s62, exec_lo
.LBB34_81:                              ;   in Loop: Header=BB34_4 Depth=1
	s_or_b32 exec_lo, exec_lo, s60
	s_delay_alu instid0(SALU_CYCLE_1)
	s_and_b32 s60, s61, exec_lo
.LBB34_82:                              ;   in Loop: Header=BB34_4 Depth=1
	s_or_b32 exec_lo, exec_lo, s59
	s_delay_alu instid0(SALU_CYCLE_1)
	s_and_b32 s59, s60, exec_lo
.LBB34_83:                              ;   in Loop: Header=BB34_4 Depth=1
	s_or_b32 exec_lo, exec_lo, s58
	s_delay_alu instid0(SALU_CYCLE_1)
	s_and_b32 s58, s59, exec_lo
.LBB34_84:                              ;   in Loop: Header=BB34_4 Depth=1
	s_or_b32 exec_lo, exec_lo, s57
	s_delay_alu instid0(SALU_CYCLE_1)
	s_and_b32 s57, s58, exec_lo
.LBB34_85:                              ;   in Loop: Header=BB34_4 Depth=1
	s_or_b32 exec_lo, exec_lo, s56
	s_delay_alu instid0(SALU_CYCLE_1)
	s_and_b32 s56, s57, exec_lo
.LBB34_86:                              ;   in Loop: Header=BB34_4 Depth=1
	s_or_b32 exec_lo, exec_lo, s55
	s_delay_alu instid0(SALU_CYCLE_1)
	s_and_b32 s55, s56, exec_lo
.LBB34_87:                              ;   in Loop: Header=BB34_4 Depth=1
	s_or_b32 exec_lo, exec_lo, s54
	s_delay_alu instid0(SALU_CYCLE_1)
	s_and_b32 s54, s55, exec_lo
.LBB34_88:                              ;   in Loop: Header=BB34_4 Depth=1
	s_or_b32 exec_lo, exec_lo, s53
	s_delay_alu instid0(SALU_CYCLE_1)
	s_and_b32 s53, s54, exec_lo
.LBB34_89:                              ;   in Loop: Header=BB34_4 Depth=1
	s_or_b32 exec_lo, exec_lo, s52
	s_delay_alu instid0(SALU_CYCLE_1)
	s_and_b32 s52, s53, exec_lo
.LBB34_90:                              ;   in Loop: Header=BB34_4 Depth=1
	s_or_b32 exec_lo, exec_lo, s51
	s_delay_alu instid0(SALU_CYCLE_1)
	s_and_b32 s51, s52, exec_lo
.LBB34_91:                              ;   in Loop: Header=BB34_4 Depth=1
	s_or_b32 exec_lo, exec_lo, s50
	s_delay_alu instid0(SALU_CYCLE_1)
	s_and_b32 s50, s51, exec_lo
.LBB34_92:                              ;   in Loop: Header=BB34_4 Depth=1
	s_or_b32 exec_lo, exec_lo, s49
	s_delay_alu instid0(SALU_CYCLE_1)
	s_and_b32 s49, s50, exec_lo
.LBB34_93:                              ;   in Loop: Header=BB34_4 Depth=1
	s_or_b32 exec_lo, exec_lo, s48
	s_delay_alu instid0(SALU_CYCLE_1)
	s_and_b32 s48, s49, exec_lo
.LBB34_94:                              ;   in Loop: Header=BB34_4 Depth=1
	s_or_b32 exec_lo, exec_lo, s47
	s_delay_alu instid0(SALU_CYCLE_1)
	s_and_b32 s47, s48, exec_lo
.LBB34_95:                              ;   in Loop: Header=BB34_4 Depth=1
	s_or_b32 exec_lo, exec_lo, s46
	s_delay_alu instid0(SALU_CYCLE_1)
	s_and_b32 s46, s47, exec_lo
.LBB34_96:                              ;   in Loop: Header=BB34_4 Depth=1
	s_or_b32 exec_lo, exec_lo, s45
	s_delay_alu instid0(SALU_CYCLE_1)
	s_and_b32 s45, s46, exec_lo
.LBB34_97:                              ;   in Loop: Header=BB34_4 Depth=1
	s_or_b32 exec_lo, exec_lo, s44
	s_delay_alu instid0(SALU_CYCLE_1)
	s_and_b32 s44, s45, exec_lo
.LBB34_98:                              ;   in Loop: Header=BB34_4 Depth=1
	s_or_b32 exec_lo, exec_lo, s43
	s_delay_alu instid0(SALU_CYCLE_1)
	s_and_b32 s43, s44, exec_lo
.LBB34_99:                              ;   in Loop: Header=BB34_4 Depth=1
	s_or_b32 exec_lo, exec_lo, s42
	s_delay_alu instid0(SALU_CYCLE_1)
	s_and_b32 s42, s43, exec_lo
.LBB34_100:                             ;   in Loop: Header=BB34_4 Depth=1
	s_or_b32 exec_lo, exec_lo, s41
	s_delay_alu instid0(SALU_CYCLE_1)
	s_and_b32 s41, s42, exec_lo
.LBB34_101:                             ;   in Loop: Header=BB34_4 Depth=1
	s_or_b32 exec_lo, exec_lo, s40
	s_delay_alu instid0(SALU_CYCLE_1)
	s_and_b32 s40, s41, exec_lo
.LBB34_102:                             ;   in Loop: Header=BB34_4 Depth=1
	s_or_b32 exec_lo, exec_lo, s39
	s_delay_alu instid0(SALU_CYCLE_1)
	s_and_b32 s39, s40, exec_lo
.LBB34_103:                             ;   in Loop: Header=BB34_4 Depth=1
	s_or_b32 exec_lo, exec_lo, s38
	s_delay_alu instid0(SALU_CYCLE_1)
	s_and_b32 s38, s39, exec_lo
.LBB34_104:                             ;   in Loop: Header=BB34_4 Depth=1
	s_or_b32 exec_lo, exec_lo, s37
	s_delay_alu instid0(SALU_CYCLE_1)
	s_and_b32 s37, s38, exec_lo
.LBB34_105:                             ;   in Loop: Header=BB34_4 Depth=1
	s_or_b32 exec_lo, exec_lo, s36
	s_delay_alu instid0(SALU_CYCLE_1)
	s_and_b32 s36, s37, exec_lo
.LBB34_106:                             ;   in Loop: Header=BB34_4 Depth=1
	s_or_b32 exec_lo, exec_lo, s35
	s_delay_alu instid0(SALU_CYCLE_1)
	s_and_b32 s35, s36, exec_lo
.LBB34_107:                             ;   in Loop: Header=BB34_4 Depth=1
	s_or_b32 exec_lo, exec_lo, s34
	s_delay_alu instid0(SALU_CYCLE_1)
	s_and_b32 s34, s35, exec_lo
.LBB34_108:                             ;   in Loop: Header=BB34_4 Depth=1
	s_or_b32 exec_lo, exec_lo, s33
	s_delay_alu instid0(SALU_CYCLE_1)
	s_and_b32 s33, s34, exec_lo
.LBB34_109:                             ;   in Loop: Header=BB34_4 Depth=1
	s_or_b32 exec_lo, exec_lo, s31
	s_delay_alu instid0(SALU_CYCLE_1)
	s_and_b32 s31, s33, exec_lo
.LBB34_110:                             ;   in Loop: Header=BB34_4 Depth=1
	s_or_b32 exec_lo, exec_lo, s30
	s_delay_alu instid0(SALU_CYCLE_1)
	s_and_b32 s30, s31, exec_lo
.LBB34_111:                             ;   in Loop: Header=BB34_4 Depth=1
	s_or_b32 exec_lo, exec_lo, s29
	s_delay_alu instid0(SALU_CYCLE_1)
	s_and_b32 s29, s30, exec_lo
.LBB34_112:                             ;   in Loop: Header=BB34_4 Depth=1
	s_or_b32 exec_lo, exec_lo, s28
	s_delay_alu instid0(SALU_CYCLE_1)
	s_and_b32 s28, s29, exec_lo
.LBB34_113:                             ;   in Loop: Header=BB34_4 Depth=1
	s_or_b32 exec_lo, exec_lo, s27
	s_delay_alu instid0(SALU_CYCLE_1)
	s_and_b32 s27, s28, exec_lo
.LBB34_114:                             ;   in Loop: Header=BB34_4 Depth=1
	s_or_b32 exec_lo, exec_lo, s26
	s_delay_alu instid0(SALU_CYCLE_1)
	s_and_b32 s26, s27, exec_lo
.LBB34_115:                             ;   in Loop: Header=BB34_4 Depth=1
	s_or_b32 exec_lo, exec_lo, s25
	s_delay_alu instid0(SALU_CYCLE_1)
	s_and_b32 s25, s26, exec_lo
.LBB34_116:                             ;   in Loop: Header=BB34_4 Depth=1
	s_or_b32 exec_lo, exec_lo, s24
	s_delay_alu instid0(SALU_CYCLE_1)
	s_and_b32 s24, s25, exec_lo
.LBB34_117:                             ;   in Loop: Header=BB34_4 Depth=1
	s_or_b32 exec_lo, exec_lo, s23
	s_delay_alu instid0(SALU_CYCLE_1)
	s_and_b32 s23, s24, exec_lo
.LBB34_118:                             ;   in Loop: Header=BB34_4 Depth=1
	s_or_b32 exec_lo, exec_lo, s22
	s_delay_alu instid0(SALU_CYCLE_1)
	s_and_b32 s22, s23, exec_lo
.LBB34_119:                             ;   in Loop: Header=BB34_4 Depth=1
	s_or_b32 exec_lo, exec_lo, s21
	s_delay_alu instid0(SALU_CYCLE_1)
	s_and_b32 s21, s22, exec_lo
.LBB34_120:                             ;   in Loop: Header=BB34_4 Depth=1
	s_or_b32 exec_lo, exec_lo, s20
	s_delay_alu instid0(SALU_CYCLE_1)
	s_and_b32 s20, s21, exec_lo
.LBB34_121:                             ;   in Loop: Header=BB34_4 Depth=1
	s_or_b32 exec_lo, exec_lo, s19
	s_delay_alu instid0(SALU_CYCLE_1)
	s_and_b32 s19, s20, exec_lo
.LBB34_122:                             ;   in Loop: Header=BB34_4 Depth=1
	s_or_b32 exec_lo, exec_lo, s18
	s_delay_alu instid0(SALU_CYCLE_1)
	s_and_b32 s18, s19, exec_lo
.LBB34_123:                             ;   in Loop: Header=BB34_4 Depth=1
	s_or_b32 exec_lo, exec_lo, s17
	s_delay_alu instid0(SALU_CYCLE_1)
	s_and_b32 s17, s18, exec_lo
.LBB34_124:                             ;   in Loop: Header=BB34_4 Depth=1
	s_or_b32 exec_lo, exec_lo, s16
	s_delay_alu instid0(SALU_CYCLE_1)
	s_and_b32 s16, s17, exec_lo
.LBB34_125:                             ;   in Loop: Header=BB34_4 Depth=1
	s_or_b32 exec_lo, exec_lo, s15
	s_delay_alu instid0(SALU_CYCLE_1)
	s_and_b32 s15, s16, exec_lo
.LBB34_126:                             ;   in Loop: Header=BB34_4 Depth=1
	s_or_b32 exec_lo, exec_lo, s14
	s_delay_alu instid0(SALU_CYCLE_1)
	s_and_b32 s14, s15, exec_lo
.LBB34_127:                             ;   in Loop: Header=BB34_4 Depth=1
	s_or_b32 exec_lo, exec_lo, s13
	s_delay_alu instid0(SALU_CYCLE_1)
	s_and_b32 s13, s14, exec_lo
.LBB34_128:                             ;   in Loop: Header=BB34_4 Depth=1
	s_or_b32 exec_lo, exec_lo, s10
	s_delay_alu instid0(SALU_CYCLE_1)
	s_and_b32 s10, s13, exec_lo
.LBB34_129:                             ;   in Loop: Header=BB34_4 Depth=1
	s_or_b32 exec_lo, exec_lo, s8
	v_cndmask_b32_e64 v3, 0, 1, s10
	s_mov_b32 s13, exec_lo
	s_delay_alu instid0(VALU_DEP_1)
	v_cmp_ne_u32_e32 vcc_lo, 0, v3
	s_and_saveexec_b32 s8, s0
	s_cbranch_execz .LBB34_3
; %bb.130:                              ;   in Loop: Header=BB34_4 Depth=1
	s_cmp_eq_u32 vcc_lo, s13
	s_cselect_b32 s10, -1, 0
	s_delay_alu instid0(SALU_CYCLE_1)
	v_cndmask_b32_e64 v3, 0, 1, s10
	ds_store_b32 v1, v3
	s_branch .LBB34_3
.LBB34_131:                             ;   in Loop: Header=BB34_4 Depth=1
	s_cbranch_execz .LBB34_4
.LBB34_132:
	s_mov_b32 s0, exec_lo
	v_cmpx_eq_u32_e32 0, v0
	s_cbranch_execz .LBB34_134
; %bb.133:
	s_mul_i32 s0, s11, s12
	v_mov_b32_e32 v1, s4
	s_add_co_i32 s0, s0, s1
	s_delay_alu instid0(SALU_CYCLE_1)
	v_mov_b32_e32 v0, s0
	global_store_b32 v0, v1, s[6:7] scale_offset
.LBB34_134:
	s_endpgm
	.section	.rodata,"a",@progbits
	.p2align	6, 0x0
	.amdhsa_kernel _ZL25flash_attn_mask_to_KV_maxILi32EEvPK7__half2Piiii
		.amdhsa_group_segment_fixed_size 128
		.amdhsa_private_segment_fixed_size 0
		.amdhsa_kernarg_size 288
		.amdhsa_user_sgpr_count 2
		.amdhsa_user_sgpr_dispatch_ptr 0
		.amdhsa_user_sgpr_queue_ptr 0
		.amdhsa_user_sgpr_kernarg_segment_ptr 1
		.amdhsa_user_sgpr_dispatch_id 0
		.amdhsa_user_sgpr_kernarg_preload_length 0
		.amdhsa_user_sgpr_kernarg_preload_offset 0
		.amdhsa_user_sgpr_private_segment_size 0
		.amdhsa_wavefront_size32 1
		.amdhsa_uses_dynamic_stack 0
		.amdhsa_enable_private_segment 0
		.amdhsa_system_sgpr_workgroup_id_x 1
		.amdhsa_system_sgpr_workgroup_id_y 1
		.amdhsa_system_sgpr_workgroup_id_z 0
		.amdhsa_system_sgpr_workgroup_info 0
		.amdhsa_system_vgpr_workitem_id 0
		.amdhsa_next_free_vgpr 6
		.amdhsa_next_free_sgpr 76
		.amdhsa_named_barrier_count 0
		.amdhsa_reserve_vcc 1
		.amdhsa_float_round_mode_32 0
		.amdhsa_float_round_mode_16_64 0
		.amdhsa_float_denorm_mode_32 3
		.amdhsa_float_denorm_mode_16_64 3
		.amdhsa_fp16_overflow 0
		.amdhsa_memory_ordered 1
		.amdhsa_forward_progress 1
		.amdhsa_inst_pref_size 28
		.amdhsa_round_robin_scheduling 0
		.amdhsa_exception_fp_ieee_invalid_op 0
		.amdhsa_exception_fp_denorm_src 0
		.amdhsa_exception_fp_ieee_div_zero 0
		.amdhsa_exception_fp_ieee_overflow 0
		.amdhsa_exception_fp_ieee_underflow 0
		.amdhsa_exception_fp_ieee_inexact 0
		.amdhsa_exception_int_div_zero 0
	.end_amdhsa_kernel
	.section	.text._ZL25flash_attn_mask_to_KV_maxILi32EEvPK7__half2Piiii,"axG",@progbits,_ZL25flash_attn_mask_to_KV_maxILi32EEvPK7__half2Piiii,comdat
.Lfunc_end34:
	.size	_ZL25flash_attn_mask_to_KV_maxILi32EEvPK7__half2Piiii, .Lfunc_end34-_ZL25flash_attn_mask_to_KV_maxILi32EEvPK7__half2Piiii
                                        ; -- End function
	.set _ZL25flash_attn_mask_to_KV_maxILi32EEvPK7__half2Piiii.num_vgpr, 6
	.set _ZL25flash_attn_mask_to_KV_maxILi32EEvPK7__half2Piiii.num_agpr, 0
	.set _ZL25flash_attn_mask_to_KV_maxILi32EEvPK7__half2Piiii.numbered_sgpr, 76
	.set _ZL25flash_attn_mask_to_KV_maxILi32EEvPK7__half2Piiii.num_named_barrier, 0
	.set _ZL25flash_attn_mask_to_KV_maxILi32EEvPK7__half2Piiii.private_seg_size, 0
	.set _ZL25flash_attn_mask_to_KV_maxILi32EEvPK7__half2Piiii.uses_vcc, 1
	.set _ZL25flash_attn_mask_to_KV_maxILi32EEvPK7__half2Piiii.uses_flat_scratch, 0
	.set _ZL25flash_attn_mask_to_KV_maxILi32EEvPK7__half2Piiii.has_dyn_sized_stack, 0
	.set _ZL25flash_attn_mask_to_KV_maxILi32EEvPK7__half2Piiii.has_recursion, 0
	.set _ZL25flash_attn_mask_to_KV_maxILi32EEvPK7__half2Piiii.has_indirect_call, 0
	.section	.AMDGPU.csdata,"",@progbits
; Kernel info:
; codeLenInByte = 3548
; TotalNumSgprs: 78
; NumVgprs: 6
; ScratchSize: 0
; MemoryBound: 0
; FloatMode: 240
; IeeeMode: 1
; LDSByteSize: 128 bytes/workgroup (compile time only)
; SGPRBlocks: 0
; VGPRBlocks: 0
; NumSGPRsForWavesPerEU: 78
; NumVGPRsForWavesPerEU: 6
; NamedBarCnt: 0
; Occupancy: 16
; WaveLimiterHint : 0
; COMPUTE_PGM_RSRC2:SCRATCH_EN: 0
; COMPUTE_PGM_RSRC2:USER_SGPR: 2
; COMPUTE_PGM_RSRC2:TRAP_HANDLER: 0
; COMPUTE_PGM_RSRC2:TGID_X_EN: 1
; COMPUTE_PGM_RSRC2:TGID_Y_EN: 1
; COMPUTE_PGM_RSRC2:TGID_Z_EN: 0
; COMPUTE_PGM_RSRC2:TIDIG_COMP_CNT: 0
	.section	.text._ZL33flash_attn_stream_k_fixup_uniformILi64ELi32ELi2EEvPfPK15HIP_vector_typeIfLj2EEiiiiiiS1_IjLj3EES5_S5_,"axG",@progbits,_ZL33flash_attn_stream_k_fixup_uniformILi64ELi32ELi2EEvPfPK15HIP_vector_typeIfLj2EEiiiiiiS1_IjLj3EES5_S5_,comdat
	.globl	_ZL33flash_attn_stream_k_fixup_uniformILi64ELi32ELi2EEvPfPK15HIP_vector_typeIfLj2EEiiiiiiS1_IjLj3EES5_S5_ ; -- Begin function _ZL33flash_attn_stream_k_fixup_uniformILi64ELi32ELi2EEvPfPK15HIP_vector_typeIfLj2EEiiiiiiS1_IjLj3EES5_S5_
	.p2align	8
	.type	_ZL33flash_attn_stream_k_fixup_uniformILi64ELi32ELi2EEvPfPK15HIP_vector_typeIfLj2EEiiiiiiS1_IjLj3EES5_S5_,@function
_ZL33flash_attn_stream_k_fixup_uniformILi64ELi32ELi2EEvPfPK15HIP_vector_typeIfLj2EEiiiiiiS1_IjLj3EES5_S5_: ; @_ZL33flash_attn_stream_k_fixup_uniformILi64ELi32ELi2EEvPfPK15HIP_vector_typeIfLj2EEiiiiiiS1_IjLj3EES5_S5_
; %bb.0:
	s_load_b256 s[4:11], s[0:1], 0x1c
	s_bfe_u32 s2, ttmp6, 0x40014
	s_lshr_b32 s3, ttmp7, 16
	s_add_co_i32 s2, s2, 1
	s_bfe_u32 s13, ttmp6, 0x40010
	s_mul_i32 s2, s3, s2
	s_bfe_u32 s12, ttmp6, 0x40008
	s_and_b32 s15, ttmp7, 0xffff
	s_add_co_i32 s13, s13, 1
	s_bfe_u32 s14, ttmp6, 0x4000c
	s_add_co_i32 s12, s12, s2
	s_mul_i32 s2, s15, s13
	s_bfe_u32 s13, ttmp6, 0x40004
	s_add_co_i32 s14, s14, 1
	s_add_co_i32 s13, s13, s2
	s_and_b32 s2, ttmp6, 15
	s_mul_i32 s14, ttmp9, s14
	s_getreg_b32 s20, hwreg(HW_REG_IB_STS2, 6, 4)
	s_add_co_i32 s2, s2, s14
	s_load_b128 s[16:19], s[0:1], 0x3c
	s_cmp_eq_u32 s20, 0
	s_cselect_b32 s14, ttmp9, s2
	s_cselect_b32 s13, s15, s13
	s_wait_kmcnt 0x0
	s_mul_hi_u32 s2, s7, s14
	s_cselect_b32 s12, s3, s12
	s_add_co_i32 s2, s14, s2
	s_delay_alu instid0(SALU_CYCLE_1) | instskip(NEXT) | instid1(SALU_CYCLE_1)
	s_lshr_b32 s7, s2, s8
	s_mul_i32 s2, s7, s9
	s_delay_alu instid0(SALU_CYCLE_1) | instskip(NEXT) | instid1(SALU_CYCLE_1)
	s_sub_co_i32 s8, s14, s2
	s_mul_hi_u32 s2, s8, s10
	s_delay_alu instid0(SALU_CYCLE_1) | instskip(SKIP_2) | instid1(SALU_CYCLE_1)
	s_add_co_i32 s9, s8, s2
	s_load_b64 s[2:3], s[0:1], 0x10
	s_lshr_b32 s15, s9, s11
	s_mul_i32 s9, s15, s16
	s_delay_alu instid0(SALU_CYCLE_1) | instskip(NEXT) | instid1(SALU_CYCLE_1)
	s_sub_co_i32 s8, s8, s9
	s_mul_hi_u32 s9, s8, s17
	s_delay_alu instid0(SALU_CYCLE_1) | instskip(NEXT) | instid1(SALU_CYCLE_1)
	s_add_co_i32 s9, s8, s9
	s_lshr_b32 s9, s9, s18
	s_delay_alu instid0(SALU_CYCLE_1) | instskip(SKIP_2) | instid1(SALU_CYCLE_1)
	s_mul_i32 s10, s9, s19
	s_lshl_b32 s17, s9, 1
	s_sub_co_i32 s16, s8, s10
	s_lshl_b32 s8, s16, 5
	s_delay_alu instid0(SALU_CYCLE_1) | instskip(SKIP_4) | instid1(SALU_CYCLE_1)
	s_add_co_i32 s8, s8, s13
	s_wait_kmcnt 0x0
	s_cmp_lt_i32 s8, s2
	s_cselect_b32 s8, -1, 0
	s_add_co_i32 s9, s17, s12
	s_cmp_lt_i32 s9, s5
	s_cselect_b32 s9, -1, 0
	s_delay_alu instid0(SALU_CYCLE_1) | instskip(NEXT) | instid1(SALU_CYCLE_1)
	s_and_b32 s8, s8, s9
	s_and_not1_b32 vcc_lo, exec_lo, s8
	s_cbranch_vccnz .LBB35_6
; %bb.1:
	s_mul_i32 s2, s7, s2
	s_load_b128 s[8:11], s[0:1], 0x0
	s_wait_xcnt 0x0
	s_add_co_i32 s0, s2, s13
	s_mul_i32 s15, s15, s5
	s_mul_i32 s0, s0, s3
	;; [unrolled: 1-line block ×3, first 2 shown]
	s_add_co_i32 s0, s0, s12
	s_lshl_b32 s1, s1, 11
	s_add_co_i32 s0, s0, s15
	s_mul_i32 s7, s6, s14
	s_add_co_i32 s0, s0, s17
	s_lshl_b32 s5, s13, 1
	s_lshl_b32 s0, s0, 6
	s_add_co_i32 s15, s7, s6
	s_add_co_i32 s1, s1, s0
	;; [unrolled: 1-line block ×3, first 2 shown]
	v_or_b32_e32 v4, s1, v0
	s_lshl_b32 s1, s15, 6
	s_add_co_i32 s2, s15, -2
	s_add_co_i32 s0, s0, s1
	s_delay_alu instid0(SALU_CYCLE_1)
	s_sub_co_i32 s0, s0, 64
	s_wait_kmcnt 0x0
	global_load_b32 v3, v4, s[8:9] scale_offset
	s_ashr_i32 s1, s0, 31
	v_ashrrev_i32_e32 v5, 31, v4
	s_lshl_b64 s[0:1], s[0:1], 3
	s_cmp_lt_i32 s2, s7
	s_add_nc_u64 s[0:1], s[10:11], s[0:1]
	s_load_b32 s16, s[0:1], 0x4
	s_cbranch_scc1 .LBB35_4
; %bb.2:
	s_wait_xcnt 0x0
	s_load_b32 s0, s[0:1], 0x0
	s_add_co_i32 s14, s14, 1
	s_lshl_b32 s3, s13, 7
	s_wait_xcnt 0x0
	s_mul_i32 s1, s6, s14
	s_lshl_b32 s6, s12, 6
	s_lshl_b32 s13, s1, 12
	s_add_co_i32 s6, s6, s3
	s_lshl_b32 s1, s1, 6
	s_add_co_i32 s6, s6, s13
	s_lshl_b32 s2, s4, 8
	s_wait_kmcnt 0x0
	v_dual_mov_b32 v2, s16 :: v_dual_bitop2_b32 v0, s6, v0 bitop3:0x54
	s_add_co_i32 s1, s12, s1
	s_lshl_b32 s4, s4, 6
	s_ashr_i32 s3, s2, 31
	s_add_co_i32 s1, s1, s4
	v_add_nc_u32_e32 v0, 0xffffe000, v0
	s_lshl_b64 s[2:3], s[2:3], 2
	s_add_co_i32 s4, s1, s5
	s_add_nc_u64 s[2:3], s[10:11], s[2:3]
	s_add_co_i32 s1, s15, -1
	s_addk_co_i32 s4, 0xff80
.LBB35_3:                               ; =>This Inner Loop Header: Depth=1
	global_load_b32 v7, v0, s[2:3] scale_offset
	s_ashr_i32 s5, s4, 31
	v_max_num_f32_e64 v1, s0, s0
	s_lshl_b64 s[12:13], s[4:5], 3
	s_delay_alu instid0(SALU_CYCLE_1) | instskip(SKIP_1) | instid1(VALU_DEP_1)
	s_add_nc_u64 s[12:13], s[10:11], s[12:13]
	s_load_b64 s[12:13], s[12:13], 0x0
	v_readfirstlane_b32 s5, v1
	v_add_nc_u32_e32 v0, 0xfffff000, v0
	s_wait_kmcnt 0x0
	v_max_num_f32_e64 v1, s12, s12
	s_delay_alu instid0(VALU_DEP_1) | instskip(SKIP_1) | instid1(SALU_CYCLE_3)
	v_readfirstlane_b32 s6, v1
	s_max_num_f32 s5, s5, s6
	s_sub_f32 s0, s0, s5
	s_sub_f32 s6, s12, s5
	s_delay_alu instid0(SALU_CYCLE_2) | instskip(NEXT) | instid1(SALU_CYCLE_2)
	s_mul_f32 s12, s0, 0x3fb8aa3b
	s_mul_f32 s14, s6, 0x3fb8aa3b
	s_delay_alu instid0(SALU_CYCLE_2)
	s_xor_b32 s15, s12, 0x80000000
	s_rndne_f32 s16, s12
	s_fmamk_f32 s15, s0, 0x3fb8aa3b, s15
	s_cmp_nlt_f32 s0, 0xc2ce8ed0
	s_rndne_f32 s17, s14
	s_sub_f32 s12, s12, s16
	s_fmamk_f32 s15, s0, 0x32a5705f, s15
	s_cselect_b32 vcc_lo, -1, 0
	s_cmp_ngt_f32 s0, 0x42b17218
	s_delay_alu instid0(SALU_CYCLE_1) | instskip(SKIP_2) | instid1(SALU_CYCLE_1)
	s_add_f32 s12, s12, s15
	s_cvt_i32_f32 s15, s16
	s_sub_f32 s16, s14, s17
	v_s_exp_f32 s12, s12
	v_nop
	s_delay_alu instid0(TRANS32_DEP_1) | instskip(SKIP_1) | instid1(VALU_DEP_1)
	v_ldexp_f32 v1, s12, s15
	s_cvt_i32_f32 s12, s17
	v_cndmask_b32_e32 v1, 0, v1, vcc_lo
	s_cselect_b32 vcc_lo, -1, 0
	s_cmp_ge_f32 s0, 0xc1a00000
	s_delay_alu instid0(VALU_DEP_1)
	v_cndmask_b32_e32 v1, 0x7f800000, v1, vcc_lo
	s_cselect_b32 vcc_lo, -1, 0
	s_xor_b32 s0, s14, 0x80000000
	s_cmp_nlt_f32 s6, 0xc2ce8ed0
	s_fmamk_f32 s0, s6, 0x3fb8aa3b, s0
	v_cndmask_b32_e32 v10, 0, v1, vcc_lo
	s_delay_alu instid0(SALU_CYCLE_2) | instskip(NEXT) | instid1(SALU_CYCLE_3)
	s_fmamk_f32 s0, s6, 0x32a5705f, s0
	s_add_f32 s0, s16, s0
	s_delay_alu instid0(SALU_CYCLE_3) | instskip(SKIP_1) | instid1(TRANS32_DEP_1)
	v_s_exp_f32 s0, s0
	v_nop
	v_ldexp_f32 v6, s0, s12
	s_cselect_b32 s0, -1, 0
	s_cmp_ngt_f32 s6, 0x42b17218
	s_delay_alu instid0(VALU_DEP_1) | instskip(SKIP_2) | instid1(VALU_DEP_1)
	v_cndmask_b32_e64 v6, 0, v6, s0
	s_cselect_b32 s0, -1, 0
	s_cmp_ge_f32 s6, 0xc1a00000
	v_cndmask_b32_e64 v8, 0x7f800000, v6, s0
	s_cselect_b32 s0, -1, 0
	v_mov_b32_e32 v6, s13
	s_add_co_i32 s1, s1, -1
	s_sub_co_i32 s4, s4, 64
	v_cndmask_b32_e64 v8, 0, v8, s0
	s_cmp_le_i32 s1, s7
	s_mov_b32 s0, s5
	s_wait_loadcnt 0x0
	s_delay_alu instid0(VALU_DEP_1) | instskip(NEXT) | instid1(VALU_DEP_1)
	v_pk_mul_f32 v[6:7], v[6:7], v[8:9] op_sel_hi:[1,0]
	v_pk_fma_f32 v[2:3], v[2:3], v[10:11], v[6:7] op_sel_hi:[1,0,1]
	s_cbranch_scc0 .LBB35_3
	s_branch .LBB35_5
.LBB35_4:
	s_wait_kmcnt 0x0
	v_mov_b32_e32 v2, s16
.LBB35_5:
	v_lshl_add_u64 v[0:1], v[4:5], 2, s[8:9]
	s_wait_loadcnt 0x0
	s_delay_alu instid0(VALU_DEP_2) | instskip(NEXT) | instid1(VALU_DEP_1)
	v_div_scale_f32 v4, null, v2, v2, v3
	v_rcp_f32_e32 v5, v4
	v_nop
	s_delay_alu instid0(TRANS32_DEP_1) | instskip(NEXT) | instid1(VALU_DEP_1)
	v_fma_f32 v6, -v4, v5, 1.0
	v_fmac_f32_e32 v5, v6, v5
	v_div_scale_f32 v6, vcc_lo, v3, v2, v3
	s_delay_alu instid0(VALU_DEP_1) | instskip(NEXT) | instid1(VALU_DEP_1)
	v_mul_f32_e32 v7, v6, v5
	v_fma_f32 v8, -v4, v7, v6
	s_delay_alu instid0(VALU_DEP_1) | instskip(NEXT) | instid1(VALU_DEP_1)
	v_fmac_f32_e32 v7, v8, v5
	v_fma_f32 v4, -v4, v7, v6
	s_delay_alu instid0(VALU_DEP_1) | instskip(NEXT) | instid1(VALU_DEP_1)
	v_div_fmas_f32 v4, v4, v5, v7
	v_div_fixup_f32 v2, v4, v2, v3
	global_store_b32 v[0:1], v2, off
.LBB35_6:
	s_endpgm
	.section	.rodata,"a",@progbits
	.p2align	6, 0x0
	.amdhsa_kernel _ZL33flash_attn_stream_k_fixup_uniformILi64ELi32ELi2EEvPfPK15HIP_vector_typeIfLj2EEiiiiiiS1_IjLj3EES5_S5_
		.amdhsa_group_segment_fixed_size 0
		.amdhsa_private_segment_fixed_size 0
		.amdhsa_kernarg_size 76
		.amdhsa_user_sgpr_count 2
		.amdhsa_user_sgpr_dispatch_ptr 0
		.amdhsa_user_sgpr_queue_ptr 0
		.amdhsa_user_sgpr_kernarg_segment_ptr 1
		.amdhsa_user_sgpr_dispatch_id 0
		.amdhsa_user_sgpr_kernarg_preload_length 0
		.amdhsa_user_sgpr_kernarg_preload_offset 0
		.amdhsa_user_sgpr_private_segment_size 0
		.amdhsa_wavefront_size32 1
		.amdhsa_uses_dynamic_stack 0
		.amdhsa_enable_private_segment 0
		.amdhsa_system_sgpr_workgroup_id_x 1
		.amdhsa_system_sgpr_workgroup_id_y 1
		.amdhsa_system_sgpr_workgroup_id_z 1
		.amdhsa_system_sgpr_workgroup_info 0
		.amdhsa_system_vgpr_workitem_id 0
		.amdhsa_next_free_vgpr 12
		.amdhsa_next_free_sgpr 21
		.amdhsa_named_barrier_count 0
		.amdhsa_reserve_vcc 1
		.amdhsa_float_round_mode_32 0
		.amdhsa_float_round_mode_16_64 0
		.amdhsa_float_denorm_mode_32 3
		.amdhsa_float_denorm_mode_16_64 3
		.amdhsa_fp16_overflow 0
		.amdhsa_memory_ordered 1
		.amdhsa_forward_progress 1
		.amdhsa_inst_pref_size 9
		.amdhsa_round_robin_scheduling 0
		.amdhsa_exception_fp_ieee_invalid_op 0
		.amdhsa_exception_fp_denorm_src 0
		.amdhsa_exception_fp_ieee_div_zero 0
		.amdhsa_exception_fp_ieee_overflow 0
		.amdhsa_exception_fp_ieee_underflow 0
		.amdhsa_exception_fp_ieee_inexact 0
		.amdhsa_exception_int_div_zero 0
	.end_amdhsa_kernel
	.section	.text._ZL33flash_attn_stream_k_fixup_uniformILi64ELi32ELi2EEvPfPK15HIP_vector_typeIfLj2EEiiiiiiS1_IjLj3EES5_S5_,"axG",@progbits,_ZL33flash_attn_stream_k_fixup_uniformILi64ELi32ELi2EEvPfPK15HIP_vector_typeIfLj2EEiiiiiiS1_IjLj3EES5_S5_,comdat
.Lfunc_end35:
	.size	_ZL33flash_attn_stream_k_fixup_uniformILi64ELi32ELi2EEvPfPK15HIP_vector_typeIfLj2EEiiiiiiS1_IjLj3EES5_S5_, .Lfunc_end35-_ZL33flash_attn_stream_k_fixup_uniformILi64ELi32ELi2EEvPfPK15HIP_vector_typeIfLj2EEiiiiiiS1_IjLj3EES5_S5_
                                        ; -- End function
	.set _ZL33flash_attn_stream_k_fixup_uniformILi64ELi32ELi2EEvPfPK15HIP_vector_typeIfLj2EEiiiiiiS1_IjLj3EES5_S5_.num_vgpr, 12
	.set _ZL33flash_attn_stream_k_fixup_uniformILi64ELi32ELi2EEvPfPK15HIP_vector_typeIfLj2EEiiiiiiS1_IjLj3EES5_S5_.num_agpr, 0
	.set _ZL33flash_attn_stream_k_fixup_uniformILi64ELi32ELi2EEvPfPK15HIP_vector_typeIfLj2EEiiiiiiS1_IjLj3EES5_S5_.numbered_sgpr, 21
	.set _ZL33flash_attn_stream_k_fixup_uniformILi64ELi32ELi2EEvPfPK15HIP_vector_typeIfLj2EEiiiiiiS1_IjLj3EES5_S5_.num_named_barrier, 0
	.set _ZL33flash_attn_stream_k_fixup_uniformILi64ELi32ELi2EEvPfPK15HIP_vector_typeIfLj2EEiiiiiiS1_IjLj3EES5_S5_.private_seg_size, 0
	.set _ZL33flash_attn_stream_k_fixup_uniformILi64ELi32ELi2EEvPfPK15HIP_vector_typeIfLj2EEiiiiiiS1_IjLj3EES5_S5_.uses_vcc, 1
	.set _ZL33flash_attn_stream_k_fixup_uniformILi64ELi32ELi2EEvPfPK15HIP_vector_typeIfLj2EEiiiiiiS1_IjLj3EES5_S5_.uses_flat_scratch, 0
	.set _ZL33flash_attn_stream_k_fixup_uniformILi64ELi32ELi2EEvPfPK15HIP_vector_typeIfLj2EEiiiiiiS1_IjLj3EES5_S5_.has_dyn_sized_stack, 0
	.set _ZL33flash_attn_stream_k_fixup_uniformILi64ELi32ELi2EEvPfPK15HIP_vector_typeIfLj2EEiiiiiiS1_IjLj3EES5_S5_.has_recursion, 0
	.set _ZL33flash_attn_stream_k_fixup_uniformILi64ELi32ELi2EEvPfPK15HIP_vector_typeIfLj2EEiiiiiiS1_IjLj3EES5_S5_.has_indirect_call, 0
	.section	.AMDGPU.csdata,"",@progbits
; Kernel info:
; codeLenInByte = 1092
; TotalNumSgprs: 23
; NumVgprs: 12
; ScratchSize: 0
; MemoryBound: 0
; FloatMode: 240
; IeeeMode: 1
; LDSByteSize: 0 bytes/workgroup (compile time only)
; SGPRBlocks: 0
; VGPRBlocks: 0
; NumSGPRsForWavesPerEU: 23
; NumVGPRsForWavesPerEU: 12
; NamedBarCnt: 0
; Occupancy: 16
; WaveLimiterHint : 0
; COMPUTE_PGM_RSRC2:SCRATCH_EN: 0
; COMPUTE_PGM_RSRC2:USER_SGPR: 2
; COMPUTE_PGM_RSRC2:TRAP_HANDLER: 0
; COMPUTE_PGM_RSRC2:TGID_X_EN: 1
; COMPUTE_PGM_RSRC2:TGID_Y_EN: 1
; COMPUTE_PGM_RSRC2:TGID_Z_EN: 1
; COMPUTE_PGM_RSRC2:TIDIG_COMP_CNT: 0
	.section	.text._ZL33flash_attn_stream_k_fixup_generalILi64ELi32ELi2EEvPfPK15HIP_vector_typeIfLj2EEiiiiS1_IjLj3EES5_S5_S5_,"axG",@progbits,_ZL33flash_attn_stream_k_fixup_generalILi64ELi32ELi2EEvPfPK15HIP_vector_typeIfLj2EEiiiiS1_IjLj3EES5_S5_S5_,comdat
	.globl	_ZL33flash_attn_stream_k_fixup_generalILi64ELi32ELi2EEvPfPK15HIP_vector_typeIfLj2EEiiiiS1_IjLj3EES5_S5_S5_ ; -- Begin function _ZL33flash_attn_stream_k_fixup_generalILi64ELi32ELi2EEvPfPK15HIP_vector_typeIfLj2EEiiiiS1_IjLj3EES5_S5_S5_
	.p2align	8
	.type	_ZL33flash_attn_stream_k_fixup_generalILi64ELi32ELi2EEvPfPK15HIP_vector_typeIfLj2EEiiiiS1_IjLj3EES5_S5_S5_,@function
_ZL33flash_attn_stream_k_fixup_generalILi64ELi32ELi2EEvPfPK15HIP_vector_typeIfLj2EEiiiiS1_IjLj3EES5_S5_S5_: ; @_ZL33flash_attn_stream_k_fixup_generalILi64ELi32ELi2EEvPfPK15HIP_vector_typeIfLj2EEiiiiS1_IjLj3EES5_S5_S5_
; %bb.0:
	s_clause 0x1
	s_load_b128 s[4:7], s[0:1], 0x10
	s_load_b32 s16, s[0:1], 0x50
	s_bfe_u32 s2, ttmp6, 0x4000c
	s_and_b32 s3, ttmp6, 15
	s_add_co_i32 s2, s2, 1
	s_getreg_b32 s15, hwreg(HW_REG_IB_STS2, 6, 4)
	s_mul_i32 s2, ttmp9, s2
	s_mov_b32 s17, 0
	s_add_co_i32 s3, s3, s2
	s_cmp_eq_u32 s15, 0
	s_cselect_b32 s2, ttmp9, s3
	s_delay_alu instid0(SALU_CYCLE_1) | instskip(SKIP_3) | instid1(SALU_CYCLE_1)
	s_ashr_i32 s3, s2, 31
	s_wait_kmcnt 0x0
	s_ashr_i32 s19, s7, 31
	s_mov_b32 s18, s7
	s_mul_u64 s[8:9], s[18:19], s[2:3]
	s_delay_alu instid0(SALU_CYCLE_1) | instskip(NEXT) | instid1(SALU_CYCLE_1)
	s_and_b64 s[10:11], s[8:9], 0xffffffff00000000
	s_cmp_lg_u64 s[10:11], 0
	s_cbranch_scc0 .LBB36_21
; %bb.1:
	s_add_nc_u64 s[10:11], s[16:17], 0
	s_mov_b32 s23, s17
	s_xor_b64 s[10:11], s[10:11], 0
	s_mov_b32 s27, s17
	s_cvt_f32_u32 s3, s10
	s_cvt_f32_u32 s7, s11
	s_sub_nc_u64 s[20:21], 0, s[10:11]
	s_delay_alu instid0(SALU_CYCLE_2) | instskip(NEXT) | instid1(SALU_CYCLE_3)
	s_fmamk_f32 s3, s7, 0x4f800000, s3
	v_s_rcp_f32 s3, s3
	s_delay_alu instid0(TRANS32_DEP_1) | instskip(NEXT) | instid1(SALU_CYCLE_3)
	s_mul_f32 s3, s3, 0x5f7ffffc
	s_mul_f32 s7, s3, 0x2f800000
	s_delay_alu instid0(SALU_CYCLE_3) | instskip(NEXT) | instid1(SALU_CYCLE_3)
	s_trunc_f32 s7, s7
	s_fmamk_f32 s3, s7, 0xcf800000, s3
	s_cvt_u32_f32 s13, s7
	s_delay_alu instid0(SALU_CYCLE_2) | instskip(NEXT) | instid1(SALU_CYCLE_3)
	s_cvt_u32_f32 s12, s3
	s_mul_u64 s[24:25], s[20:21], s[12:13]
	s_delay_alu instid0(SALU_CYCLE_1)
	s_mul_hi_u32 s29, s12, s25
	s_mul_i32 s28, s12, s25
	s_mul_hi_u32 s22, s12, s24
	s_mul_i32 s7, s13, s24
	s_add_nc_u64 s[22:23], s[22:23], s[28:29]
	s_mul_hi_u32 s3, s13, s24
	s_mul_hi_u32 s14, s13, s25
	s_add_co_u32 s7, s22, s7
	s_add_co_ci_u32 s26, s23, s3
	s_mul_i32 s24, s13, s25
	s_add_co_ci_u32 s25, s14, 0
	s_delay_alu instid0(SALU_CYCLE_1) | instskip(SKIP_3) | instid1(SALU_CYCLE_1)
	s_add_nc_u64 s[22:23], s[26:27], s[24:25]
	s_mov_b32 s25, s17
	s_add_co_u32 s12, s12, s22
	s_cselect_b32 s3, -1, 0
	s_cmp_lg_u32 s3, 0
	s_add_co_ci_u32 s13, s13, s23
	s_mov_b32 s23, s17
	s_mul_u64 s[20:21], s[20:21], s[12:13]
	s_delay_alu instid0(SALU_CYCLE_1)
	s_mul_hi_u32 s27, s12, s21
	s_mul_i32 s26, s12, s21
	s_mul_hi_u32 s22, s12, s20
	s_mul_i32 s7, s13, s20
	s_add_nc_u64 s[22:23], s[22:23], s[26:27]
	s_mul_hi_u32 s3, s13, s20
	s_mul_hi_u32 s14, s13, s21
	s_add_co_u32 s7, s22, s7
	s_add_co_ci_u32 s24, s23, s3
	s_mul_i32 s20, s13, s21
	s_add_co_ci_u32 s21, s14, 0
	s_mov_b32 s23, s17
	s_add_nc_u64 s[20:21], s[24:25], s[20:21]
	s_delay_alu instid0(SALU_CYCLE_1) | instskip(SKIP_1) | instid1(SALU_CYCLE_1)
	s_add_co_u32 s3, s12, s20
	s_cselect_b32 s7, -1, 0
	s_cmp_lg_u32 s7, 0
	s_add_co_ci_u32 s7, s13, s21
	s_ashr_i32 s12, s9, 31
	s_delay_alu instid0(SALU_CYCLE_1) | instskip(NEXT) | instid1(SALU_CYCLE_1)
	s_mov_b32 s13, s12
	s_add_nc_u64 s[20:21], s[8:9], s[12:13]
	s_delay_alu instid0(SALU_CYCLE_1) | instskip(NEXT) | instid1(SALU_CYCLE_1)
	s_xor_b64 s[20:21], s[20:21], s[12:13]
	s_mul_hi_u32 s27, s20, s7
	s_mul_i32 s26, s20, s7
	s_mul_hi_u32 s22, s20, s3
	s_mul_hi_u32 s14, s21, s3
	s_mul_i32 s3, s21, s3
	s_add_nc_u64 s[22:23], s[22:23], s[26:27]
	s_mul_hi_u32 s9, s21, s7
	s_add_co_u32 s3, s22, s3
	s_add_co_ci_u32 s24, s23, s14
	s_mul_i32 s26, s21, s7
	s_add_co_ci_u32 s27, s9, 0
	s_delay_alu instid0(SALU_CYCLE_1) | instskip(NEXT) | instid1(SALU_CYCLE_1)
	s_add_nc_u64 s[22:23], s[24:25], s[26:27]
	s_and_b64 s[24:25], s[22:23], 0xffffffff00000000
	s_delay_alu instid0(SALU_CYCLE_1) | instskip(NEXT) | instid1(SALU_CYCLE_1)
	s_or_b32 s24, s24, s22
	s_mul_u64 s[22:23], s[10:11], s[24:25]
	s_add_nc_u64 s[26:27], s[24:25], 1
	s_sub_co_u32 s3, s20, s22
	s_cselect_b32 s7, -1, 0
	s_sub_co_i32 s9, s21, s23
	s_cmp_lg_u32 s7, 0
	s_add_nc_u64 s[28:29], s[24:25], 2
	s_sub_co_ci_u32 s9, s9, s11
	s_sub_co_u32 s14, s3, s10
	s_cselect_b32 s20, -1, 0
	s_delay_alu instid0(SALU_CYCLE_1) | instskip(SKIP_1) | instid1(SALU_CYCLE_1)
	s_cmp_lg_u32 s20, 0
	s_sub_co_ci_u32 s9, s9, 0
	s_cmp_ge_u32 s9, s11
	s_cselect_b32 s20, -1, 0
	s_cmp_ge_u32 s14, s10
	s_cselect_b32 s14, -1, 0
	s_cmp_eq_u32 s9, s11
	s_cselect_b32 s9, s14, s20
	s_delay_alu instid0(SALU_CYCLE_1) | instskip(SKIP_4) | instid1(SALU_CYCLE_1)
	s_cmp_lg_u32 s9, 0
	s_cselect_b32 s9, s28, s26
	s_cselect_b32 s14, s29, s27
	s_cmp_lg_u32 s7, 0
	s_sub_co_ci_u32 s7, s21, s23
	s_cmp_ge_u32 s7, s11
	s_cselect_b32 s20, -1, 0
	s_cmp_ge_u32 s3, s10
	s_cselect_b32 s3, -1, 0
	s_cmp_eq_u32 s7, s11
	s_cselect_b32 s3, s3, s20
	s_delay_alu instid0(SALU_CYCLE_1) | instskip(SKIP_4) | instid1(SALU_CYCLE_1)
	s_cmp_lg_u32 s3, 0
	s_mov_b32 s3, s17
	s_cselect_b32 s11, s14, s25
	s_cselect_b32 s10, s9, s24
	s_xor_b64 s[12:13], s[12:13], 0
	s_xor_b64 s[10:11], s[10:11], s[12:13]
	s_delay_alu instid0(SALU_CYCLE_1)
	s_sub_nc_u64 s[20:21], s[10:11], s[12:13]
	s_and_not1_b32 vcc_lo, exec_lo, s3
	s_cbranch_vccnz .LBB36_3
.LBB36_2:
	v_cvt_f32_u32_e32 v1, s16
	s_sub_co_i32 s7, 0, s16
	s_mov_b32 s21, 0
	s_delay_alu instid0(VALU_DEP_1) | instskip(SKIP_1) | instid1(TRANS32_DEP_1)
	v_rcp_iflag_f32_e32 v1, v1
	v_nop
	v_mul_f32_e32 v1, 0x4f7ffffe, v1
	s_delay_alu instid0(VALU_DEP_1) | instskip(NEXT) | instid1(VALU_DEP_1)
	v_cvt_u32_f32_e32 v1, v1
	v_readfirstlane_b32 s3, v1
	s_mul_i32 s7, s7, s3
	s_delay_alu instid0(SALU_CYCLE_1) | instskip(NEXT) | instid1(SALU_CYCLE_1)
	s_mul_hi_u32 s7, s3, s7
	s_add_co_i32 s3, s3, s7
	s_delay_alu instid0(SALU_CYCLE_1) | instskip(NEXT) | instid1(SALU_CYCLE_1)
	s_mul_hi_u32 s3, s8, s3
	s_mul_i32 s7, s3, s16
	s_delay_alu instid0(SALU_CYCLE_1)
	s_sub_co_i32 s7, s8, s7
	s_add_co_i32 s8, s3, 1
	s_sub_co_i32 s9, s7, s16
	s_cmp_ge_u32 s7, s16
	s_cselect_b32 s3, s8, s3
	s_cselect_b32 s7, s9, s7
	s_add_co_i32 s8, s3, 1
	s_cmp_ge_u32 s7, s16
	s_cselect_b32 s20, s8, s3
.LBB36_3:
	s_add_co_i32 s8, s2, 1
	s_delay_alu instid0(SALU_CYCLE_1) | instskip(NEXT) | instid1(SALU_CYCLE_1)
	s_ashr_i32 s9, s8, 31
	s_mul_u64 s[8:9], s[18:19], s[8:9]
	s_delay_alu instid0(SALU_CYCLE_1) | instskip(NEXT) | instid1(SALU_CYCLE_1)
	s_and_b64 s[10:11], s[8:9], 0xffffffff00000000
	s_cmp_lg_u64 s[10:11], 0
	s_cbranch_scc0 .LBB36_22
; %bb.4:
	s_add_nc_u64 s[10:11], s[16:17], 0
	s_delay_alu instid0(SALU_CYCLE_1) | instskip(SKIP_4) | instid1(SALU_CYCLE_2)
	s_xor_b64 s[12:13], s[10:11], 0
	s_mov_b32 s11, 0
	s_cvt_f32_u32 s3, s12
	s_cvt_f32_u32 s7, s13
	s_sub_nc_u64 s[24:25], 0, s[12:13]
	s_fmamk_f32 s3, s7, 0x4f800000, s3
	s_delay_alu instid0(SALU_CYCLE_3) | instskip(NEXT) | instid1(TRANS32_DEP_1)
	v_s_rcp_f32 s3, s3
	s_mul_f32 s3, s3, 0x5f7ffffc
	s_delay_alu instid0(SALU_CYCLE_3) | instskip(NEXT) | instid1(SALU_CYCLE_3)
	s_mul_f32 s7, s3, 0x2f800000
	s_trunc_f32 s7, s7
	s_delay_alu instid0(SALU_CYCLE_3) | instskip(SKIP_1) | instid1(SALU_CYCLE_2)
	s_fmamk_f32 s3, s7, 0xcf800000, s3
	s_cvt_u32_f32 s23, s7
	s_cvt_u32_f32 s22, s3
	s_delay_alu instid0(SALU_CYCLE_3) | instskip(NEXT) | instid1(SALU_CYCLE_1)
	s_mul_u64 s[26:27], s[24:25], s[22:23]
	s_mul_hi_u32 s29, s22, s27
	s_mul_i32 s28, s22, s27
	s_mul_hi_u32 s10, s22, s26
	s_mul_i32 s7, s23, s26
	s_add_nc_u64 s[28:29], s[10:11], s[28:29]
	s_mul_hi_u32 s3, s23, s26
	s_mul_hi_u32 s14, s23, s27
	s_add_co_u32 s7, s28, s7
	s_add_co_ci_u32 s10, s29, s3
	s_mul_i32 s26, s23, s27
	s_add_co_ci_u32 s27, s14, 0
	s_delay_alu instid0(SALU_CYCLE_1) | instskip(NEXT) | instid1(SALU_CYCLE_1)
	s_add_nc_u64 s[26:27], s[10:11], s[26:27]
	s_add_co_u32 s22, s22, s26
	s_cselect_b32 s3, -1, 0
	s_delay_alu instid0(SALU_CYCLE_1) | instskip(SKIP_1) | instid1(SALU_CYCLE_1)
	s_cmp_lg_u32 s3, 0
	s_add_co_ci_u32 s23, s23, s27
	s_mul_u64 s[24:25], s[24:25], s[22:23]
	s_delay_alu instid0(SALU_CYCLE_1)
	s_mul_hi_u32 s27, s22, s25
	s_mul_i32 s26, s22, s25
	s_mul_hi_u32 s10, s22, s24
	s_mul_i32 s7, s23, s24
	s_add_nc_u64 s[26:27], s[10:11], s[26:27]
	s_mul_hi_u32 s3, s23, s24
	s_mul_hi_u32 s14, s23, s25
	s_add_co_u32 s7, s26, s7
	s_add_co_ci_u32 s10, s27, s3
	s_mul_i32 s24, s23, s25
	s_add_co_ci_u32 s25, s14, 0
	s_delay_alu instid0(SALU_CYCLE_1) | instskip(NEXT) | instid1(SALU_CYCLE_1)
	s_add_nc_u64 s[24:25], s[10:11], s[24:25]
	s_add_co_u32 s3, s22, s24
	s_cselect_b32 s7, -1, 0
	s_delay_alu instid0(SALU_CYCLE_1) | instskip(SKIP_2) | instid1(SALU_CYCLE_1)
	s_cmp_lg_u32 s7, 0
	s_add_co_ci_u32 s7, s23, s25
	s_ashr_i32 s22, s9, 31
	s_mov_b32 s23, s22
	s_delay_alu instid0(SALU_CYCLE_1) | instskip(NEXT) | instid1(SALU_CYCLE_1)
	s_add_nc_u64 s[24:25], s[8:9], s[22:23]
	s_xor_b64 s[24:25], s[24:25], s[22:23]
	s_delay_alu instid0(SALU_CYCLE_1)
	s_mul_hi_u32 s27, s24, s7
	s_mul_i32 s26, s24, s7
	s_mul_hi_u32 s10, s24, s3
	s_mul_hi_u32 s14, s25, s3
	s_mul_i32 s3, s25, s3
	s_add_nc_u64 s[26:27], s[10:11], s[26:27]
	s_mul_hi_u32 s9, s25, s7
	s_add_co_u32 s3, s26, s3
	s_add_co_ci_u32 s10, s27, s14
	s_mul_i32 s28, s25, s7
	s_add_co_ci_u32 s29, s9, 0
	s_delay_alu instid0(SALU_CYCLE_1) | instskip(NEXT) | instid1(SALU_CYCLE_1)
	s_add_nc_u64 s[26:27], s[10:11], s[28:29]
	s_and_b64 s[28:29], s[26:27], 0xffffffff00000000
	s_delay_alu instid0(SALU_CYCLE_1) | instskip(NEXT) | instid1(SALU_CYCLE_1)
	s_or_b32 s28, s28, s26
	s_mul_u64 s[26:27], s[12:13], s[28:29]
	s_add_nc_u64 s[30:31], s[28:29], 1
	s_sub_co_u32 s3, s24, s26
	s_cselect_b32 s7, -1, 0
	s_sub_co_i32 s9, s25, s27
	s_cmp_lg_u32 s7, 0
	s_add_nc_u64 s[34:35], s[28:29], 2
	s_sub_co_ci_u32 s9, s9, s13
	s_sub_co_u32 s10, s3, s12
	s_cselect_b32 s14, -1, 0
	s_delay_alu instid0(SALU_CYCLE_1) | instskip(SKIP_1) | instid1(SALU_CYCLE_1)
	s_cmp_lg_u32 s14, 0
	s_sub_co_ci_u32 s9, s9, 0
	s_cmp_ge_u32 s9, s13
	s_cselect_b32 s14, -1, 0
	s_cmp_ge_u32 s10, s12
	s_cselect_b32 s10, -1, 0
	s_cmp_eq_u32 s9, s13
	s_cselect_b32 s9, s10, s14
	s_delay_alu instid0(SALU_CYCLE_1) | instskip(SKIP_4) | instid1(SALU_CYCLE_1)
	s_cmp_lg_u32 s9, 0
	s_cselect_b32 s9, s34, s30
	s_cselect_b32 s10, s35, s31
	s_cmp_lg_u32 s7, 0
	s_sub_co_ci_u32 s7, s25, s27
	s_cmp_ge_u32 s7, s13
	s_cselect_b32 s14, -1, 0
	s_cmp_ge_u32 s3, s12
	s_cselect_b32 s3, -1, 0
	s_cmp_eq_u32 s7, s13
	s_cselect_b32 s3, s3, s14
	s_delay_alu instid0(SALU_CYCLE_1) | instskip(SKIP_3) | instid1(SALU_CYCLE_1)
	s_cmp_lg_u32 s3, 0
	s_cselect_b32 s13, s10, s29
	s_cselect_b32 s12, s9, s28
	s_xor_b64 s[22:23], s[22:23], 0
	s_xor_b64 s[12:13], s[12:13], s[22:23]
	s_delay_alu instid0(SALU_CYCLE_1)
	s_sub_nc_u64 s[24:25], s[12:13], s[22:23]
	s_load_b96 s[12:14], s[0:1], 0x44
	s_cbranch_execnz .LBB36_6
.LBB36_5:
	v_cvt_f32_u32_e32 v1, s16
	s_sub_co_i32 s7, 0, s16
	s_delay_alu instid0(VALU_DEP_1) | instskip(SKIP_1) | instid1(TRANS32_DEP_1)
	v_rcp_iflag_f32_e32 v1, v1
	v_nop
	v_mul_f32_e32 v1, 0x4f7ffffe, v1
	s_delay_alu instid0(VALU_DEP_1) | instskip(NEXT) | instid1(VALU_DEP_1)
	v_cvt_u32_f32_e32 v1, v1
	v_readfirstlane_b32 s3, v1
	s_mul_i32 s7, s7, s3
	s_delay_alu instid0(SALU_CYCLE_1) | instskip(NEXT) | instid1(SALU_CYCLE_1)
	s_mul_hi_u32 s7, s3, s7
	s_add_co_i32 s3, s3, s7
	s_delay_alu instid0(SALU_CYCLE_1) | instskip(NEXT) | instid1(SALU_CYCLE_1)
	s_mul_hi_u32 s3, s8, s3
	s_mul_i32 s7, s3, s16
	s_delay_alu instid0(SALU_CYCLE_1)
	s_sub_co_i32 s7, s8, s7
	s_add_co_i32 s8, s3, 1
	s_sub_co_i32 s9, s7, s16
	s_cmp_ge_u32 s7, s16
	s_cselect_b32 s3, s8, s3
	s_cselect_b32 s7, s9, s7
	s_add_co_i32 s8, s3, 1
	s_cmp_ge_u32 s7, s16
	s_cselect_b32 s24, s8, s3
.LBB36_6:
	s_delay_alu instid0(SALU_CYCLE_1)
	s_cmp_eq_u32 s20, s24
	s_mov_b64 s[8:9], 0xffffffff
	s_cselect_b32 s3, -1, 0
	s_and_b64 s[8:9], s[20:21], s[8:9]
	s_mov_b32 s23, 0
	s_wait_kmcnt 0x0
	s_mov_b32 s22, s12
	s_mov_b32 s25, s23
	s_mul_u64 s[10:11], s[8:9], s[22:23]
	s_delay_alu instid0(SALU_CYCLE_1) | instskip(SKIP_2) | instid1(SALU_CYCLE_1)
	s_add_co_i32 s7, s11, s20
	s_mul_u64 s[10:11], s[24:25], s[22:23]
	s_lshr_b32 s12, s7, s13
	s_mul_i32 s7, s12, s14
	s_delay_alu instid0(SALU_CYCLE_1) | instskip(SKIP_2) | instid1(SALU_CYCLE_1)
	s_cmp_eq_u32 s7, s20
	s_cselect_b32 s7, -1, 0
	s_add_co_i32 s10, s11, s24
	s_lshr_b32 s10, s10, s13
	s_delay_alu instid0(SALU_CYCLE_1)
	s_cmp_eq_u32 s12, s10
	s_mul_i32 s10, s10, s14
	s_cselect_b32 s11, -1, 0
	s_cmp_lg_u32 s10, s24
	s_cselect_b32 s10, -1, 0
	s_or_b32 s3, s3, s7
	s_and_b32 s10, s11, s10
	s_delay_alu instid0(SALU_CYCLE_1) | instskip(NEXT) | instid1(SALU_CYCLE_1)
	s_or_b32 s3, s3, s10
	s_and_b32 vcc_lo, exec_lo, s3
	s_cbranch_vccnz .LBB36_24
; %bb.7:
	s_load_b256 s[24:31], s[0:1], 0x20
	s_bfe_u32 s7, ttmp6, 0x40014
	s_bfe_u32 s33, ttmp6, 0x40010
	s_lshr_b32 s3, ttmp7, 16
	s_add_co_i32 s7, s7, 1
	s_and_b32 s21, ttmp7, 0xffff
	s_add_co_i32 s33, s33, 1
	s_bfe_u32 s10, ttmp6, 0x40008
	s_mul_i32 s7, s3, s7
	s_bfe_u32 s34, ttmp6, 0x40004
	s_mul_i32 s33, s21, s33
	s_mov_b32 s11, s23
	s_add_co_i32 s35, s10, s7
	s_add_co_i32 s34, s34, s33
	s_cmp_eq_u32 s15, 0
	s_cselect_b32 s7, s21, s34
	s_cselect_b32 s3, s3, s35
	s_wait_kmcnt 0x0
	s_mov_b32 s10, s24
	s_delay_alu instid0(SALU_CYCLE_1) | instskip(NEXT) | instid1(SALU_CYCLE_1)
	s_mul_u64 s[8:9], s[8:9], s[10:11]
	s_add_co_i32 s8, s9, s20
	s_load_b32 s9, s[0:1], 0x40
	s_lshr_b32 s8, s8, s25
	s_delay_alu instid0(SALU_CYCLE_1) | instskip(NEXT) | instid1(SALU_CYCLE_1)
	s_mul_i32 s10, s8, s26
	s_sub_co_i32 s10, s20, s10
	s_delay_alu instid0(SALU_CYCLE_1) | instskip(NEXT) | instid1(SALU_CYCLE_1)
	s_mul_hi_u32 s11, s10, s27
	s_add_co_i32 s11, s10, s11
	s_delay_alu instid0(SALU_CYCLE_1) | instskip(NEXT) | instid1(SALU_CYCLE_1)
	s_lshr_b32 s15, s11, s28
	s_mul_i32 s11, s15, s29
	s_delay_alu instid0(SALU_CYCLE_1) | instskip(NEXT) | instid1(SALU_CYCLE_1)
	s_sub_co_i32 s10, s10, s11
	s_mul_hi_u32 s11, s10, s30
	s_delay_alu instid0(SALU_CYCLE_1) | instskip(NEXT) | instid1(SALU_CYCLE_1)
	s_add_co_i32 s11, s10, s11
	s_lshr_b32 s26, s11, s31
	s_mov_b32 s11, s23
	s_wait_kmcnt 0x0
	s_mul_i32 s9, s26, s9
	s_delay_alu instid0(SALU_CYCLE_1) | instskip(NEXT) | instid1(SALU_CYCLE_1)
	s_sub_co_i32 s10, s10, s9
	s_mul_u64 s[24:25], s[10:11], s[22:23]
	s_lshl_b32 s24, s26, 1
	s_add_co_i32 s9, s10, s25
	s_delay_alu instid0(SALU_CYCLE_1) | instskip(NEXT) | instid1(SALU_CYCLE_1)
	s_lshr_b32 s21, s9, s13
	s_lshl_b32 s9, s21, 5
	s_delay_alu instid0(SALU_CYCLE_1) | instskip(NEXT) | instid1(SALU_CYCLE_1)
	s_add_co_i32 s9, s9, s7
	s_cmp_lt_i32 s9, s4
	s_cselect_b32 s9, -1, 0
	s_add_co_i32 s10, s24, s3
	s_delay_alu instid0(SALU_CYCLE_1) | instskip(SKIP_1) | instid1(SALU_CYCLE_1)
	s_cmp_lt_i32 s10, s6
	s_cselect_b32 s10, -1, 0
	s_and_b32 s9, s9, s10
	s_delay_alu instid0(SALU_CYCLE_1)
	s_and_not1_b32 vcc_lo, exec_lo, s9
	s_cbranch_vccnz .LBB36_24
; %bb.8:
	s_mul_i32 s4, s8, s4
	s_load_b128 s[8:11], s[0:1], 0x0
	s_wait_xcnt 0x0
	s_add_co_i32 s0, s4, s7
	s_mul_i32 s15, s15, s6
	s_mul_i32 s0, s0, s5
	;; [unrolled: 1-line block ×3, first 2 shown]
	s_add_co_i32 s0, s0, s3
	s_lshl_b32 s1, s1, 11
	s_add_co_i32 s0, s0, s15
	s_lshl_b32 s15, s7, 1
	s_add_co_i32 s0, s0, s24
	s_add_co_i32 s15, s15, s3
	s_lshl_b32 s0, s0, 6
	v_lshl_or_b32 v6, s15, 6, v0
	s_add_co_i32 s1, s1, s0
	v_cvt_f32_u32_e32 v4, s16
	v_or_b32_e32 v2, s1, v0
	s_add_nc_u64 s[0:1], s[16:17], 0
	s_lshl_b32 s24, s16, 8
	s_xor_b64 s[6:7], s[0:1], 0
	s_lshl_b32 s0, s2, 6
	s_cvt_f32_u32 s3, s6
	s_add_co_i32 s0, s15, s0
	s_cvt_f32_u32 s4, s7
	s_ashr_i32 s1, s0, 31
	v_rcp_iflag_f32_e32 v4, v4
	s_lshl_b64 s[0:1], s[0:1], 3
	s_fmamk_f32 s3, s4, 0x4f800000, s3
	s_wait_kmcnt 0x0
	s_add_nc_u64 s[0:1], s[10:11], s[0:1]
	s_mov_b32 s25, 0
	s_load_b64 s[28:29], s[0:1], 0x0
	v_s_rcp_f32 s3, s3
	s_wait_xcnt 0x0
	s_lshl_b64 s[0:1], s[24:25], 2
	s_add_co_i32 s36, s2, -1
	s_add_nc_u64 s[26:27], s[10:11], s[0:1]
	s_sub_nc_u64 s[34:35], 0, s[6:7]
	v_mul_f32_e32 v4, 0x4f7ffffe, v4
	s_delay_alu instid0(TRANS32_DEP_1) | instskip(NEXT) | instid1(VALU_DEP_1)
	s_mul_f32 s3, s3, 0x5f7ffffc
	v_cvt_u32_f32_e32 v7, v4
	s_delay_alu instid0(SALU_CYCLE_2) | instskip(NEXT) | instid1(SALU_CYCLE_3)
	s_mul_f32 s4, s3, 0x2f800000
	s_trunc_f32 s4, s4
	s_wait_kmcnt 0x0
	v_mov_b32_e32 v0, s29
	global_load_b32 v1, v2, s[8:9] scale_offset
	v_ashrrev_i32_e32 v3, 31, v2
	s_fmamk_f32 s0, s4, 0xcf800000, s3
	s_cvt_u32_f32 s31, s4
	s_wait_xcnt 0x0
	s_delay_alu instid0(VALU_DEP_1)
	v_lshl_add_u64 v[2:3], v[2:3], 2, s[8:9]
	s_cvt_u32_f32 s30, s0
	s_mov_b64 s[8:9], 0xffffffff
.LBB36_9:                               ; =>This Inner Loop Header: Depth=1
	s_ashr_i32 s37, s36, 31
                                        ; implicit-def: $sgpr40_sgpr41
	s_delay_alu instid0(SALU_CYCLE_1) | instskip(NEXT) | instid1(SALU_CYCLE_1)
	s_mul_u64 s[0:1], s[36:37], s[18:19]
	s_and_b64 s[2:3], s[0:1], 0xffffffff00000000
	s_delay_alu instid0(SALU_CYCLE_1)
	s_cmp_lg_u64 s[2:3], 0
	s_mov_b32 s2, -1
	s_cbranch_scc0 .LBB36_11
; %bb.10:                               ;   in Loop: Header=BB36_9 Depth=1
	s_mul_u64 s[2:3], s[34:35], s[30:31]
	s_delay_alu instid0(SALU_CYCLE_1)
	s_mul_hi_u32 s5, s30, s3
	s_mul_i32 s4, s30, s3
	s_mul_hi_u32 s24, s30, s2
	s_mul_hi_u32 s17, s31, s2
	s_add_nc_u64 s[4:5], s[24:25], s[4:5]
	s_mul_i32 s2, s31, s2
	s_mul_hi_u32 s21, s31, s3
	s_add_co_u32 s2, s4, s2
	s_add_co_ci_u32 s24, s5, s17
	s_add_co_ci_u32 s5, s21, 0
	s_mul_i32 s4, s31, s3
	s_delay_alu instid0(SALU_CYCLE_1) | instskip(NEXT) | instid1(SALU_CYCLE_1)
	s_add_nc_u64 s[2:3], s[24:25], s[4:5]
	s_add_co_u32 s2, s30, s2
	s_cselect_b32 s4, -1, 0
	s_delay_alu instid0(SALU_CYCLE_1) | instskip(SKIP_1) | instid1(SALU_CYCLE_1)
	s_cmp_lg_u32 s4, 0
	s_add_co_ci_u32 s3, s31, s3
	s_mul_u64 s[4:5], s[34:35], s[2:3]
	s_delay_alu instid0(SALU_CYCLE_1)
	s_mul_hi_u32 s39, s2, s5
	s_mul_i32 s38, s2, s5
	s_mul_hi_u32 s24, s2, s4
	s_mul_hi_u32 s17, s3, s4
	s_mul_i32 s4, s3, s4
	s_add_nc_u64 s[38:39], s[24:25], s[38:39]
	s_mul_hi_u32 s21, s3, s5
	s_add_co_u32 s4, s38, s4
	s_add_co_ci_u32 s24, s39, s17
	s_mul_i32 s4, s3, s5
	s_add_co_ci_u32 s5, s21, 0
	s_delay_alu instid0(SALU_CYCLE_1) | instskip(NEXT) | instid1(SALU_CYCLE_1)
	s_add_nc_u64 s[4:5], s[24:25], s[4:5]
	s_add_co_u32 s17, s2, s4
	s_cselect_b32 s2, -1, 0
	s_delay_alu instid0(SALU_CYCLE_1) | instskip(SKIP_2) | instid1(SALU_CYCLE_1)
	s_cmp_lg_u32 s2, 0
	s_add_co_ci_u32 s21, s3, s5
	s_ashr_i32 s2, s1, 31
	s_mov_b32 s3, s2
	s_delay_alu instid0(SALU_CYCLE_1) | instskip(NEXT) | instid1(SALU_CYCLE_1)
	s_add_nc_u64 s[4:5], s[0:1], s[2:3]
	s_xor_b64 s[4:5], s[4:5], s[2:3]
	s_delay_alu instid0(SALU_CYCLE_1)
	s_mul_hi_u32 s39, s4, s21
	s_mul_i32 s38, s4, s21
	s_mul_hi_u32 s24, s4, s17
	s_mul_hi_u32 s29, s5, s17
	s_mul_i32 s17, s5, s17
	s_add_nc_u64 s[38:39], s[24:25], s[38:39]
	s_mul_hi_u32 s1, s5, s21
	s_add_co_u32 s17, s38, s17
	s_add_co_ci_u32 s24, s39, s29
	s_mul_i32 s40, s5, s21
	s_add_co_ci_u32 s41, s1, 0
	s_delay_alu instid0(SALU_CYCLE_1) | instskip(NEXT) | instid1(SALU_CYCLE_1)
	s_add_nc_u64 s[38:39], s[24:25], s[40:41]
	s_and_b64 s[40:41], s[38:39], 0xffffffff00000000
	s_delay_alu instid0(SALU_CYCLE_1) | instskip(NEXT) | instid1(SALU_CYCLE_1)
	s_or_b32 s40, s40, s38
	s_mul_u64 s[38:39], s[6:7], s[40:41]
	s_add_nc_u64 s[42:43], s[40:41], 1
	s_sub_co_u32 s1, s4, s38
	s_cselect_b32 s4, -1, 0
	s_sub_co_i32 s17, s5, s39
	s_cmp_lg_u32 s4, 0
	s_add_nc_u64 s[44:45], s[40:41], 2
	s_sub_co_ci_u32 s17, s17, s7
	s_sub_co_u32 s21, s1, s6
	s_cselect_b32 s24, -1, 0
	s_delay_alu instid0(SALU_CYCLE_1) | instskip(SKIP_1) | instid1(SALU_CYCLE_1)
	s_cmp_lg_u32 s24, 0
	s_sub_co_ci_u32 s17, s17, 0
	s_cmp_ge_u32 s17, s7
	s_cselect_b32 s24, -1, 0
	s_cmp_ge_u32 s21, s6
	s_cselect_b32 s21, -1, 0
	s_cmp_eq_u32 s17, s7
	s_cselect_b32 s17, s21, s24
	s_delay_alu instid0(SALU_CYCLE_1) | instskip(SKIP_4) | instid1(SALU_CYCLE_1)
	s_cmp_lg_u32 s17, 0
	s_cselect_b32 s17, s44, s42
	s_cselect_b32 s21, s45, s43
	s_cmp_lg_u32 s4, 0
	s_sub_co_ci_u32 s4, s5, s39
	s_cmp_ge_u32 s4, s7
	s_cselect_b32 s5, -1, 0
	s_cmp_ge_u32 s1, s6
	s_cselect_b32 s1, -1, 0
	s_cmp_eq_u32 s4, s7
	s_cselect_b32 s1, s1, s5
	s_delay_alu instid0(SALU_CYCLE_1) | instskip(SKIP_3) | instid1(SALU_CYCLE_1)
	s_cmp_lg_u32 s1, 0
	s_cselect_b32 s5, s21, s41
	s_cselect_b32 s4, s17, s40
	s_xor_b64 s[2:3], s[2:3], 0
	s_xor_b64 s[4:5], s[4:5], s[2:3]
	s_delay_alu instid0(SALU_CYCLE_1)
	s_sub_nc_u64 s[40:41], s[4:5], s[2:3]
	s_mov_b32 s2, 0
.LBB36_11:                              ;   in Loop: Header=BB36_9 Depth=1
	s_delay_alu instid0(SALU_CYCLE_1)
	s_and_not1_b32 vcc_lo, exec_lo, s2
	s_cbranch_vccnz .LBB36_13
; %bb.12:                               ;   in Loop: Header=BB36_9 Depth=1
	v_readfirstlane_b32 s1, v7
	s_sub_co_i32 s2, 0, s16
	s_delay_alu instid0(SALU_CYCLE_1) | instskip(NEXT) | instid1(SALU_CYCLE_1)
	s_mul_i32 s2, s2, s1
	s_mul_hi_u32 s2, s1, s2
	s_delay_alu instid0(SALU_CYCLE_1) | instskip(NEXT) | instid1(SALU_CYCLE_1)
	s_add_co_i32 s1, s1, s2
	s_mul_hi_u32 s1, s0, s1
	s_delay_alu instid0(SALU_CYCLE_1) | instskip(NEXT) | instid1(SALU_CYCLE_1)
	s_mul_i32 s2, s1, s16
	s_sub_co_i32 s0, s0, s2
	s_add_co_i32 s2, s1, 1
	s_sub_co_i32 s3, s0, s16
	s_cmp_ge_u32 s0, s16
	s_cselect_b32 s1, s2, s1
	s_cselect_b32 s0, s3, s0
	s_add_co_i32 s2, s1, 1
	s_cmp_ge_u32 s0, s16
	s_cselect_b32 s24, s2, s1
	s_delay_alu instid0(SALU_CYCLE_1)
	s_mov_b64 s[40:41], s[24:25]
.LBB36_13:                              ;   in Loop: Header=BB36_9 Depth=1
	s_delay_alu instid0(SALU_CYCLE_1)
	s_cmp_lg_u32 s20, s40
	s_mov_b32 s0, -1
                                        ; implicit-def: $vgpr4_vgpr5
                                        ; implicit-def: $sgpr24
                                        ; implicit-def: $sgpr17
                                        ; implicit-def: $sgpr21
                                        ; implicit-def: $sgpr29
	s_cbranch_scc0 .LBB36_18
; %bb.14:                               ;   in Loop: Header=BB36_9 Depth=1
	s_add_co_i32 s0, s36, s16
	v_max_num_f32_e64 v4, s28, s28
	s_lshl_b32 s0, s0, 6
	s_mov_b32 s29, s20
	s_add_co_i32 s0, s0, s15
	s_load_b64 s[38:39], s[10:11], s0 offset:0x0 scale_offset
	s_wait_xcnt 0x0
	v_readfirstlane_b32 s0, v4
	s_wait_kmcnt 0x0
	v_max_num_f32_e64 v5, s38, s38
	s_delay_alu instid0(VALU_DEP_1) | instskip(SKIP_1) | instid1(SALU_CYCLE_3)
	v_readfirstlane_b32 s1, v5
	s_max_num_f32 s17, s0, s1
	s_sub_f32 s33, s28, s17
	s_sub_f32 s37, s38, s17
	s_delay_alu instid0(SALU_CYCLE_2)
	s_cmp_nlt_f32 s33, 0xc2ce8ed0
	s_cselect_b32 s1, -1, 0
	s_cmp_ngt_f32 s33, 0x42b17218
	s_cselect_b32 s2, -1, 0
	s_cmp_ge_f32 s33, 0xc1a00000
	s_cselect_b32 s0, -1, 0
	s_cmp_nlt_f32 s37, 0xc2ce8ed0
	s_cselect_b32 s3, -1, 0
	s_cmp_ngt_f32 s37, 0x42b17218
	s_cselect_b32 s4, -1, 0
	s_cmp_ge_f32 s37, 0xc1a00000
	s_cselect_b32 s5, -1, 0
	s_and_b64 s[42:43], s[40:41], s[8:9]
	s_delay_alu instid0(SALU_CYCLE_1) | instskip(NEXT) | instid1(SALU_CYCLE_1)
	s_mul_u64 s[42:43], s[42:43], s[22:23]
	s_add_co_i32 s21, s43, s40
	s_delay_alu instid0(SALU_CYCLE_1) | instskip(NEXT) | instid1(SALU_CYCLE_1)
	s_lshr_b32 s21, s21, s13
	s_mul_i32 s24, s21, s14
	s_delay_alu instid0(SALU_CYCLE_1) | instskip(SKIP_3) | instid1(SALU_CYCLE_1)
	s_cmp_eq_u32 s24, s40
	s_cselect_b32 s24, -1, 0
	s_cmp_lt_u32 s21, s12
	s_cselect_b32 s21, -1, 0
	s_or_b32 s21, s21, s24
	s_mov_b32 s24, -1
	s_and_b32 vcc_lo, exec_lo, s21
	s_mov_b32 s21, s36
	s_cbranch_vccnz .LBB36_16
; %bb.15:                               ;   in Loop: Header=BB36_9 Depth=1
	s_add_co_i32 s21, s36, -1
	s_mov_b32 s24, 0
	s_mov_b32 s29, s40
.LBB36_16:                              ;   in Loop: Header=BB36_9 Depth=1
	v_lshl_add_u32 v4, s36, 12, v6
	s_mul_f32 s40, s33, 0x3fb8aa3b
	s_mul_f32 s38, s37, 0x3fb8aa3b
	s_delay_alu instid0(SALU_CYCLE_2)
	s_xor_b32 s42, s40, 0x80000000
	global_load_b32 v5, v4, s[26:27] scale_offset
	s_fmamk_f32 s42, s33, 0x3fb8aa3b, s42
	s_rndne_f32 s44, s40
	s_xor_b32 s41, s38, 0x80000000
	s_rndne_f32 s43, s38
	s_fmamk_f32 s33, s33, 0x32a5705f, s42
	s_sub_f32 s40, s40, s44
	s_fmamk_f32 s41, s37, 0x3fb8aa3b, s41
	s_sub_f32 s38, s38, s43
	s_delay_alu instid0(SALU_CYCLE_1) | instskip(NEXT) | instid1(SALU_CYCLE_1)
	s_add_f32 s33, s40, s33
	s_fmamk_f32 s37, s37, 0x32a5705f, s41
	s_cvt_i32_f32 s40, s44
	s_delay_alu instid0(SALU_CYCLE_1) | instskip(NEXT) | instid1(SALU_CYCLE_1)
	v_s_exp_f32 s33, s33
	s_add_f32 s37, s38, s37
	s_cvt_i32_f32 s38, s43
	s_delay_alu instid0(SALU_CYCLE_2) | instskip(NEXT) | instid1(TRANS32_DEP_2)
	v_s_exp_f32 s37, s37
	v_ldexp_f32 v8, s33, s40
	s_wait_xcnt 0x0
	s_delay_alu instid0(TRANS32_DEP_1) | instskip(NEXT) | instid1(VALU_DEP_2)
	v_ldexp_f32 v4, s37, s38
	v_cndmask_b32_e64 v8, 0, v8, s1
	s_delay_alu instid0(VALU_DEP_1) | instskip(NEXT) | instid1(VALU_DEP_1)
	v_cndmask_b32_e64 v9, 0x7f800000, v8, s2
	v_dual_cndmask_b32 v4, 0, v4, s3 :: v_dual_cndmask_b32 v10, 0, v9, s0
	s_delay_alu instid0(VALU_DEP_1) | instskip(NEXT) | instid1(VALU_DEP_1)
	v_cndmask_b32_e64 v4, 0x7f800000, v4, s4
	v_dual_cndmask_b32 v8, 0, v4, s5 :: v_dual_mov_b32 v4, s39
	s_wait_loadcnt 0x0
	s_delay_alu instid0(VALU_DEP_1) | instskip(NEXT) | instid1(VALU_DEP_1)
	v_pk_mul_f32 v[4:5], v[4:5], v[8:9] op_sel_hi:[1,0]
	v_pk_fma_f32 v[4:5], v[0:1], v[10:11], v[4:5] op_sel_hi:[1,0,1]
	s_cbranch_execz .LBB36_19
.LBB36_17:                              ;   in Loop: Header=BB36_9 Depth=1
	s_and_not1_b32 vcc_lo, exec_lo, s24
	s_cbranch_vccnz .LBB36_20
	s_branch .LBB36_23
.LBB36_18:                              ;   in Loop: Header=BB36_9 Depth=1
	s_and_not1_b32 vcc_lo, exec_lo, s0
	s_cbranch_vccnz .LBB36_17
.LBB36_19:                              ;   in Loop: Header=BB36_9 Depth=1
	s_wait_loadcnt 0x0
	v_mov_b64_e32 v[4:5], v[0:1]
	s_add_co_i32 s21, s36, -1
	s_mov_b32 s29, s20
	s_mov_b32 s17, s28
	s_cbranch_execz .LBB36_23
.LBB36_20:                              ;   in Loop: Header=BB36_9 Depth=1
	s_wait_loadcnt 0x0
	s_delay_alu instid0(VALU_DEP_1)
	v_mov_b64_e32 v[0:1], v[4:5]
	s_mov_b32 s20, s29
	s_mov_b32 s36, s21
	;; [unrolled: 1-line block ×3, first 2 shown]
	s_branch .LBB36_9
.LBB36_21:
                                        ; implicit-def: $sgpr20_sgpr21
	s_branch .LBB36_2
.LBB36_22:
                                        ; implicit-def: $sgpr24_sgpr25
	s_load_b96 s[12:14], s[0:1], 0x44
	s_branch .LBB36_5
.LBB36_23:
	s_delay_alu instid0(VALU_DEP_1) | instskip(SKIP_1) | instid1(VALU_DEP_1)
	v_div_scale_f32 v0, null, v4, v4, v5
	s_wait_loadcnt 0x0
	v_rcp_f32_e32 v1, v0
	v_nop
	s_delay_alu instid0(TRANS32_DEP_1) | instskip(NEXT) | instid1(VALU_DEP_1)
	v_fma_f32 v6, -v0, v1, 1.0
	v_fmac_f32_e32 v1, v6, v1
	v_div_scale_f32 v6, vcc_lo, v5, v4, v5
	s_delay_alu instid0(VALU_DEP_1) | instskip(NEXT) | instid1(VALU_DEP_1)
	v_mul_f32_e32 v7, v6, v1
	v_fma_f32 v8, -v0, v7, v6
	s_delay_alu instid0(VALU_DEP_1) | instskip(NEXT) | instid1(VALU_DEP_1)
	v_fmac_f32_e32 v7, v8, v1
	v_fma_f32 v0, -v0, v7, v6
	s_delay_alu instid0(VALU_DEP_1) | instskip(NEXT) | instid1(VALU_DEP_1)
	v_div_fmas_f32 v0, v0, v1, v7
	v_div_fixup_f32 v0, v0, v4, v5
	global_store_b32 v[2:3], v0, off
.LBB36_24:
	s_endpgm
	.section	.rodata,"a",@progbits
	.p2align	6, 0x0
	.amdhsa_kernel _ZL33flash_attn_stream_k_fixup_generalILi64ELi32ELi2EEvPfPK15HIP_vector_typeIfLj2EEiiiiS1_IjLj3EES5_S5_S5_
		.amdhsa_group_segment_fixed_size 0
		.amdhsa_private_segment_fixed_size 0
		.amdhsa_kernarg_size 336
		.amdhsa_user_sgpr_count 2
		.amdhsa_user_sgpr_dispatch_ptr 0
		.amdhsa_user_sgpr_queue_ptr 0
		.amdhsa_user_sgpr_kernarg_segment_ptr 1
		.amdhsa_user_sgpr_dispatch_id 0
		.amdhsa_user_sgpr_kernarg_preload_length 0
		.amdhsa_user_sgpr_kernarg_preload_offset 0
		.amdhsa_user_sgpr_private_segment_size 0
		.amdhsa_wavefront_size32 1
		.amdhsa_uses_dynamic_stack 0
		.amdhsa_enable_private_segment 0
		.amdhsa_system_sgpr_workgroup_id_x 1
		.amdhsa_system_sgpr_workgroup_id_y 1
		.amdhsa_system_sgpr_workgroup_id_z 1
		.amdhsa_system_sgpr_workgroup_info 0
		.amdhsa_system_vgpr_workitem_id 0
		.amdhsa_next_free_vgpr 12
		.amdhsa_next_free_sgpr 46
		.amdhsa_named_barrier_count 0
		.amdhsa_reserve_vcc 1
		.amdhsa_float_round_mode_32 0
		.amdhsa_float_round_mode_16_64 0
		.amdhsa_float_denorm_mode_32 3
		.amdhsa_float_denorm_mode_16_64 3
		.amdhsa_fp16_overflow 0
		.amdhsa_memory_ordered 1
		.amdhsa_forward_progress 1
		.amdhsa_inst_pref_size 27
		.amdhsa_round_robin_scheduling 0
		.amdhsa_exception_fp_ieee_invalid_op 0
		.amdhsa_exception_fp_denorm_src 0
		.amdhsa_exception_fp_ieee_div_zero 0
		.amdhsa_exception_fp_ieee_overflow 0
		.amdhsa_exception_fp_ieee_underflow 0
		.amdhsa_exception_fp_ieee_inexact 0
		.amdhsa_exception_int_div_zero 0
	.end_amdhsa_kernel
	.section	.text._ZL33flash_attn_stream_k_fixup_generalILi64ELi32ELi2EEvPfPK15HIP_vector_typeIfLj2EEiiiiS1_IjLj3EES5_S5_S5_,"axG",@progbits,_ZL33flash_attn_stream_k_fixup_generalILi64ELi32ELi2EEvPfPK15HIP_vector_typeIfLj2EEiiiiS1_IjLj3EES5_S5_S5_,comdat
.Lfunc_end36:
	.size	_ZL33flash_attn_stream_k_fixup_generalILi64ELi32ELi2EEvPfPK15HIP_vector_typeIfLj2EEiiiiS1_IjLj3EES5_S5_S5_, .Lfunc_end36-_ZL33flash_attn_stream_k_fixup_generalILi64ELi32ELi2EEvPfPK15HIP_vector_typeIfLj2EEiiiiS1_IjLj3EES5_S5_S5_
                                        ; -- End function
	.set _ZL33flash_attn_stream_k_fixup_generalILi64ELi32ELi2EEvPfPK15HIP_vector_typeIfLj2EEiiiiS1_IjLj3EES5_S5_S5_.num_vgpr, 12
	.set _ZL33flash_attn_stream_k_fixup_generalILi64ELi32ELi2EEvPfPK15HIP_vector_typeIfLj2EEiiiiS1_IjLj3EES5_S5_S5_.num_agpr, 0
	.set _ZL33flash_attn_stream_k_fixup_generalILi64ELi32ELi2EEvPfPK15HIP_vector_typeIfLj2EEiiiiS1_IjLj3EES5_S5_S5_.numbered_sgpr, 46
	.set _ZL33flash_attn_stream_k_fixup_generalILi64ELi32ELi2EEvPfPK15HIP_vector_typeIfLj2EEiiiiS1_IjLj3EES5_S5_S5_.num_named_barrier, 0
	.set _ZL33flash_attn_stream_k_fixup_generalILi64ELi32ELi2EEvPfPK15HIP_vector_typeIfLj2EEiiiiS1_IjLj3EES5_S5_S5_.private_seg_size, 0
	.set _ZL33flash_attn_stream_k_fixup_generalILi64ELi32ELi2EEvPfPK15HIP_vector_typeIfLj2EEiiiiS1_IjLj3EES5_S5_S5_.uses_vcc, 1
	.set _ZL33flash_attn_stream_k_fixup_generalILi64ELi32ELi2EEvPfPK15HIP_vector_typeIfLj2EEiiiiS1_IjLj3EES5_S5_S5_.uses_flat_scratch, 0
	.set _ZL33flash_attn_stream_k_fixup_generalILi64ELi32ELi2EEvPfPK15HIP_vector_typeIfLj2EEiiiiS1_IjLj3EES5_S5_S5_.has_dyn_sized_stack, 0
	.set _ZL33flash_attn_stream_k_fixup_generalILi64ELi32ELi2EEvPfPK15HIP_vector_typeIfLj2EEiiiiS1_IjLj3EES5_S5_S5_.has_recursion, 0
	.set _ZL33flash_attn_stream_k_fixup_generalILi64ELi32ELi2EEvPfPK15HIP_vector_typeIfLj2EEiiiiS1_IjLj3EES5_S5_S5_.has_indirect_call, 0
	.section	.AMDGPU.csdata,"",@progbits
; Kernel info:
; codeLenInByte = 3360
; TotalNumSgprs: 48
; NumVgprs: 12
; ScratchSize: 0
; MemoryBound: 0
; FloatMode: 240
; IeeeMode: 1
; LDSByteSize: 0 bytes/workgroup (compile time only)
; SGPRBlocks: 0
; VGPRBlocks: 0
; NumSGPRsForWavesPerEU: 48
; NumVGPRsForWavesPerEU: 12
; NamedBarCnt: 0
; Occupancy: 16
; WaveLimiterHint : 0
; COMPUTE_PGM_RSRC2:SCRATCH_EN: 0
; COMPUTE_PGM_RSRC2:USER_SGPR: 2
; COMPUTE_PGM_RSRC2:TRAP_HANDLER: 0
; COMPUTE_PGM_RSRC2:TGID_X_EN: 1
; COMPUTE_PGM_RSRC2:TGID_Y_EN: 1
; COMPUTE_PGM_RSRC2:TGID_Z_EN: 1
; COMPUTE_PGM_RSRC2:TIDIG_COMP_CNT: 0
	.section	.text._ZL15flash_attn_tileILi64ELi64ELi16ELi2ELb0EEvPKcS1_S1_S1_S1_PKiPfP15HIP_vector_typeIfLj2EEffffjfiS5_IjLj3EEiiiiiiiiiiiliiliiiiil,"axG",@progbits,_ZL15flash_attn_tileILi64ELi64ELi16ELi2ELb0EEvPKcS1_S1_S1_S1_PKiPfP15HIP_vector_typeIfLj2EEffffjfiS5_IjLj3EEiiiiiiiiiiiliiliiiiil,comdat
	.globl	_ZL15flash_attn_tileILi64ELi64ELi16ELi2ELb0EEvPKcS1_S1_S1_S1_PKiPfP15HIP_vector_typeIfLj2EEffffjfiS5_IjLj3EEiiiiiiiiiiiliiliiiiil ; -- Begin function _ZL15flash_attn_tileILi64ELi64ELi16ELi2ELb0EEvPKcS1_S1_S1_S1_PKiPfP15HIP_vector_typeIfLj2EEffffjfiS5_IjLj3EEiiiiiiiiiiiliiliiiiil
	.p2align	8
	.type	_ZL15flash_attn_tileILi64ELi64ELi16ELi2ELb0EEvPKcS1_S1_S1_S1_PKiPfP15HIP_vector_typeIfLj2EEffffjfiS5_IjLj3EEiiiiiiiiiiiliiliiiiil,@function
_ZL15flash_attn_tileILi64ELi64ELi16ELi2ELb0EEvPKcS1_S1_S1_S1_PKiPfP15HIP_vector_typeIfLj2EEffffjfiS5_IjLj3EEiiiiiiiiiiiliiliiiiil: ; @_ZL15flash_attn_tileILi64ELi64ELi16ELi2ELb0EEvPKcS1_S1_S1_S1_PKiPfP15HIP_vector_typeIfLj2EEffffjfiS5_IjLj3EEiiiiiiiiiiiliiliiiiil
; %bb.0:
	s_clause 0x1
	s_load_b128 s[20:23], s[0:1], 0x5c
	s_load_b64 s[30:31], s[0:1], 0x80
	s_bfe_u32 s5, ttmp6, 0x40014
	s_lshr_b32 s4, ttmp7, 16
	s_add_co_i32 s5, s5, 1
	s_bfe_u32 s6, ttmp6, 0x40008
	s_mul_i32 s5, s4, s5
	s_getreg_b32 s36, hwreg(HW_REG_IB_STS2, 6, 4)
	s_add_co_i32 s6, s6, s5
	s_load_b64 s[38:39], s[0:1], 0xb8
	s_mov_b32 s37, 0
	s_mov_b64 s[34:35], 0
	s_wait_kmcnt 0x0
	s_lshr_b32 s2, s23, 31
	s_delay_alu instid0(SALU_CYCLE_1) | instskip(NEXT) | instid1(SALU_CYCLE_1)
	s_add_co_i32 s2, s23, s2
	s_ashr_i32 s2, s2, 1
	s_delay_alu instid0(SALU_CYCLE_1) | instskip(SKIP_1) | instid1(SALU_CYCLE_2)
	s_cvt_f32_u32 s3, s2
	s_sub_co_i32 s7, 0, s2
	v_rcp_iflag_f32_e32 v1, s3
	v_nop
	s_delay_alu instid0(TRANS32_DEP_1) | instskip(SKIP_1) | instid1(SALU_CYCLE_3)
	v_readfirstlane_b32 s3, v1
	s_mul_f32 s3, s3, 0x4f7ffffe
	s_cvt_u32_f32 s3, s3
	s_delay_alu instid0(SALU_CYCLE_3) | instskip(NEXT) | instid1(SALU_CYCLE_1)
	s_mul_i32 s7, s7, s3
	s_mul_hi_u32 s7, s3, s7
	s_delay_alu instid0(SALU_CYCLE_1) | instskip(SKIP_2) | instid1(SALU_CYCLE_1)
	s_add_co_i32 s3, s3, s7
	s_cmp_eq_u32 s36, 0
	s_cselect_b32 s4, s4, s6
	s_mul_hi_u32 s3, s4, s3
	s_delay_alu instid0(SALU_CYCLE_1) | instskip(SKIP_2) | instid1(SALU_CYCLE_1)
	s_mul_i32 s5, s3, s2
	s_add_co_i32 s6, s3, 1
	s_sub_co_i32 s5, s4, s5
	s_sub_co_i32 s7, s5, s2
	s_cmp_ge_u32 s5, s2
	s_cselect_b32 s3, s6, s3
	s_cselect_b32 s5, s7, s5
	s_add_co_i32 s6, s3, 1
	s_cmp_ge_u32 s5, s2
	s_cselect_b32 s28, s6, s3
	s_abs_i32 s3, s31
	s_lshl_b32 s4, s4, 1
	s_cvt_f32_u32 s2, s3
	s_sub_co_i32 s5, 0, s3
	s_mul_i32 s6, s28, s23
	s_abs_i32 s7, s23
	v_rcp_iflag_f32_e32 v1, s2
	v_nop
	s_delay_alu instid0(TRANS32_DEP_1) | instskip(SKIP_1) | instid1(SALU_CYCLE_3)
	v_readfirstlane_b32 s2, v1
	s_mul_f32 s2, s2, 0x4f7ffffe
	s_cvt_u32_f32 s2, s2
	s_delay_alu instid0(SALU_CYCLE_3) | instskip(NEXT) | instid1(SALU_CYCLE_1)
	s_mul_i32 s5, s5, s2
	s_mul_hi_u32 s5, s2, s5
	s_delay_alu instid0(SALU_CYCLE_1)
	s_add_co_i32 s5, s2, s5
	s_sub_co_i32 s2, s4, s6
	s_mul_hi_u32 s4, s7, s5
	s_xor_b32 s5, s23, s31
	s_mul_i32 s6, s4, s3
	s_ashr_i32 s24, s5, 31
	s_sub_co_i32 s5, s7, s6
	s_add_co_i32 s6, s4, 1
	s_sub_co_i32 s7, s5, s3
	s_cmp_ge_u32 s5, s3
	s_cselect_b32 s4, s6, s4
	s_cselect_b32 s5, s7, s5
	s_add_co_i32 s6, s4, 1
	s_cmp_ge_u32 s5, s3
	s_cselect_b32 s3, s6, s4
	s_load_b512 s[4:19], s[0:1], 0x0
	s_xor_b32 s3, s3, s24
	s_delay_alu instid0(SALU_CYCLE_1) | instskip(NEXT) | instid1(SALU_CYCLE_1)
	s_sub_co_i32 s27, s3, s24
	s_abs_i32 s3, s27
	s_delay_alu instid0(SALU_CYCLE_1) | instskip(NEXT) | instid1(SALU_CYCLE_3)
	s_cvt_f32_u32 s24, s3
	v_rcp_iflag_f32_e32 v1, s24
	v_nop
	s_delay_alu instid0(TRANS32_DEP_1)
	v_readfirstlane_b32 s29, v1
	s_wait_kmcnt 0x0
	s_cmp_eq_u64 s[10:11], 0
	s_cbranch_scc1 .LBB37_2
; %bb.1:
	s_abs_i32 s26, s38
	s_abs_i32 s31, s28
	s_cvt_f32_u32 s24, s26
	s_sub_co_i32 s25, 0, s26
	s_delay_alu instid0(SALU_CYCLE_2) | instskip(SKIP_1) | instid1(TRANS32_DEP_1)
	v_rcp_iflag_f32_e32 v1, s24
	v_nop
	v_readfirstlane_b32 s24, v1
	s_mul_f32 s24, s24, 0x4f7ffffe
	s_delay_alu instid0(SALU_CYCLE_3) | instskip(NEXT) | instid1(SALU_CYCLE_3)
	s_cvt_u32_f32 s24, s24
	s_mul_i32 s25, s25, s24
	s_delay_alu instid0(SALU_CYCLE_1) | instskip(NEXT) | instid1(SALU_CYCLE_1)
	s_mul_hi_u32 s25, s24, s25
	s_add_co_i32 s24, s24, s25
	s_delay_alu instid0(SALU_CYCLE_1) | instskip(SKIP_2) | instid1(SALU_CYCLE_1)
	s_mul_hi_u32 s33, s31, s24
	s_load_b64 s[24:25], s[0:1], 0xc8
	s_mul_i32 s33, s33, s26
	s_sub_co_i32 s31, s31, s33
	s_ashr_i32 s33, s28, 31
	s_sub_co_i32 s34, s31, s26
	s_cmp_ge_u32 s31, s26
	s_cselect_b32 s31, s34, s31
	s_delay_alu instid0(SALU_CYCLE_1) | instskip(SKIP_2) | instid1(SALU_CYCLE_1)
	s_sub_co_i32 s34, s31, s26
	s_cmp_ge_u32 s31, s26
	s_cselect_b32 s26, s34, s31
	s_xor_b32 s26, s26, s33
	s_delay_alu instid0(SALU_CYCLE_1) | instskip(NEXT) | instid1(SALU_CYCLE_1)
	s_sub_co_i32 s34, s26, s33
	s_ashr_i32 s35, s34, 31
	s_wait_kmcnt 0x0
	s_mul_u64 s[24:25], s[24:25], s[34:35]
	s_delay_alu instid0(SALU_CYCLE_1)
	s_add_nc_u64 s[34:35], s[10:11], s[24:25]
.LBB37_2:
	v_bfe_u32 v26, v0, 10, 10
	s_bfe_u32 s10, ttmp6, 0x4000c
	s_and_b32 s11, ttmp6, 15
	s_add_co_i32 s10, s10, 1
	s_load_b96 s[24:26], s[0:1], 0x70
	v_dual_lshlrev_b32 v1, 3, v26 :: v_dual_lshlrev_b32 v76, 2, v26
	s_mul_i32 s10, ttmp9, s10
	v_and_b32_e32 v80, 0x3ff, v0
	s_add_co_i32 s11, s11, s10
	s_delay_alu instid0(VALU_DEP_2) | instskip(SKIP_3) | instid1(SALU_CYCLE_1)
	v_or_b32_e32 v28, 3, v1
	s_cmp_eq_u32 s36, 0
	v_or_b32_e32 v27, 2, v1
	s_cselect_b32 s10, ttmp9, s11
	s_lshl_b32 s33, s10, 4
	v_dual_mov_b32 v9, 0 :: v_dual_lshrrev_b32 v74, 1, v28
	v_dual_add_nc_u32 v78, s33, v76 :: v_dual_bitop2_b32 v32, 7, v1 bitop3:0x54
	s_delay_alu instid0(VALU_DEP_2) | instskip(SKIP_1) | instid1(VALU_DEP_3)
	v_dual_lshrrev_b32 v77, 1, v27 :: v_dual_add_nc_u32 v75, s33, v74
	v_or_b32_e32 v31, 6, v1
	v_mul_hi_u32 v2, v78, s20
	s_delay_alu instid0(VALU_DEP_4) | instskip(NEXT) | instid1(VALU_DEP_4)
	v_dual_lshrrev_b32 v66, 1, v32 :: v_dual_bitop2_b32 v30, 5, v1 bitop3:0x54
	v_mul_hi_u32 v7, v75, s20
	s_delay_alu instid0(VALU_DEP_4)
	v_dual_lshrrev_b32 v68, 1, v31 :: v_dual_bitop2_b32 v29, 4, v1 bitop3:0x54
	s_wait_kmcnt 0x0
	s_mul_i32 s40, s2, s25
	v_lshrrev_b32_e32 v70, 1, v30
	s_ashr_i32 s43, s25, 31
	v_dual_add_nc_u32 v69, s33, v68 :: v_dual_lshrrev_b32 v72, 1, v29
	v_dual_add_nc_u32 v1, v78, v2 :: v_dual_add_nc_u32 v79, s33, v77
	s_delay_alu instid0(VALU_DEP_3) | instskip(NEXT) | instid1(VALU_DEP_3)
	v_add_nc_u32_e32 v71, s33, v70
	v_dual_add_nc_u32 v67, s33, v66 :: v_dual_add_nc_u32 v73, s33, v72
	s_delay_alu instid0(VALU_DEP_3) | instskip(NEXT) | instid1(VALU_DEP_4)
	v_lshrrev_b32_e32 v1, s21, v1
	v_mul_hi_u32 v4, v79, s20
	s_delay_alu instid0(VALU_DEP_4) | instskip(NEXT) | instid1(VALU_DEP_4)
	v_mul_hi_u32 v3, v71, s20
	v_mul_hi_u32 v6, v67, s20
	;; [unrolled: 1-line block ×3, first 2 shown]
	v_mul_lo_u32 v1, v1, s22
	v_mul_hi_u32 v5, v69, s20
	s_mov_b32 s42, s25
	s_ashr_i32 s25, s24, 31
	v_mov_b32_e32 v17, v9
	s_lshr_b64 s[24:25], s[24:25], 2
	s_ashr_i32 s41, s40, 31
	v_add_nc_u32_e32 v4, v79, v4
	v_dual_add_nc_u32 v3, v71, v3 :: v_dual_mov_b32 v11, v9
	v_dual_add_nc_u32 v2, v73, v2 :: v_dual_sub_nc_u32 v8, v78, v1
	s_delay_alu instid0(VALU_DEP_3) | instskip(NEXT) | instid1(VALU_DEP_2)
	v_dual_add_nc_u32 v5, v69, v5 :: v_dual_lshrrev_b32 v4, s21, v4
	v_dual_lshrrev_b32 v1, s21, v2 :: v_dual_lshrrev_b32 v2, s21, v3
	v_add_nc_u32_e32 v3, v67, v6
	s_delay_alu instid0(VALU_DEP_3) | instskip(NEXT) | instid1(VALU_DEP_3)
	v_dual_add_nc_u32 v6, v75, v7 :: v_dual_lshrrev_b32 v5, s21, v5
	v_mul_lo_u32 v1, v1, s22
	s_delay_alu instid0(VALU_DEP_4) | instskip(NEXT) | instid1(VALU_DEP_4)
	v_mul_lo_u32 v7, v2, s22
	v_lshrrev_b32_e32 v2, s21, v3
	v_mul_lo_u32 v14, v4, s22
	v_mul_lo_u32 v10, v5, s22
	v_dual_lshrrev_b32 v5, s21, v6 :: v_dual_mov_b32 v13, v9
	s_delay_alu instid0(VALU_DEP_4) | instskip(SKIP_2) | instid1(VALU_DEP_4)
	v_mul_lo_u32 v12, v2, s22
	v_mul_u64_e32 v[2:3], s[24:25], v[8:9]
	v_sub_nc_u32_e32 v4, v73, v1
	v_mul_lo_u32 v16, v5, s22
	v_dual_mov_b32 v5, v9 :: v_dual_sub_nc_u32 v6, v71, v7
	v_mov_b32_e32 v7, v9
	v_sub_nc_u32_e32 v10, v69, v10
	v_sub_nc_u32_e32 v14, v79, v14
	v_dual_mov_b32 v15, v9 :: v_dual_sub_nc_u32 v12, v67, v12
	v_mul_u64_e32 v[4:5], s[24:25], v[4:5]
	v_mul_u64_e32 v[6:7], s[24:25], v[6:7]
	;; [unrolled: 1-line block ×3, first 2 shown]
	v_sub_nc_u32_e32 v16, v75, v16
	v_mul_u64_e32 v[12:13], s[24:25], v[12:13]
	v_mul_u64_e32 v[14:15], s[24:25], v[14:15]
	v_lshlrev_b64_e32 v[0:1], 2, v[2:3]
	v_lshlrev_b32_e32 v2, 3, v80
	v_mul_u64_e32 v[16:17], s[24:25], v[16:17]
	s_mul_i32 s24, s28, s26
	v_mov_b32_e32 v3, v9
	s_ashr_i32 s25, s24, 31
	s_delay_alu instid0(SALU_CYCLE_1)
	s_add_nc_u64 s[4:5], s[4:5], s[24:25]
	s_and_b64 s[24:25], s[42:43], -4
	s_add_nc_u64 s[4:5], s[4:5], s[40:41]
	s_cmp_eq_u64 s[14:15], 0
	s_add_nc_u64 s[24:25], s[4:5], s[24:25]
	v_add_nc_u64_e32 v[18:19], s[4:5], v[0:1]
	v_lshl_add_u64 v[4:5], v[4:5], 2, s[4:5]
	v_lshl_add_u64 v[6:7], v[6:7], 2, s[24:25]
	;; [unrolled: 1-line block ×3, first 2 shown]
	v_add_nc_u64_e32 v[0:1], s[24:25], v[0:1]
	v_lshl_add_u64 v[12:13], v[12:13], 2, s[24:25]
	v_lshl_add_u64 v[14:15], v[14:15], 2, s[4:5]
	v_add_nc_u64_e32 v[4:5], v[4:5], v[2:3]
	v_add_nc_u64_e32 v[6:7], v[6:7], v[2:3]
	;; [unrolled: 1-line block ×7, first 2 shown]
	s_clause 0x2
	global_load_b64 v[4:5], v[4:5], off
	global_load_b64 v[6:7], v[6:7], off
	global_load_b64 v[10:11], v[10:11], off
	s_load_b32 s4, s[0:1], 0x40
	global_load_b64 v[12:13], v[12:13], off
	v_lshl_add_u64 v[16:17], v[16:17], 2, s[24:25]
	s_delay_alu instid0(VALU_DEP_1)
	v_add_nc_u64_e32 v[2:3], v[16:17], v[2:3]
	s_clause 0x3
	global_load_b64 v[16:17], v[18:19], off
	global_load_b64 v[20:21], v[0:1], off
	;; [unrolled: 1-line block ×4, first 2 shown]
	s_wait_xcnt 0x2
	v_lshl_add_u32 v1, v80, 2, 0x3400
	v_lshlrev_b32_e32 v0, 10, v26
	s_wait_xcnt 0x0
	s_delay_alu instid0(VALU_DEP_2)
	v_lshl_add_u32 v3, v27, 7, v1
	v_lshl_add_u32 v9, v28, 7, v1
	;; [unrolled: 1-line block ×5, first 2 shown]
	s_wait_loadcnt 0x7
	s_wait_kmcnt 0x0
	v_fma_mixlo_f16 v4, s4, v4, 0
	v_fma_mixlo_f16 v5, s4, v5, 0
	s_wait_loadcnt 0x6
	v_fma_mixlo_f16 v6, s4, v6, 0
	v_fma_mixlo_f16 v7, s4, v7, 0
	s_wait_loadcnt 0x5
	v_fma_mixlo_f16 v11, s4, v11, 0
	s_wait_loadcnt 0x4
	v_fma_mixlo_f16 v13, s4, v13, 0
	v_dual_add_nc_u32 v2, v1, v0 :: v_dual_lshlrev_b32 v5, 16, v5
	v_fma_mixlo_f16 v10, s4, v10, 0
	v_fma_mixlo_f16 v12, s4, v12, 0
	v_and_b32_e32 v4, 0xffff, v4
	v_dual_lshlrev_b32 v7, 16, v7 :: v_dual_lshlrev_b32 v13, 16, v13
	v_and_b32_e32 v6, 0xffff, v6
	s_wait_loadcnt 0x3
	v_fma_mixlo_f16 v16, s4, v16, 0
	v_fma_mixlo_f16 v17, s4, v17, 0
	s_wait_loadcnt 0x2
	v_fma_mixlo_f16 v19, s4, v20, 0
	v_fma_mixlo_f16 v20, s4, v21, 0
	;; [unrolled: 3-line block ×4, first 2 shown]
	v_dual_lshlrev_b32 v11, 16, v11 :: v_dual_lshlrev_b32 v17, 16, v17
	v_and_b32_e32 v16, 0xffff, v16
	v_dual_lshlrev_b32 v20, 16, v20 :: v_dual_lshlrev_b32 v22, 16, v22
	v_and_b32_e32 v19, 0xffff, v19
	v_and_b32_e32 v21, 0xffff, v21
	v_lshlrev_b32_e32 v24, 16, v24
	v_and_b32_e32 v23, 0xffff, v23
	v_and_b32_e32 v10, 0xffff, v10
	;; [unrolled: 1-line block ×3, first 2 shown]
	v_or_b32_e32 v4, v5, v4
	v_or_b32_e32 v5, v7, v6
	v_or_b32_e32 v6, v17, v16
	v_or_b32_e32 v7, v20, v19
	v_or_b32_e32 v16, v22, v21
	v_or_b32_e32 v17, v24, v23
	v_lshl_add_u32 v1, v32, 7, v1
	v_or_b32_e32 v10, v11, v10
	v_or_b32_e32 v11, v13, v12
	ds_store_2addr_b32 v2, v6, v7 offset1:32
	ds_store_b32 v3, v16
	ds_store_b32 v9, v17
	;; [unrolled: 1-line block ×6, first 2 shown]
	s_wait_dscnt 0x0
	s_barrier_signal -1
	s_barrier_wait -1
	s_cbranch_scc1 .LBB37_4
; %bb.3:
	s_load_b32 s4, s[0:1], 0xd0
	s_wait_kmcnt 0x0
	s_mul_i32 s4, s4, s28
	s_delay_alu instid0(SALU_CYCLE_1)
	s_add_co_i32 s4, s4, s10
	s_load_b32 s30, s[14:15], s4 offset:0x0 scale_offset
.LBB37_4:
	s_wait_xcnt 0x0
	s_bfe_u32 s4, ttmp6, 0x40010
	s_and_b32 s5, ttmp7, 0xffff
	s_add_co_i32 s4, s4, 1
	s_bfe_u32 s10, ttmp6, 0x40004
	s_mul_i32 s4, s5, s4
	v_mbcnt_lo_u32_b32 v85, -1, 0
	s_add_co_i32 s10, s10, s4
	s_cmp_eq_u32 s36, 0
	s_cselect_b32 s31, s5, s10
	s_mov_b32 s5, 0
	s_lshl_b32 s4, s31, 6
	s_wait_kmcnt 0x0
	s_cmp_lt_i32 s4, s30
	s_cbranch_scc1 .LBB37_7
; %bb.5:
	v_mbcnt_lo_u32_b32 v9, -1, 0
	s_delay_alu instid0(VALU_DEP_1)
	v_dual_mov_b32 v81, 32 :: v_dual_bitop2_b32 v87, 16, v9 bitop3:0x14
	v_xor_b32_e32 v86, 8, v9
	v_xor_b32_e32 v84, 4, v9
	;; [unrolled: 1-line block ×4, first 2 shown]
	s_and_not1_b32 vcc_lo, exec_lo, s5
	s_cbranch_vccz .LBB37_8
; %bb.6:
	v_dual_mov_b32 v119, 0 :: v_dual_mov_b32 v41, 0
	v_dual_mov_b32 v7, 0xfeffffff :: v_dual_mov_b32 v6, 0xfeffffff
	;; [unrolled: 1-line block ×12, first 2 shown]
	s_branch .LBB37_11
.LBB37_7:
                                        ; implicit-def: $vgpr9
                                        ; implicit-def: $vgpr81
                                        ; implicit-def: $vgpr87
                                        ; implicit-def: $vgpr86
                                        ; implicit-def: $vgpr84
                                        ; implicit-def: $vgpr83
                                        ; implicit-def: $vgpr82
.LBB37_8:
	v_dual_mov_b32 v49, 0 :: v_dual_add_nc_u32 v48, 1, v78
	s_mov_b32 s14, s20
	s_mov_b32 s15, s37
	s_delay_alu instid0(VALU_DEP_1) | instskip(NEXT) | instid1(VALU_DEP_2)
	v_dual_mov_b32 v44, v49 :: v_dual_add_nc_u32 v91, 0x2400, v0
	v_mul_u64_e32 v[2:3], s[14:15], v[48:49]
	v_dual_mov_b32 v81, 32 :: v_dual_lshlrev_b32 v12, 4, v80
	s_ashr_i32 s5, s39, 1
	v_xor_b32_e32 v84, 4, v85
	v_mul_lo_u32 v92, v8, s5
	s_delay_alu instid0(VALU_DEP_3)
	v_add_nc_u32_e32 v93, v91, v12
	s_ashr_i32 s46, s27, 31
	s_clause 0x2
	s_load_b64 s[40:41], s[0:1], 0x8c
	s_load_b128 s[24:27], s[0:1], 0x98
	s_load_b64 s[42:43], s[0:1], 0xa8
	s_mul_f32 s20, s29, 0x4f7ffffe
	s_sub_co_i32 s38, 0, s3
	s_ashr_i32 s44, s2, 31
	s_abs_i32 s36, s2
	s_cvt_u32_f32 s20, s20
	s_mov_b32 s45, s37
	s_xor_b32 s46, s44, s46
	s_ashr_i32 s29, s28, 31
	s_mul_i32 s38, s38, s20
	v_dual_mov_b32 v46, v49 :: v_dual_add_nc_u32 v89, 0x3400, v0
	s_mul_hi_u32 s38, s20, s38
	v_mul_u32_u24_e32 v90, 0x90, v80
	s_add_co_i32 s44, s20, s38
	v_mov_b32_e32 v0, 0xfeffffff
	v_dual_mov_b32 v47, v49 :: v_dual_bitop2_b32 v82, 1, v85 bitop3:0x14
	v_mov_b32_e32 v2, 0xfeffffff
	s_wait_kmcnt 0x0
	s_mul_u64 s[24:25], s[24:25], s[28:29]
	s_mul_u64 s[38:39], s[42:43], s[28:29]
	s_add_nc_u64 s[6:7], s[6:7], s[24:25]
	v_dual_mov_b32 v4, 0xfeffffff :: v_dual_mov_b32 v5, 0xfeffffff
	v_add_nc_u32_e32 v1, v48, v3
	v_dual_mov_b32 v3, 0xfeffffff :: v_dual_mov_b32 v6, 0xfeffffff
	v_mov_b32_e32 v7, 0xfeffffff
	s_add_nc_u64 s[8:9], s[8:9], s[38:39]
	s_delay_alu instid0(VALU_DEP_3) | instskip(SKIP_3) | instid1(VALU_DEP_3)
	v_lshrrev_b32_e32 v1, s21, v1
	s_add_nc_u64 s[10:11], s[0:1], 0xd0
	v_dual_mov_b32 v45, v49 :: v_dual_lshlrev_b32 v88, 2, v80
	v_mov_b32_e32 v42, v49
	v_mul_lo_u32 v1, v1, s22
	s_delay_alu instid0(VALU_DEP_3)
	v_dual_mov_b32 v43, v49 :: v_dual_add_nc_u32 v94, 0x400, v88
	v_and_b32_e32 v8, 28, v88
	v_add_nc_u32_e32 v95, 0x800, v88
	v_dual_mov_b32 v41, v49 :: v_dual_add_nc_u32 v96, 0xc00, v88
	v_dual_mov_b32 v40, v49 :: v_dual_add_nc_u32 v97, 0x1000, v88
	v_dual_mov_b32 v113, v49 :: v_dual_add_nc_u32 v98, 0x1400, v88
	v_dual_sub_nc_u32 v9, v48, v1 :: v_dual_add_nc_u32 v48, 2, v78
	v_mov_b32_e32 v1, 0xfeffffff
	v_dual_mov_b32 v112, v49 :: v_dual_add_nc_u32 v99, 0x1800, v88
	s_delay_alu instid0(VALU_DEP_3) | instskip(NEXT) | instid1(VALU_DEP_4)
	v_mul_lo_u32 v109, v9, s5
	v_mul_u64_e32 v[10:11], s[14:15], v[48:49]
	v_dual_lshrrev_b32 v10, 3, v80 :: v_dual_bitop2_b32 v87, 16, v85 bitop3:0x14
	v_xor_b32_e32 v86, 8, v85
	v_dual_mov_b32 v115, v49 :: v_dual_add_nc_u32 v100, 0x1c00, v88
	s_delay_alu instid0(VALU_DEP_3) | instskip(SKIP_3) | instid1(VALU_DEP_3)
	v_add_nc_u32_e32 v13, v10, v76
	v_dual_lshlrev_b32 v14, 2, v8 :: v_dual_mov_b32 v114, v49
	v_dual_mov_b32 v116, v49 :: v_dual_mov_b32 v117, v49
	v_mov_b32_e32 v118, v49
	v_mad_u32_u24 v101, 0x90, v13, v14
	v_lshl_or_b32 v102, v13, 7, v14
	v_mov_b32_e32 v119, v49
	s_delay_alu instid0(VALU_DEP_3)
	v_add_nc_u32_e32 v103, 0x900, v101
	v_add_nc_u32_e32 v104, 0x1200, v101
	;; [unrolled: 1-line block ×6, first 2 shown]
	v_dual_add_nc_u32 v10, v48, v11 :: v_dual_bitop2_b32 v83, 2, v85 bitop3:0x14
	s_delay_alu instid0(VALU_DEP_1) | instskip(NEXT) | instid1(VALU_DEP_1)
	v_lshrrev_b32_e32 v10, s21, v10
	v_mul_lo_u32 v10, v10, s22
	s_delay_alu instid0(VALU_DEP_1) | instskip(SKIP_1) | instid1(VALU_DEP_2)
	v_sub_nc_u32_e32 v12, v48, v10
	v_add_nc_u32_e32 v48, 3, v78
	v_mul_lo_u32 v110, v12, s5
	s_delay_alu instid0(VALU_DEP_2) | instskip(SKIP_1) | instid1(SALU_CYCLE_1)
	v_mul_u64_e32 v[10:11], s[14:15], v[48:49]
	s_mul_u64 s[14:15], s[36:37], s[44:45]
	s_mul_i32 s14, s15, s3
	s_add_co_i32 s20, s15, 1
	s_sub_co_i32 s37, s36, s14
	s_ashr_i32 s14, s26, 2
	s_ashr_i32 s36, s40, 2
	v_mul_lo_u32 v52, s14, v13
	v_mul_lo_u32 v50, s36, v13
	s_sub_co_i32 s26, s37, s3
	s_cmp_ge_u32 s37, s3
	s_cselect_b32 s15, s20, s15
	s_cselect_b32 s20, s26, s37
	s_add_co_i32 s24, s15, 1
	s_cmp_ge_u32 s20, s3
	s_cselect_b32 s3, s24, s15
	s_delay_alu instid0(VALU_DEP_2) | instskip(SKIP_2) | instid1(SALU_CYCLE_1)
	v_ashrrev_i32_e32 v53, 31, v52
	s_lshl_b32 s25, s36, 4
	s_lshl_b32 s26, s14, 4
	v_dual_add_nc_u32 v54, s25, v50 :: v_dual_add_nc_u32 v56, s26, v52
	s_xor_b32 s3, s3, s46
	s_ashr_i32 s37, s36, 31
	s_sub_co_i32 s3, s3, s46
	s_delay_alu instid0(VALU_DEP_1) | instskip(SKIP_3) | instid1(VALU_DEP_2)
	v_dual_add_nc_u32 v58, s25, v54 :: v_dual_ashrrev_i32 v55, 31, v54
	v_ashrrev_i32_e32 v51, 31, v50
	s_mul_i32 s20, s3, s41
	s_mul_i32 s24, s3, s27
	v_dual_add_nc_u32 v10, v48, v11 :: v_dual_add_nc_u32 v62, s25, v58
	v_dual_ashrrev_i32 v57, 31, v56 :: v_dual_add_nc_u32 v60, s26, v56
	s_ashr_i32 s25, s24, 31
	s_delay_alu instid0(VALU_DEP_2) | instskip(SKIP_1) | instid1(VALU_DEP_2)
	v_lshrrev_b32_e32 v10, s21, v10
	s_ashr_i32 s21, s20, 31
	v_dual_ashrrev_i32 v59, 31, v58 :: v_dual_add_nc_u32 v64, s26, v60
	v_dual_ashrrev_i32 v61, 31, v60 :: v_dual_ashrrev_i32 v63, 31, v62
	s_delay_alu instid0(VALU_DEP_3) | instskip(SKIP_3) | instid1(VALU_DEP_1)
	v_mul_lo_u32 v10, v10, s22
	s_ashr_i32 s15, s14, 31
	s_add_nc_u64 s[6:7], s[6:7], s[20:21]
	s_add_nc_u64 s[8:9], s[8:9], s[24:25]
	v_dual_ashrrev_i32 v65, 31, v64 :: v_dual_sub_nc_u32 v10, v48, v10
	v_lshlrev_b32_e32 v48, 2, v8
	s_delay_alu instid0(VALU_DEP_2)
	v_mul_lo_u32 v111, v10, s5
.LBB37_9:                               ; =>This Inner Loop Header: Depth=1
	s_ashr_i32 s5, s4, 31
	v_dual_mov_b32 v126, v1 :: v_dual_mov_b32 v127, v0
	s_mul_u64 s[20:21], s[4:5], s[36:37]
	v_dual_mov_b32 v124, v3 :: v_dual_mov_b32 v125, v2
	s_lshl_b64 s[20:21], s[20:21], 2
	v_dual_mov_b32 v120, v7 :: v_dual_mov_b32 v121, v6
	s_add_nc_u64 s[20:21], s[6:7], s[20:21]
	v_dual_mov_b32 v122, v5 :: v_dual_mov_b32 v123, v4
	v_lshl_add_u64 v[0:1], v[50:51], 2, s[20:21]
	v_dual_mov_b32 v128, 0 :: v_dual_mov_b32 v129, 0
	v_dual_mov_b32 v130, 0 :: v_dual_mov_b32 v131, 0
	s_delay_alu instid0(VALU_DEP_3)
	v_add_nc_u64_e32 v[0:1], v[0:1], v[48:49]
	v_dual_mov_b32 v135, 0 :: v_dual_mov_b32 v134, 0
	v_dual_mov_b32 v133, 0 :: v_dual_mov_b32 v132, 0
	v_cmp_gt_i32_e32 vcc_lo, 32, v87
	global_load_b128 v[0:3], v[0:1], off
	s_wait_loadcnt 0x0
	ds_store_b128 v101, v[0:3]
	v_lshl_add_u64 v[0:1], v[54:55], 2, s[20:21]
	s_delay_alu instid0(VALU_DEP_1) | instskip(SKIP_4) | instid1(VALU_DEP_1)
	v_add_nc_u64_e32 v[0:1], v[0:1], v[48:49]
	global_load_b128 v[0:3], v[0:1], off
	s_wait_loadcnt 0x0
	ds_store_b128 v103, v[0:3]
	v_lshl_add_u64 v[0:1], v[58:59], 2, s[20:21]
	v_add_nc_u64_e32 v[0:1], v[0:1], v[48:49]
	global_load_b128 v[0:3], v[0:1], off
	s_wait_loadcnt 0x0
	ds_store_b128 v104, v[0:3]
	v_lshl_add_u64 v[0:1], v[62:63], 2, s[20:21]
	s_mul_u64 s[20:21], s[4:5], s[14:15]
	s_delay_alu instid0(SALU_CYCLE_1) | instskip(NEXT) | instid1(VALU_DEP_1)
	s_lshl_b64 s[20:21], s[20:21], 2
	v_add_nc_u64_e32 v[0:1], v[0:1], v[48:49]
	s_add_nc_u64 s[20:21], s[8:9], s[20:21]
	global_load_b128 v[0:3], v[0:1], off
	s_wait_loadcnt 0x0
	ds_store_b128 v105, v[0:3]
	s_wait_dscnt 0x0
	s_barrier_signal -1
	s_barrier_wait -1
	ds_load_b128 v[36:39], v90
	ds_load_b128 v[0:3], v90 offset:4608
	ds_load_b128 v[32:35], v89
	ds_load_b128 v[28:31], v89 offset:128
	ds_load_b128 v[24:27], v89 offset:256
	;; [unrolled: 1-line block ×7, first 2 shown]
	s_wait_dscnt 0x7
	;;#ASMSTART
	v_dot2_f32_f16 v128, v36, v32, v128
	;;#ASMEND
	;;#ASMSTART
	v_dot2_f32_f16 v128, v37, v33, v128
	;;#ASMEND
	;;#ASMSTART
	v_dot2_f32_f16 v128, v38, v34, v128
	;;#ASMEND
	;;#ASMSTART
	v_dot2_f32_f16 v128, v39, v35, v128
	;;#ASMEND
	s_wait_dscnt 0x6
	;;#ASMSTART
	v_dot2_f32_f16 v129, v36, v28, v129
	;;#ASMEND
	;;#ASMSTART
	v_dot2_f32_f16 v129, v37, v29, v129
	;;#ASMEND
	;;#ASMSTART
	v_dot2_f32_f16 v129, v38, v30, v129
	;;#ASMEND
	;;#ASMSTART
	v_dot2_f32_f16 v129, v39, v31, v129
	;;#ASMEND
	;; [unrolled: 13-line block ×7, first 2 shown]
	s_wait_dscnt 0x0
	;;#ASMSTART
	v_dot2_f32_f16 v132, v36, v4, v132
	;;#ASMEND
	;;#ASMSTART
	v_dot2_f32_f16 v132, v37, v5, v132
	;;#ASMEND
	;;#ASMSTART
	v_dot2_f32_f16 v132, v38, v6, v132
	;;#ASMEND
	v_mov_b32_e32 v36, 0
	;;#ASMSTART
	v_dot2_f32_f16 v132, v39, v7, v132
	;;#ASMEND
	;;#ASMSTART
	v_dot2_f32_f16 v36, v0, v32, v36
	;;#ASMEND
	;;#ASMSTART
	v_dot2_f32_f16 v36, v1, v33, v36
	;;#ASMEND
	;;#ASMSTART
	v_dot2_f32_f16 v36, v2, v34, v36
	;;#ASMEND
	v_mov_b32_e32 v32, 0
	;;#ASMSTART
	v_dot2_f32_f16 v36, v3, v35, v36
	;;#ASMEND
	;; [unrolled: 13-line block ×8, first 2 shown]
	;;#ASMSTART
	v_dot2_f32_f16 v8, v0, v4, v8
	;;#ASMEND
	;;#ASMSTART
	v_dot2_f32_f16 v8, v1, v5, v8
	;;#ASMEND
	;; [unrolled: 3-line block ×4, first 2 shown]
	ds_load_b128 v[0:3], v90 offset:16
	ds_load_b128 v[4:7], v90 offset:4624
	;; [unrolled: 1-line block ×10, first 2 shown]
	s_wait_dscnt 0x7
	;;#ASMSTART
	v_dot2_f32_f16 v128, v0, v136, v128
	;;#ASMEND
	;;#ASMSTART
	v_dot2_f32_f16 v128, v1, v137, v128
	;;#ASMEND
	;;#ASMSTART
	v_dot2_f32_f16 v128, v2, v138, v128
	;;#ASMEND
	;;#ASMSTART
	v_dot2_f32_f16 v128, v3, v139, v128
	;;#ASMEND
	s_wait_dscnt 0x6
	;;#ASMSTART
	v_dot2_f32_f16 v129, v0, v140, v129
	;;#ASMEND
	;;#ASMSTART
	v_dot2_f32_f16 v129, v1, v141, v129
	;;#ASMEND
	;;#ASMSTART
	v_dot2_f32_f16 v129, v2, v142, v129
	;;#ASMEND
	;;#ASMSTART
	v_dot2_f32_f16 v129, v3, v143, v129
	;;#ASMEND
	;; [unrolled: 13-line block ×8, first 2 shown]
	;;#ASMSTART
	v_dot2_f32_f16 v36, v4, v136, v36
	;;#ASMEND
	;;#ASMSTART
	v_dot2_f32_f16 v36, v5, v137, v36
	;;#ASMEND
	;; [unrolled: 3-line block ×32, first 2 shown]
	ds_load_b128 v[0:3], v90 offset:32
	ds_load_b128 v[4:7], v90 offset:4640
	;; [unrolled: 1-line block ×10, first 2 shown]
	s_wait_dscnt 0x7
	;;#ASMSTART
	v_dot2_f32_f16 v128, v0, v136, v128
	;;#ASMEND
	;;#ASMSTART
	v_dot2_f32_f16 v128, v1, v137, v128
	;;#ASMEND
	;;#ASMSTART
	v_dot2_f32_f16 v128, v2, v138, v128
	;;#ASMEND
	;;#ASMSTART
	v_dot2_f32_f16 v128, v3, v139, v128
	;;#ASMEND
	s_wait_dscnt 0x6
	;;#ASMSTART
	v_dot2_f32_f16 v129, v0, v140, v129
	;;#ASMEND
	;;#ASMSTART
	v_dot2_f32_f16 v129, v1, v141, v129
	;;#ASMEND
	;;#ASMSTART
	v_dot2_f32_f16 v129, v2, v142, v129
	;;#ASMEND
	;;#ASMSTART
	v_dot2_f32_f16 v129, v3, v143, v129
	;;#ASMEND
	;; [unrolled: 13-line block ×8, first 2 shown]
	;;#ASMSTART
	v_dot2_f32_f16 v36, v4, v136, v36
	;;#ASMEND
	;;#ASMSTART
	v_dot2_f32_f16 v36, v5, v137, v36
	;;#ASMEND
	;; [unrolled: 3-line block ×32, first 2 shown]
	ds_load_b128 v[0:3], v90 offset:48
	ds_load_b128 v[4:7], v90 offset:4656
	;; [unrolled: 1-line block ×10, first 2 shown]
	s_wait_dscnt 0x7
	;;#ASMSTART
	v_dot2_f32_f16 v128, v0, v136, v128
	;;#ASMEND
	;;#ASMSTART
	v_dot2_f32_f16 v128, v1, v137, v128
	;;#ASMEND
	;;#ASMSTART
	v_dot2_f32_f16 v128, v2, v138, v128
	;;#ASMEND
	;;#ASMSTART
	v_dot2_f32_f16 v128, v3, v139, v128
	;;#ASMEND
	s_wait_dscnt 0x6
	;;#ASMSTART
	v_dot2_f32_f16 v129, v0, v140, v129
	;;#ASMEND
	;;#ASMSTART
	v_dot2_f32_f16 v129, v1, v141, v129
	;;#ASMEND
	;;#ASMSTART
	v_dot2_f32_f16 v129, v2, v142, v129
	;;#ASMEND
	;;#ASMSTART
	v_dot2_f32_f16 v129, v3, v143, v129
	;;#ASMEND
	;; [unrolled: 13-line block ×8, first 2 shown]
	;;#ASMSTART
	v_dot2_f32_f16 v36, v4, v136, v36
	;;#ASMEND
	;;#ASMSTART
	v_dot2_f32_f16 v36, v5, v137, v36
	;;#ASMEND
	;; [unrolled: 3-line block ×32, first 2 shown]
	ds_load_b128 v[0:3], v90 offset:64
	ds_load_b128 v[4:7], v90 offset:4672
	;; [unrolled: 1-line block ×10, first 2 shown]
	s_wait_dscnt 0x7
	;;#ASMSTART
	v_dot2_f32_f16 v128, v0, v136, v128
	;;#ASMEND
	;;#ASMSTART
	v_dot2_f32_f16 v128, v1, v137, v128
	;;#ASMEND
	;;#ASMSTART
	v_dot2_f32_f16 v128, v2, v138, v128
	;;#ASMEND
	;;#ASMSTART
	v_dot2_f32_f16 v128, v3, v139, v128
	;;#ASMEND
	s_wait_dscnt 0x6
	;;#ASMSTART
	v_dot2_f32_f16 v129, v0, v140, v129
	;;#ASMEND
	;;#ASMSTART
	v_dot2_f32_f16 v129, v1, v141, v129
	;;#ASMEND
	;;#ASMSTART
	v_dot2_f32_f16 v129, v2, v142, v129
	;;#ASMEND
	;;#ASMSTART
	v_dot2_f32_f16 v129, v3, v143, v129
	;;#ASMEND
	;; [unrolled: 13-line block ×8, first 2 shown]
	;;#ASMSTART
	v_dot2_f32_f16 v36, v4, v136, v36
	;;#ASMEND
	;;#ASMSTART
	v_dot2_f32_f16 v36, v5, v137, v36
	;;#ASMEND
	;; [unrolled: 3-line block ×32, first 2 shown]
	ds_load_b128 v[0:3], v90 offset:80
	ds_load_b128 v[4:7], v90 offset:4688
	;; [unrolled: 1-line block ×10, first 2 shown]
	s_wait_dscnt 0x7
	;;#ASMSTART
	v_dot2_f32_f16 v128, v0, v136, v128
	;;#ASMEND
	;;#ASMSTART
	v_dot2_f32_f16 v128, v1, v137, v128
	;;#ASMEND
	;;#ASMSTART
	v_dot2_f32_f16 v128, v2, v138, v128
	;;#ASMEND
	;;#ASMSTART
	v_dot2_f32_f16 v128, v3, v139, v128
	;;#ASMEND
	s_wait_dscnt 0x6
	;;#ASMSTART
	v_dot2_f32_f16 v129, v0, v140, v129
	;;#ASMEND
	;;#ASMSTART
	v_dot2_f32_f16 v129, v1, v141, v129
	;;#ASMEND
	;;#ASMSTART
	v_dot2_f32_f16 v129, v2, v142, v129
	;;#ASMEND
	;;#ASMSTART
	v_dot2_f32_f16 v129, v3, v143, v129
	;;#ASMEND
	;; [unrolled: 13-line block ×8, first 2 shown]
	;;#ASMSTART
	v_dot2_f32_f16 v36, v4, v136, v36
	;;#ASMEND
	;;#ASMSTART
	v_dot2_f32_f16 v36, v5, v137, v36
	;;#ASMEND
	;; [unrolled: 3-line block ×32, first 2 shown]
	ds_load_b128 v[0:3], v90 offset:96
	ds_load_b128 v[4:7], v90 offset:4704
	;; [unrolled: 1-line block ×10, first 2 shown]
	s_wait_dscnt 0x7
	;;#ASMSTART
	v_dot2_f32_f16 v128, v0, v136, v128
	;;#ASMEND
	;;#ASMSTART
	v_dot2_f32_f16 v128, v1, v137, v128
	;;#ASMEND
	;;#ASMSTART
	v_dot2_f32_f16 v128, v2, v138, v128
	;;#ASMEND
	;;#ASMSTART
	v_dot2_f32_f16 v128, v3, v139, v128
	;;#ASMEND
	s_wait_dscnt 0x6
	;;#ASMSTART
	v_dot2_f32_f16 v129, v0, v140, v129
	;;#ASMEND
	;;#ASMSTART
	v_dot2_f32_f16 v129, v1, v141, v129
	;;#ASMEND
	;;#ASMSTART
	v_dot2_f32_f16 v129, v2, v142, v129
	;;#ASMEND
	;;#ASMSTART
	v_dot2_f32_f16 v129, v3, v143, v129
	;;#ASMEND
	;; [unrolled: 13-line block ×8, first 2 shown]
	;;#ASMSTART
	v_dot2_f32_f16 v36, v4, v136, v36
	;;#ASMEND
	;;#ASMSTART
	v_dot2_f32_f16 v36, v5, v137, v36
	;;#ASMEND
	;; [unrolled: 3-line block ×32, first 2 shown]
	ds_load_b128 v[0:3], v90 offset:112
	ds_load_b128 v[4:7], v90 offset:4720
	;; [unrolled: 1-line block ×10, first 2 shown]
	s_wait_dscnt 0x7
	;;#ASMSTART
	v_dot2_f32_f16 v128, v0, v136, v128
	;;#ASMEND
	;;#ASMSTART
	v_dot2_f32_f16 v128, v1, v137, v128
	;;#ASMEND
	;;#ASMSTART
	v_dot2_f32_f16 v128, v2, v138, v128
	;;#ASMEND
	;;#ASMSTART
	v_dot2_f32_f16 v128, v3, v139, v128
	;;#ASMEND
	s_wait_dscnt 0x6
	;;#ASMSTART
	v_dot2_f32_f16 v129, v0, v140, v129
	;;#ASMEND
	;;#ASMSTART
	v_dot2_f32_f16 v129, v1, v141, v129
	;;#ASMEND
	;;#ASMSTART
	v_dot2_f32_f16 v129, v2, v142, v129
	;;#ASMEND
	;;#ASMSTART
	v_dot2_f32_f16 v129, v3, v143, v129
	;;#ASMEND
	;; [unrolled: 13-line block ×8, first 2 shown]
	;;#ASMSTART
	v_dot2_f32_f16 v36, v4, v136, v36
	;;#ASMEND
	;;#ASMSTART
	v_dot2_f32_f16 v36, v5, v137, v36
	;;#ASMEND
	;; [unrolled: 3-line block ×31, first 2 shown]
	v_dual_add_nc_u32 v6, s4, v80 :: v_dual_cndmask_b32 v0, v85, v87, vcc_lo
	v_cmp_gt_i32_e32 vcc_lo, 32, v86
	;;#ASMSTART
	v_dot2_f32_f16 v8, v7, v167, v8
	;;#ASMEND
	s_delay_alu instid0(VALU_DEP_2) | instskip(SKIP_1) | instid1(VALU_DEP_2)
	v_dual_cndmask_b32 v0, v85, v86 :: v_dual_lshlrev_b32 v7, 2, v0
	v_cmp_gt_i32_e32 vcc_lo, 32, v84
	v_lshlrev_b32_e32 v9, 2, v0
	v_cndmask_b32_e32 v0, v85, v84, vcc_lo
	v_cmp_gt_i32_e32 vcc_lo, 32, v83
	s_delay_alu instid0(VALU_DEP_2) | instskip(SKIP_1) | instid1(VALU_DEP_2)
	v_dual_lshlrev_b32 v10, 2, v0 :: v_dual_cndmask_b32 v0, v85, v83, vcc_lo
	v_cmp_gt_i32_e32 vcc_lo, 32, v82
	v_dual_cndmask_b32 v0, v85, v82 :: v_dual_lshlrev_b32 v11, 2, v0
	s_delay_alu instid0(VALU_DEP_1)
	v_lshlrev_b32_e32 v13, 2, v0
	v_add_nc_u32_e32 v0, v6, v92
	s_clause 0x1
	global_load_u16 v1, v0, s[34:35] scale_offset
	global_load_u16 v0, v0, s[34:35] offset:64 scale_offset
	s_wait_loadcnt 0x1
	v_cvt_f32_f16_e32 v1, v1
	s_wait_loadcnt 0x0
	v_cvt_f32_f16_e32 v3, v0
	s_delay_alu instid0(VALU_DEP_2) | instskip(NEXT) | instid1(VALU_DEP_2)
	v_add_f32_e32 v14, v128, v1
	v_dual_add_f32 v15, v36, v3 :: v_dual_add_f32 v17, v129, v1
	s_delay_alu instid0(VALU_DEP_2) | instskip(NEXT) | instid1(VALU_DEP_2)
	v_dual_add_f32 v19, v32, v3 :: v_dual_add_f32 v2, 0x40051340, v14
	v_dual_add_f32 v0, 0x40051340, v15 :: v_dual_add_f32 v1, 0x40051340, v17
	s_delay_alu instid0(VALU_DEP_1) | instskip(SKIP_3) | instid1(VALU_DEP_1)
	v_max3_num_f32 v0, v127, v2, v0
	ds_bpermute_b32 v2, v7, v0
	s_wait_dscnt 0x0
	v_max_num_f32_e32 v2, v2, v2
	v_max_num_f32_e32 v0, v0, v2
	ds_bpermute_b32 v2, v9, v0
	s_wait_dscnt 0x0
	v_max_num_f32_e32 v2, v2, v2
	s_delay_alu instid0(VALU_DEP_1) | instskip(SKIP_3) | instid1(VALU_DEP_1)
	v_max_num_f32_e32 v0, v0, v2
	ds_bpermute_b32 v2, v10, v0
	s_wait_dscnt 0x0
	v_max_num_f32_e32 v2, v2, v2
	v_max_num_f32_e32 v0, v0, v2
	ds_bpermute_b32 v2, v11, v0
	s_wait_dscnt 0x0
	v_max_num_f32_e32 v2, v2, v2
	s_delay_alu instid0(VALU_DEP_1) | instskip(SKIP_3) | instid1(VALU_DEP_1)
	v_max_num_f32_e32 v0, v0, v2
	ds_bpermute_b32 v2, v13, v0
	s_wait_dscnt 0x0
	v_max_num_f32_e32 v2, v2, v2
	v_max_num_f32_e32 v0, v0, v2
	v_add_f32_e32 v2, 0x40051340, v19
	s_delay_alu instid0(VALU_DEP_1) | instskip(SKIP_3) | instid1(VALU_DEP_1)
	v_max3_num_f32 v1, v126, v1, v2
	ds_bpermute_b32 v2, v7, v1
	s_wait_dscnt 0x0
	v_max_num_f32_e32 v2, v2, v2
	v_max_num_f32_e32 v1, v1, v2
	ds_bpermute_b32 v2, v9, v1
	s_wait_dscnt 0x0
	v_max_num_f32_e32 v2, v2, v2
	s_delay_alu instid0(VALU_DEP_1) | instskip(SKIP_3) | instid1(VALU_DEP_1)
	v_max_num_f32_e32 v1, v1, v2
	ds_bpermute_b32 v2, v10, v1
	s_wait_dscnt 0x0
	v_max_num_f32_e32 v2, v2, v2
	v_max_num_f32_e32 v1, v1, v2
	ds_bpermute_b32 v2, v11, v1
	s_wait_dscnt 0x0
	v_max_num_f32_e32 v2, v2, v2
	s_delay_alu instid0(VALU_DEP_1) | instskip(SKIP_3) | instid1(VALU_DEP_1)
	v_max_num_f32_e32 v1, v1, v2
	ds_bpermute_b32 v2, v13, v1
	s_wait_dscnt 0x0
	v_max_num_f32_e32 v2, v2, v2
	v_dual_max_num_f32 v1, v1, v2 :: v_dual_add_nc_u32 v2, v6, v109
	s_clause 0x1
	global_load_u16 v3, v2, s[34:35] scale_offset
	global_load_u16 v2, v2, s[34:35] offset:64 scale_offset
	s_wait_loadcnt 0x1
	v_cvt_f32_f16_e32 v3, v3
	s_wait_loadcnt 0x0
	v_cvt_f32_f16_e32 v5, v2
	s_delay_alu instid0(VALU_DEP_1) | instskip(SKIP_1) | instid1(VALU_DEP_2)
	v_dual_add_f32 v21, v130, v3 :: v_dual_add_f32 v22, v28, v5
	v_dual_add_f32 v23, v131, v3 :: v_dual_add_f32 v24, v24, v5
	v_add_f32_e32 v4, 0x40051340, v21
	s_delay_alu instid0(VALU_DEP_2) | instskip(NEXT) | instid1(VALU_DEP_1)
	v_dual_add_f32 v2, 0x40051340, v22 :: v_dual_add_f32 v3, 0x40051340, v23
	v_max3_num_f32 v2, v125, v4, v2
	ds_bpermute_b32 v4, v7, v2
	s_wait_dscnt 0x0
	v_max_num_f32_e32 v4, v4, v4
	s_delay_alu instid0(VALU_DEP_1) | instskip(SKIP_3) | instid1(VALU_DEP_1)
	v_max_num_f32_e32 v2, v2, v4
	ds_bpermute_b32 v4, v9, v2
	s_wait_dscnt 0x0
	v_max_num_f32_e32 v4, v4, v4
	v_max_num_f32_e32 v2, v2, v4
	ds_bpermute_b32 v4, v10, v2
	s_wait_dscnt 0x0
	v_max_num_f32_e32 v4, v4, v4
	s_delay_alu instid0(VALU_DEP_1) | instskip(SKIP_3) | instid1(VALU_DEP_1)
	v_max_num_f32_e32 v2, v2, v4
	ds_bpermute_b32 v4, v11, v2
	s_wait_dscnt 0x0
	v_max_num_f32_e32 v4, v4, v4
	v_max_num_f32_e32 v2, v2, v4
	ds_bpermute_b32 v4, v13, v2
	s_wait_dscnt 0x0
	v_max_num_f32_e32 v4, v4, v4
	s_delay_alu instid0(VALU_DEP_1) | instskip(SKIP_1) | instid1(VALU_DEP_1)
	v_max_num_f32_e32 v2, v2, v4
	v_add_f32_e32 v4, 0x40051340, v24
	v_max3_num_f32 v3, v124, v3, v4
	ds_bpermute_b32 v4, v7, v3
	s_wait_dscnt 0x0
	v_max_num_f32_e32 v4, v4, v4
	s_delay_alu instid0(VALU_DEP_1) | instskip(SKIP_3) | instid1(VALU_DEP_1)
	v_max_num_f32_e32 v3, v3, v4
	ds_bpermute_b32 v4, v9, v3
	s_wait_dscnt 0x0
	v_max_num_f32_e32 v4, v4, v4
	v_max_num_f32_e32 v3, v3, v4
	ds_bpermute_b32 v4, v10, v3
	s_wait_dscnt 0x0
	v_max_num_f32_e32 v4, v4, v4
	s_delay_alu instid0(VALU_DEP_1) | instskip(SKIP_3) | instid1(VALU_DEP_1)
	v_max_num_f32_e32 v3, v3, v4
	ds_bpermute_b32 v4, v11, v3
	s_wait_dscnt 0x0
	v_max_num_f32_e32 v4, v4, v4
	v_max_num_f32_e32 v3, v3, v4
	ds_bpermute_b32 v4, v13, v3
	s_wait_dscnt 0x0
	v_max_num_f32_e32 v4, v4, v4
	s_delay_alu instid0(VALU_DEP_1)
	v_dual_max_num_f32 v3, v3, v4 :: v_dual_add_nc_u32 v4, v6, v110
	v_add_nc_u32_e32 v6, v6, v111
	s_clause 0x1
	global_load_u16 v5, v4, s[34:35] scale_offset
	global_load_u16 v4, v4, s[34:35] offset:64 scale_offset
	s_wait_loadcnt 0x1
	v_cvt_f32_f16_e32 v5, v5
	s_wait_loadcnt 0x0
	v_cvt_f32_f16_e32 v26, v4
	s_delay_alu instid0(VALU_DEP_2) | instskip(NEXT) | instid1(VALU_DEP_2)
	v_dual_add_f32 v25, v135, v5 :: v_dual_add_f32 v29, v134, v5
	v_add_f32_e32 v28, v20, v26
	s_delay_alu instid0(VALU_DEP_2) | instskip(NEXT) | instid1(VALU_DEP_2)
	v_dual_add_f32 v33, v16, v26 :: v_dual_add_f32 v18, 0x40051340, v25
	v_dual_add_f32 v5, 0x40051340, v29 :: v_dual_add_f32 v4, 0x40051340, v28
	s_delay_alu instid0(VALU_DEP_2) | instskip(NEXT) | instid1(VALU_DEP_2)
	v_add_f32_e32 v16, 0x40051340, v33
	v_max3_num_f32 v4, v123, v18, v4
	s_delay_alu instid0(VALU_DEP_2) | instskip(SKIP_4) | instid1(VALU_DEP_1)
	v_max3_num_f32 v5, v122, v5, v16
	ds_bpermute_b32 v18, v7, v4
	ds_bpermute_b32 v16, v7, v5
	s_wait_dscnt 0x0
	v_dual_max_num_f32 v18, v18, v18 :: v_dual_max_num_f32 v16, v16, v16
	v_dual_max_num_f32 v4, v4, v18 :: v_dual_max_num_f32 v5, v5, v16
	ds_bpermute_b32 v18, v9, v4
	ds_bpermute_b32 v16, v9, v5
	s_wait_dscnt 0x0
	v_dual_max_num_f32 v18, v18, v18 :: v_dual_max_num_f32 v16, v16, v16
	s_delay_alu instid0(VALU_DEP_1) | instskip(SKIP_4) | instid1(VALU_DEP_1)
	v_dual_max_num_f32 v4, v4, v18 :: v_dual_max_num_f32 v5, v5, v16
	ds_bpermute_b32 v18, v10, v4
	ds_bpermute_b32 v16, v10, v5
	s_wait_dscnt 0x0
	v_dual_max_num_f32 v18, v18, v18 :: v_dual_max_num_f32 v16, v16, v16
	v_dual_max_num_f32 v4, v4, v18 :: v_dual_max_num_f32 v5, v5, v16
	ds_bpermute_b32 v18, v11, v4
	ds_bpermute_b32 v16, v11, v5
	s_wait_dscnt 0x0
	v_dual_max_num_f32 v18, v18, v18 :: v_dual_max_num_f32 v16, v16, v16
	s_delay_alu instid0(VALU_DEP_1) | instskip(SKIP_4) | instid1(VALU_DEP_1)
	v_dual_max_num_f32 v4, v4, v18 :: v_dual_max_num_f32 v5, v5, v16
	ds_bpermute_b32 v18, v13, v4
	ds_bpermute_b32 v16, v13, v5
	s_wait_dscnt 0x0
	v_dual_max_num_f32 v18, v18, v18 :: v_dual_max_num_f32 v16, v16, v16
	v_dual_max_num_f32 v4, v4, v18 :: v_dual_max_num_f32 v5, v5, v16
	s_clause 0x1
	global_load_u16 v16, v6, s[34:35] scale_offset
	global_load_u16 v6, v6, s[34:35] offset:64 scale_offset
	s_wait_loadcnt 0x0
	s_barrier_signal -1
	s_barrier_wait -1
	v_cvt_f32_f16_e32 v16, v16
	v_cvt_f32_f16_e32 v20, v6
	s_delay_alu instid0(VALU_DEP_2) | instskip(NEXT) | instid1(VALU_DEP_2)
	v_dual_add_f32 v34, v133, v16 :: v_dual_add_f32 v37, v132, v16
	v_add_f32_e32 v35, v12, v20
	s_delay_alu instid0(VALU_DEP_2) | instskip(SKIP_1) | instid1(VALU_DEP_2)
	v_dual_add_f32 v39, v8, v20 :: v_dual_add_f32 v18, 0x40051340, v34
	s_wait_xcnt 0x0
	v_add_f32_e32 v6, 0x40051340, v35
	s_delay_alu instid0(VALU_DEP_2) | instskip(NEXT) | instid1(VALU_DEP_2)
	v_add_f32_e32 v8, 0x40051340, v39
	v_max3_num_f32 v6, v121, v18, v6
	ds_bpermute_b32 v12, v7, v6
	s_wait_dscnt 0x0
	v_max_num_f32_e32 v12, v12, v12
	s_delay_alu instid0(VALU_DEP_1) | instskip(SKIP_3) | instid1(VALU_DEP_1)
	v_max_num_f32_e32 v6, v6, v12
	ds_bpermute_b32 v12, v9, v6
	s_wait_dscnt 0x0
	v_max_num_f32_e32 v12, v12, v12
	v_max_num_f32_e32 v6, v6, v12
	ds_bpermute_b32 v12, v10, v6
	s_wait_dscnt 0x0
	v_max_num_f32_e32 v12, v12, v12
	s_delay_alu instid0(VALU_DEP_1) | instskip(SKIP_3) | instid1(VALU_DEP_1)
	v_max_num_f32_e32 v6, v6, v12
	ds_bpermute_b32 v12, v11, v6
	s_wait_dscnt 0x0
	v_max_num_f32_e32 v12, v12, v12
	v_max_num_f32_e32 v6, v6, v12
	ds_bpermute_b32 v12, v13, v6
	s_wait_dscnt 0x0
	v_max_num_f32_e32 v12, v12, v12
	s_delay_alu instid0(VALU_DEP_1) | instskip(SKIP_1) | instid1(VALU_DEP_1)
	v_max_num_f32_e32 v6, v6, v12
	v_add_f32_e32 v12, 0x40051340, v37
	v_max3_num_f32 v8, v120, v12, v8
	ds_bpermute_b32 v7, v7, v8
	s_wait_dscnt 0x0
	v_max_num_f32_e32 v7, v7, v7
	s_delay_alu instid0(VALU_DEP_1) | instskip(SKIP_4) | instid1(VALU_DEP_1)
	v_max_num_f32_e32 v7, v8, v7
	ds_bpermute_b32 v8, v9, v7
	v_sub_f32_e32 v9, v127, v0
	s_wait_dscnt 0x0
	v_max_num_f32_e32 v8, v8, v8
	v_max_num_f32_e32 v7, v7, v8
	ds_bpermute_b32 v8, v10, v7
	s_wait_dscnt 0x0
	v_max_num_f32_e32 v8, v8, v8
	s_delay_alu instid0(VALU_DEP_1) | instskip(SKIP_3) | instid1(VALU_DEP_1)
	v_max_num_f32_e32 v7, v7, v8
	ds_bpermute_b32 v8, v11, v7
	s_wait_dscnt 0x0
	v_max_num_f32_e32 v8, v8, v8
	v_max_num_f32_e32 v7, v7, v8
	ds_bpermute_b32 v8, v13, v7
	s_wait_dscnt 0x0
	v_max_num_f32_e32 v8, v8, v8
	s_delay_alu instid0(VALU_DEP_1) | instskip(SKIP_1) | instid1(VALU_DEP_1)
	v_max_num_f32_e32 v7, v7, v8
	v_sub_f32_e32 v8, v14, v0
	v_mul_f32_e32 v10, 0x3fb8aa3b, v8
	v_cmp_ngt_f32_e32 vcc_lo, 0xc2ce8ed0, v8
	s_delay_alu instid0(VALU_DEP_2) | instskip(SKIP_1) | instid1(VALU_DEP_2)
	v_fma_f32 v11, 0x3fb8aa3b, v8, -v10
	v_rndne_f32_e32 v12, v10
	v_fmac_f32_e32 v11, 0x32a5705f, v8
	s_delay_alu instid0(VALU_DEP_2) | instskip(NEXT) | instid1(VALU_DEP_1)
	v_sub_f32_e32 v10, v10, v12
	v_add_f32_e32 v10, v10, v11
	v_cvt_i32_f32_e32 v11, v12
	s_delay_alu instid0(VALU_DEP_2) | instskip(SKIP_1) | instid1(TRANS32_DEP_1)
	v_exp_f32_e32 v10, v10
	v_nop
	v_ldexp_f32 v10, v10, v11
	s_delay_alu instid0(VALU_DEP_1) | instskip(SKIP_1) | instid1(VALU_DEP_2)
	v_cndmask_b32_e32 v10, 0, v10, vcc_lo
	v_cmp_nlt_f32_e32 vcc_lo, 0x42b17218, v8
	v_cndmask_b32_e32 v8, 0x7f800000, v10, vcc_lo
	v_sub_f32_e32 v10, v15, v0
	s_delay_alu instid0(VALU_DEP_1) | instskip(SKIP_1) | instid1(VALU_DEP_2)
	v_mul_f32_e32 v11, 0x3fb8aa3b, v10
	v_cmp_ngt_f32_e32 vcc_lo, 0xc2ce8ed0, v10
	v_fma_f32 v12, 0x3fb8aa3b, v10, -v11
	v_rndne_f32_e32 v13, v11
	s_delay_alu instid0(VALU_DEP_1) | instskip(NEXT) | instid1(VALU_DEP_1)
	v_dual_fmac_f32 v12, 0x32a5705f, v10 :: v_dual_sub_f32 v11, v11, v13
	v_add_f32_e32 v11, v11, v12
	v_cvt_i32_f32_e32 v12, v13
	s_delay_alu instid0(VALU_DEP_2) | instskip(SKIP_1) | instid1(TRANS32_DEP_1)
	v_exp_f32_e32 v11, v11
	v_nop
	v_ldexp_f32 v11, v11, v12
	s_delay_alu instid0(VALU_DEP_1) | instskip(SKIP_1) | instid1(VALU_DEP_2)
	v_cndmask_b32_e32 v11, 0, v11, vcc_lo
	v_cmp_nlt_f32_e32 vcc_lo, 0x42b17218, v10
	v_cndmask_b32_e32 v10, 0x7f800000, v11, vcc_lo
	v_mul_f32_e32 v11, 0x3fb8aa3b, v9
	v_cmp_ngt_f32_e32 vcc_lo, 0xc2ce8ed0, v9
	s_delay_alu instid0(VALU_DEP_2) | instskip(SKIP_1) | instid1(VALU_DEP_2)
	v_fma_f32 v12, 0x3fb8aa3b, v9, -v11
	v_rndne_f32_e32 v13, v11
	v_fmac_f32_e32 v12, 0x32a5705f, v9
	s_delay_alu instid0(VALU_DEP_2) | instskip(NEXT) | instid1(VALU_DEP_1)
	v_sub_f32_e32 v11, v11, v13
	v_add_f32_e32 v11, v11, v12
	v_cvt_i32_f32_e32 v12, v13
	v_sub_f32_e32 v13, v126, v1
	s_delay_alu instid0(VALU_DEP_3) | instskip(SKIP_1) | instid1(TRANS32_DEP_1)
	v_exp_f32_e32 v11, v11
	v_nop
	v_ldexp_f32 v11, v11, v12
	s_delay_alu instid0(VALU_DEP_1) | instskip(SKIP_1) | instid1(VALU_DEP_2)
	v_cndmask_b32_e32 v11, 0, v11, vcc_lo
	v_cmp_nlt_f32_e32 vcc_lo, 0x42b17218, v9
	v_cndmask_b32_e32 v12, 0x7f800000, v11, vcc_lo
	s_delay_alu instid0(VALU_DEP_1) | instskip(NEXT) | instid1(VALU_DEP_1)
	v_cvt_f16_f32_e32 v9, v12
	v_and_b32_e32 v9, 0xffff, v9
	s_delay_alu instid0(VALU_DEP_1) | instskip(NEXT) | instid1(VALU_DEP_1)
	v_mul_u32_u24_e32 v9, 0x10001, v9
	v_pk_mul_f16 v18, v119, v9
	v_sub_f32_e32 v9, v17, v1
	s_delay_alu instid0(VALU_DEP_1) | instskip(NEXT) | instid1(VALU_DEP_1)
	v_mul_f32_e32 v11, 0x3fb8aa3b, v9
	v_fma_f32 v14, 0x3fb8aa3b, v9, -v11
	v_rndne_f32_e32 v15, v11
	s_delay_alu instid0(VALU_DEP_1) | instskip(SKIP_1) | instid1(VALU_DEP_4)
	v_sub_f32_e32 v11, v11, v15
	v_cmp_ngt_f32_e32 vcc_lo, 0xc2ce8ed0, v9
	v_fmac_f32_e32 v14, 0x32a5705f, v9
	s_delay_alu instid0(VALU_DEP_1) | instskip(SKIP_1) | instid1(VALU_DEP_2)
	v_add_f32_e32 v11, v11, v14
	v_cvt_i32_f32_e32 v14, v15
	v_exp_f32_e32 v11, v11
	v_nop
	s_delay_alu instid0(TRANS32_DEP_1) | instskip(NEXT) | instid1(VALU_DEP_1)
	v_ldexp_f32 v11, v11, v14
	v_cndmask_b32_e32 v11, 0, v11, vcc_lo
	v_cmp_nlt_f32_e32 vcc_lo, 0x42b17218, v9
	s_delay_alu instid0(VALU_DEP_2) | instskip(SKIP_1) | instid1(VALU_DEP_1)
	v_cndmask_b32_e32 v9, 0x7f800000, v11, vcc_lo
	v_sub_f32_e32 v11, v19, v1
	v_mul_f32_e32 v14, 0x3fb8aa3b, v11
	v_cmp_ngt_f32_e32 vcc_lo, 0xc2ce8ed0, v11
	s_delay_alu instid0(VALU_DEP_2) | instskip(SKIP_1) | instid1(VALU_DEP_1)
	v_fma_f32 v15, 0x3fb8aa3b, v11, -v14
	v_rndne_f32_e32 v16, v14
	v_dual_fmac_f32 v15, 0x32a5705f, v11 :: v_dual_sub_f32 v14, v14, v16
	s_delay_alu instid0(VALU_DEP_1) | instskip(SKIP_1) | instid1(VALU_DEP_2)
	v_add_f32_e32 v14, v14, v15
	v_cvt_i32_f32_e32 v15, v16
	v_exp_f32_e32 v14, v14
	v_nop
	s_delay_alu instid0(TRANS32_DEP_1) | instskip(NEXT) | instid1(VALU_DEP_1)
	v_ldexp_f32 v14, v14, v15
	v_cndmask_b32_e32 v14, 0, v14, vcc_lo
	v_cmp_nlt_f32_e32 vcc_lo, 0x42b17218, v11
	s_delay_alu instid0(VALU_DEP_2) | instskip(SKIP_2) | instid1(VALU_DEP_2)
	v_cndmask_b32_e32 v11, 0x7f800000, v14, vcc_lo
	v_mul_f32_e32 v14, 0x3fb8aa3b, v13
	v_cmp_ngt_f32_e32 vcc_lo, 0xc2ce8ed0, v13
	v_fma_f32 v15, 0x3fb8aa3b, v13, -v14
	v_rndne_f32_e32 v16, v14
	s_delay_alu instid0(VALU_DEP_1) | instskip(NEXT) | instid1(VALU_DEP_1)
	v_dual_fmac_f32 v15, 0x32a5705f, v13 :: v_dual_sub_f32 v14, v14, v16
	v_add_f32_e32 v14, v14, v15
	v_cvt_i32_f32_e32 v15, v16
	s_delay_alu instid0(VALU_DEP_2) | instskip(SKIP_1) | instid1(TRANS32_DEP_1)
	v_exp_f32_e32 v14, v14
	v_nop
	v_ldexp_f32 v14, v14, v15
	v_sub_f32_e32 v15, v125, v2
	s_delay_alu instid0(VALU_DEP_2) | instskip(SKIP_1) | instid1(VALU_DEP_2)
	v_cndmask_b32_e32 v14, 0, v14, vcc_lo
	v_cmp_nlt_f32_e32 vcc_lo, 0x42b17218, v13
	v_cndmask_b32_e32 v13, 0x7f800000, v14, vcc_lo
	s_delay_alu instid0(VALU_DEP_1) | instskip(NEXT) | instid1(VALU_DEP_1)
	v_cvt_f16_f32_e32 v14, v13
	v_and_b32_e32 v14, 0xffff, v14
	s_delay_alu instid0(VALU_DEP_1) | instskip(NEXT) | instid1(VALU_DEP_1)
	v_mul_u32_u24_e32 v14, 0x10001, v14
	v_pk_mul_f16 v19, v118, v14
	v_sub_f32_e32 v14, v21, v2
	s_delay_alu instid0(VALU_DEP_1) | instskip(SKIP_1) | instid1(VALU_DEP_2)
	v_mul_f32_e32 v16, 0x3fb8aa3b, v14
	v_cmp_ngt_f32_e32 vcc_lo, 0xc2ce8ed0, v14
	v_fma_f32 v17, 0x3fb8aa3b, v14, -v16
	v_rndne_f32_e32 v20, v16
	s_delay_alu instid0(VALU_DEP_1) | instskip(NEXT) | instid1(VALU_DEP_1)
	v_dual_fmac_f32 v17, 0x32a5705f, v14 :: v_dual_sub_f32 v16, v16, v20
	v_add_f32_e32 v16, v16, v17
	v_cvt_i32_f32_e32 v17, v20
	s_delay_alu instid0(VALU_DEP_2) | instskip(SKIP_1) | instid1(TRANS32_DEP_1)
	v_exp_f32_e32 v16, v16
	v_nop
	v_ldexp_f32 v16, v16, v17
	s_delay_alu instid0(VALU_DEP_1) | instskip(SKIP_1) | instid1(VALU_DEP_2)
	v_cndmask_b32_e32 v16, 0, v16, vcc_lo
	v_cmp_nlt_f32_e32 vcc_lo, 0x42b17218, v14
	v_cndmask_b32_e32 v14, 0x7f800000, v16, vcc_lo
	v_sub_f32_e32 v16, v22, v2
	s_delay_alu instid0(VALU_DEP_1) | instskip(NEXT) | instid1(VALU_DEP_1)
	v_mul_f32_e32 v17, 0x3fb8aa3b, v16
	v_fma_f32 v20, 0x3fb8aa3b, v16, -v17
	v_rndne_f32_e32 v21, v17
	s_delay_alu instid0(VALU_DEP_1) | instskip(NEXT) | instid1(VALU_DEP_1)
	v_dual_fmac_f32 v20, 0x32a5705f, v16 :: v_dual_sub_f32 v17, v17, v21
	v_add_f32_e32 v17, v17, v20
	v_cvt_i32_f32_e32 v20, v21
	v_cmp_ngt_f32_e32 vcc_lo, 0xc2ce8ed0, v16
	s_delay_alu instid0(VALU_DEP_3) | instskip(SKIP_1) | instid1(TRANS32_DEP_1)
	v_exp_f32_e32 v17, v17
	v_nop
	v_ldexp_f32 v17, v17, v20
	s_delay_alu instid0(VALU_DEP_1) | instskip(SKIP_1) | instid1(VALU_DEP_2)
	v_cndmask_b32_e32 v17, 0, v17, vcc_lo
	v_cmp_nlt_f32_e32 vcc_lo, 0x42b17218, v16
	v_cndmask_b32_e32 v16, 0x7f800000, v17, vcc_lo
	v_mul_f32_e32 v17, 0x3fb8aa3b, v15
	v_cmp_ngt_f32_e32 vcc_lo, 0xc2ce8ed0, v15
	s_delay_alu instid0(VALU_DEP_2) | instskip(SKIP_1) | instid1(VALU_DEP_1)
	v_fma_f32 v20, 0x3fb8aa3b, v15, -v17
	v_rndne_f32_e32 v21, v17
	v_dual_fmac_f32 v20, 0x32a5705f, v15 :: v_dual_sub_f32 v17, v17, v21
	s_delay_alu instid0(VALU_DEP_1) | instskip(SKIP_2) | instid1(VALU_DEP_3)
	v_add_f32_e32 v17, v17, v20
	v_cvt_i32_f32_e32 v20, v21
	v_sub_f32_e32 v21, v124, v3
	v_exp_f32_e32 v17, v17
	v_nop
	s_delay_alu instid0(TRANS32_DEP_1) | instskip(NEXT) | instid1(VALU_DEP_1)
	v_ldexp_f32 v17, v17, v20
	v_cndmask_b32_e32 v17, 0, v17, vcc_lo
	v_cmp_nlt_f32_e32 vcc_lo, 0x42b17218, v15
	s_delay_alu instid0(VALU_DEP_2) | instskip(NEXT) | instid1(VALU_DEP_1)
	v_cndmask_b32_e32 v26, 0x7f800000, v17, vcc_lo
	v_cvt_f16_f32_e32 v15, v26
	s_delay_alu instid0(VALU_DEP_1) | instskip(NEXT) | instid1(VALU_DEP_1)
	v_and_b32_e32 v15, 0xffff, v15
	v_mul_u32_u24_e32 v15, 0x10001, v15
	s_delay_alu instid0(VALU_DEP_1) | instskip(SKIP_1) | instid1(VALU_DEP_1)
	v_pk_mul_f16 v20, v117, v15
	v_sub_f32_e32 v15, v23, v3
	v_mul_f32_e32 v17, 0x3fb8aa3b, v15
	s_delay_alu instid0(VALU_DEP_1) | instskip(SKIP_1) | instid1(VALU_DEP_2)
	v_fma_f32 v22, 0x3fb8aa3b, v15, -v17
	v_rndne_f32_e32 v23, v17
	v_fmac_f32_e32 v22, 0x32a5705f, v15
	s_delay_alu instid0(VALU_DEP_2) | instskip(NEXT) | instid1(VALU_DEP_1)
	v_sub_f32_e32 v17, v17, v23
	v_add_f32_e32 v17, v17, v22
	v_cvt_i32_f32_e32 v22, v23
	v_cmp_ngt_f32_e32 vcc_lo, 0xc2ce8ed0, v15
	s_delay_alu instid0(VALU_DEP_3) | instskip(SKIP_1) | instid1(TRANS32_DEP_1)
	v_exp_f32_e32 v17, v17
	v_nop
	v_ldexp_f32 v17, v17, v22
	s_delay_alu instid0(VALU_DEP_1) | instskip(SKIP_1) | instid1(VALU_DEP_2)
	v_cndmask_b32_e32 v17, 0, v17, vcc_lo
	v_cmp_nlt_f32_e32 vcc_lo, 0x42b17218, v15
	v_cndmask_b32_e32 v15, 0x7f800000, v17, vcc_lo
	v_sub_f32_e32 v17, v24, v3
	s_delay_alu instid0(VALU_DEP_1) | instskip(SKIP_1) | instid1(VALU_DEP_2)
	v_mul_f32_e32 v22, 0x3fb8aa3b, v17
	v_cmp_ngt_f32_e32 vcc_lo, 0xc2ce8ed0, v17
	v_fma_f32 v23, 0x3fb8aa3b, v17, -v22
	v_rndne_f32_e32 v24, v22
	s_delay_alu instid0(VALU_DEP_1) | instskip(NEXT) | instid1(VALU_DEP_1)
	v_dual_fmac_f32 v23, 0x32a5705f, v17 :: v_dual_sub_f32 v22, v22, v24
	v_add_f32_e32 v22, v22, v23
	v_cvt_i32_f32_e32 v23, v24
	s_delay_alu instid0(VALU_DEP_2) | instskip(SKIP_1) | instid1(TRANS32_DEP_1)
	v_exp_f32_e32 v22, v22
	v_nop
	v_ldexp_f32 v22, v22, v23
	s_delay_alu instid0(VALU_DEP_1) | instskip(SKIP_1) | instid1(VALU_DEP_2)
	v_cndmask_b32_e32 v22, 0, v22, vcc_lo
	v_cmp_nlt_f32_e32 vcc_lo, 0x42b17218, v17
	v_cndmask_b32_e32 v17, 0x7f800000, v22, vcc_lo
	v_mul_f32_e32 v22, 0x3fb8aa3b, v21
	v_cmp_ngt_f32_e32 vcc_lo, 0xc2ce8ed0, v21
	s_delay_alu instid0(VALU_DEP_2) | instskip(SKIP_1) | instid1(VALU_DEP_1)
	v_fma_f32 v23, 0x3fb8aa3b, v21, -v22
	v_rndne_f32_e32 v24, v22
	v_dual_fmac_f32 v23, 0x32a5705f, v21 :: v_dual_sub_f32 v22, v22, v24
	s_delay_alu instid0(VALU_DEP_1) | instskip(SKIP_1) | instid1(VALU_DEP_2)
	v_add_f32_e32 v22, v22, v23
	v_cvt_i32_f32_e32 v23, v24
	v_exp_f32_e32 v22, v22
	v_nop
	s_delay_alu instid0(TRANS32_DEP_1) | instskip(NEXT) | instid1(VALU_DEP_1)
	v_ldexp_f32 v22, v22, v23
	v_dual_sub_f32 v23, v25, v4 :: v_dual_cndmask_b32 v22, 0, v22
	s_delay_alu instid0(VALU_DEP_1) | instskip(SKIP_1) | instid1(VALU_DEP_2)
	v_mul_f32_e32 v24, 0x3fb8aa3b, v23
	v_cmp_nlt_f32_e32 vcc_lo, 0x42b17218, v21
	v_fma_f32 v25, 0x3fb8aa3b, v23, -v24
	v_rndne_f32_e32 v30, v24
	s_delay_alu instid0(VALU_DEP_1) | instskip(SKIP_2) | instid1(VALU_DEP_3)
	v_dual_fmac_f32 v25, 0x32a5705f, v23 :: v_dual_sub_f32 v24, v24, v30
	v_cndmask_b32_e32 v27, 0x7f800000, v22, vcc_lo
	v_cmp_ngt_f32_e32 vcc_lo, 0xc2ce8ed0, v23
	v_dual_sub_f32 v22, v123, v4 :: v_dual_add_f32 v24, v24, v25
	v_cvt_i32_f32_e32 v25, v30
	s_delay_alu instid0(VALU_DEP_4) | instskip(NEXT) | instid1(VALU_DEP_3)
	v_cvt_f16_f32_e32 v21, v27
	v_exp_f32_e32 v24, v24
	s_delay_alu instid0(VALU_DEP_1) | instskip(NEXT) | instid1(TRANS32_DEP_1)
	v_and_b32_e32 v21, 0xffff, v21
	v_ldexp_f32 v24, v24, v25
	s_delay_alu instid0(VALU_DEP_2) | instskip(NEXT) | instid1(VALU_DEP_2)
	v_mul_u32_u24_e32 v21, 0x10001, v21
	v_cndmask_b32_e32 v24, 0, v24, vcc_lo
	v_cmp_nlt_f32_e32 vcc_lo, 0x42b17218, v23
	v_sub_f32_e32 v23, v28, v4
	s_delay_alu instid0(VALU_DEP_4) | instskip(SKIP_2) | instid1(VALU_DEP_4)
	v_pk_mul_f16 v21, v116, v21
	v_pk_add_f32 v[116:117], v[14:15], v[16:17]
	v_cndmask_b32_e32 v30, 0x7f800000, v24, vcc_lo
	v_mul_f32_e32 v24, 0x3fb8aa3b, v23
	v_cmp_ngt_f32_e32 vcc_lo, 0xc2ce8ed0, v23
	s_delay_alu instid0(VALU_DEP_4) | instskip(SKIP_4) | instid1(VALU_DEP_1)
	v_pk_fma_f32 v[44:45], v[44:45], v[26:27], v[116:117]
	v_cvt_pk_f16_f32 v27, v14, v15
	v_cvt_pk_f16_f32 v26, v8, v9
	v_fma_f32 v25, 0x3fb8aa3b, v23, -v24
	v_rndne_f32_e32 v28, v24
	v_dual_fmac_f32 v25, 0x32a5705f, v23 :: v_dual_sub_f32 v24, v24, v28
	s_delay_alu instid0(VALU_DEP_1) | instskip(SKIP_1) | instid1(VALU_DEP_2)
	v_add_f32_e32 v24, v24, v25
	v_cvt_i32_f32_e32 v25, v28
	v_exp_f32_e32 v24, v24
	v_nop
	s_delay_alu instid0(TRANS32_DEP_1) | instskip(NEXT) | instid1(VALU_DEP_1)
	v_ldexp_f32 v24, v24, v25
	v_cndmask_b32_e32 v24, 0, v24, vcc_lo
	v_cmp_nlt_f32_e32 vcc_lo, 0x42b17218, v23
	v_mul_f32_e32 v23, 0x3fb8aa3b, v22
	s_delay_alu instid0(VALU_DEP_3) | instskip(NEXT) | instid1(VALU_DEP_2)
	v_cndmask_b32_e32 v32, 0x7f800000, v24, vcc_lo
	v_fma_f32 v24, 0x3fb8aa3b, v22, -v23
	v_rndne_f32_e32 v25, v23
	v_cmp_ngt_f32_e32 vcc_lo, 0xc2ce8ed0, v22
	s_delay_alu instid0(VALU_DEP_2) | instskip(NEXT) | instid1(VALU_DEP_1)
	v_dual_fmac_f32 v24, 0x32a5705f, v22 :: v_dual_sub_f32 v23, v23, v25
	v_add_f32_e32 v23, v23, v24
	v_cvt_i32_f32_e32 v24, v25
	s_delay_alu instid0(VALU_DEP_2) | instskip(SKIP_1) | instid1(TRANS32_DEP_1)
	v_exp_f32_e32 v23, v23
	v_nop
	v_ldexp_f32 v23, v23, v24
	s_delay_alu instid0(VALU_DEP_1) | instskip(SKIP_1) | instid1(VALU_DEP_2)
	v_cndmask_b32_e32 v23, 0, v23, vcc_lo
	v_cmp_nlt_f32_e32 vcc_lo, 0x42b17218, v22
	v_dual_cndmask_b32 v28, 0x7f800000, v23 :: v_dual_sub_f32 v23, v122, v5
	v_sub_f32_e32 v24, v29, v5
	s_delay_alu instid0(VALU_DEP_1) | instskip(SKIP_1) | instid1(VALU_DEP_2)
	v_mul_f32_e32 v25, 0x3fb8aa3b, v24
	v_cmp_ngt_f32_e32 vcc_lo, 0xc2ce8ed0, v24
	v_fma_f32 v29, 0x3fb8aa3b, v24, -v25
	v_rndne_f32_e32 v31, v25
	s_delay_alu instid0(VALU_DEP_2) | instskip(NEXT) | instid1(VALU_DEP_2)
	v_fmac_f32_e32 v29, 0x32a5705f, v24
	v_sub_f32_e32 v25, v25, v31
	s_delay_alu instid0(VALU_DEP_1) | instskip(SKIP_1) | instid1(VALU_DEP_2)
	v_add_f32_e32 v25, v25, v29
	v_cvt_i32_f32_e32 v29, v31
	v_exp_f32_e32 v25, v25
	v_nop
	s_delay_alu instid0(TRANS32_DEP_1) | instskip(NEXT) | instid1(VALU_DEP_1)
	v_ldexp_f32 v25, v25, v29
	v_cndmask_b32_e32 v25, 0, v25, vcc_lo
	v_cmp_nlt_f32_e32 vcc_lo, 0x42b17218, v24
	v_sub_f32_e32 v24, v33, v5
	s_delay_alu instid0(VALU_DEP_3) | instskip(NEXT) | instid1(VALU_DEP_2)
	v_cndmask_b32_e32 v31, 0x7f800000, v25, vcc_lo
	v_mul_f32_e32 v25, 0x3fb8aa3b, v24
	v_cmp_ngt_f32_e32 vcc_lo, 0xc2ce8ed0, v24
	s_delay_alu instid0(VALU_DEP_2) | instskip(SKIP_1) | instid1(VALU_DEP_2)
	v_fma_f32 v29, 0x3fb8aa3b, v24, -v25
	v_rndne_f32_e32 v33, v25
	v_fmac_f32_e32 v29, 0x32a5705f, v24
	s_delay_alu instid0(VALU_DEP_2) | instskip(SKIP_1) | instid1(VALU_DEP_2)
	v_sub_f32_e32 v25, v25, v33
	v_cvt_f16_f32_e32 v22, v28
	v_add_f32_e32 v25, v25, v29
	v_cvt_i32_f32_e32 v29, v33
	s_delay_alu instid0(VALU_DEP_3) | instskip(NEXT) | instid1(VALU_DEP_3)
	v_and_b32_e32 v22, 0xffff, v22
	v_exp_f32_e32 v25, v25
	s_delay_alu instid0(VALU_DEP_1) | instskip(NEXT) | instid1(TRANS32_DEP_1)
	v_mul_u32_u24_e32 v22, 0x10001, v22
	v_ldexp_f32 v25, v25, v29
	s_delay_alu instid0(VALU_DEP_2) | instskip(NEXT) | instid1(VALU_DEP_2)
	v_pk_mul_f16 v22, v115, v22
	v_cndmask_b32_e32 v25, 0, v25, vcc_lo
	v_cmp_nlt_f32_e32 vcc_lo, 0x42b17218, v24
	v_mul_f32_e32 v24, 0x3fb8aa3b, v23
	s_delay_alu instid0(VALU_DEP_3) | instskip(NEXT) | instid1(VALU_DEP_2)
	v_cndmask_b32_e32 v33, 0x7f800000, v25, vcc_lo
	v_fma_f32 v25, 0x3fb8aa3b, v23, -v24
	v_rndne_f32_e32 v29, v24
	v_cmp_ngt_f32_e32 vcc_lo, 0xc2ce8ed0, v23
	s_delay_alu instid0(VALU_DEP_4) | instskip(NEXT) | instid1(VALU_DEP_3)
	v_cvt_pk_f16_f32 v14, v32, v33
	v_dual_fmac_f32 v25, 0x32a5705f, v23 :: v_dual_sub_f32 v24, v24, v29
	s_delay_alu instid0(VALU_DEP_1) | instskip(SKIP_1) | instid1(VALU_DEP_2)
	v_add_f32_e32 v24, v24, v25
	v_cvt_i32_f32_e32 v25, v29
	v_exp_f32_e32 v24, v24
	v_nop
	s_delay_alu instid0(TRANS32_DEP_1) | instskip(NEXT) | instid1(VALU_DEP_1)
	v_ldexp_f32 v24, v24, v25
	v_dual_sub_f32 v25, v34, v6 :: v_dual_cndmask_b32 v24, 0, v24
	s_delay_alu instid0(VALU_DEP_1) | instskip(SKIP_1) | instid1(VALU_DEP_2)
	v_mul_f32_e32 v34, 0x3fb8aa3b, v25
	v_cmp_nlt_f32_e32 vcc_lo, 0x42b17218, v23
	v_fma_f32 v36, 0x3fb8aa3b, v25, -v34
	v_rndne_f32_e32 v38, v34
	v_cndmask_b32_e32 v29, 0x7f800000, v24, vcc_lo
	v_cmp_ngt_f32_e32 vcc_lo, 0xc2ce8ed0, v25
	v_sub_f32_e32 v24, v121, v6
	v_fmac_f32_e32 v36, 0x32a5705f, v25
	v_sub_f32_e32 v34, v34, v38
	v_cvt_f16_f32_e32 v23, v29
	v_pk_add_f32 v[118:119], v[30:31], v[32:33]
	s_delay_alu instid0(VALU_DEP_3) | instskip(SKIP_1) | instid1(VALU_DEP_4)
	v_add_f32_e32 v34, v34, v36
	v_cvt_i32_f32_e32 v36, v38
	v_and_b32_e32 v23, 0xffff, v23
	s_delay_alu instid0(VALU_DEP_4) | instskip(SKIP_2) | instid1(VALU_DEP_3)
	v_pk_fma_f32 v[42:43], v[42:43], v[28:29], v[118:119]
	v_cvt_pk_f16_f32 v28, v30, v31
	v_exp_f32_e32 v34, v34
	v_mul_u32_u24_e32 v23, 0x10001, v23
	s_delay_alu instid0(TRANS32_DEP_1) | instskip(NEXT) | instid1(VALU_DEP_2)
	v_ldexp_f32 v34, v34, v36
	v_pk_mul_f16 v23, v114, v23
	s_delay_alu instid0(VALU_DEP_2) | instskip(SKIP_2) | instid1(VALU_DEP_1)
	v_cndmask_b32_e32 v34, 0, v34, vcc_lo
	v_cmp_nlt_f32_e32 vcc_lo, 0x42b17218, v25
	v_sub_f32_e32 v25, v35, v6
	v_mul_f32_e32 v35, 0x3fb8aa3b, v25
	s_delay_alu instid0(VALU_DEP_4) | instskip(SKIP_1) | instid1(VALU_DEP_3)
	v_cndmask_b32_e32 v34, 0x7f800000, v34, vcc_lo
	v_cmp_ngt_f32_e32 vcc_lo, 0xc2ce8ed0, v25
	v_fma_f32 v36, 0x3fb8aa3b, v25, -v35
	v_rndne_f32_e32 v38, v35
	s_delay_alu instid0(VALU_DEP_1) | instskip(NEXT) | instid1(VALU_DEP_1)
	v_dual_fmac_f32 v36, 0x32a5705f, v25 :: v_dual_sub_f32 v35, v35, v38
	v_add_f32_e32 v35, v35, v36
	v_cvt_i32_f32_e32 v36, v38
	s_delay_alu instid0(VALU_DEP_2) | instskip(SKIP_1) | instid1(TRANS32_DEP_1)
	v_exp_f32_e32 v35, v35
	v_nop
	v_ldexp_f32 v35, v35, v36
	s_delay_alu instid0(VALU_DEP_1) | instskip(SKIP_2) | instid1(VALU_DEP_1)
	v_cndmask_b32_e32 v35, 0, v35, vcc_lo
	v_cmp_nlt_f32_e32 vcc_lo, 0x42b17218, v25
	v_mul_f32_e32 v25, 0x3fb8aa3b, v24
	v_rndne_f32_e32 v38, v25
	s_delay_alu instid0(VALU_DEP_4) | instskip(SKIP_2) | instid1(VALU_DEP_4)
	v_cndmask_b32_e32 v36, 0x7f800000, v35, vcc_lo
	v_fma_f32 v35, 0x3fb8aa3b, v24, -v25
	v_cmp_ngt_f32_e32 vcc_lo, 0xc2ce8ed0, v24
	v_sub_f32_e32 v25, v25, v38
	s_delay_alu instid0(VALU_DEP_3) | instskip(NEXT) | instid1(VALU_DEP_1)
	v_fmac_f32_e32 v35, 0x32a5705f, v24
	v_add_f32_e32 v25, v25, v35
	v_cvt_i32_f32_e32 v35, v38
	s_delay_alu instid0(VALU_DEP_2) | instskip(SKIP_1) | instid1(TRANS32_DEP_1)
	v_exp_f32_e32 v25, v25
	v_nop
	v_ldexp_f32 v25, v25, v35
	s_delay_alu instid0(VALU_DEP_1) | instskip(SKIP_1) | instid1(VALU_DEP_2)
	v_dual_sub_f32 v35, v37, v7 :: v_dual_cndmask_b32 v25, 0, v25, vcc_lo
	v_cmp_nlt_f32_e32 vcc_lo, 0x42b17218, v24
	v_mul_f32_e32 v37, 0x3fb8aa3b, v35
	s_delay_alu instid0(VALU_DEP_3) | instskip(NEXT) | instid1(VALU_DEP_2)
	v_dual_cndmask_b32 v38, 0x7f800000, v25 :: v_dual_sub_f32 v25, v120, v7
	v_rndne_f32_e32 v114, v37
	v_cmp_ngt_f32_e32 vcc_lo, 0xc2ce8ed0, v35
	s_delay_alu instid0(VALU_DEP_3) | instskip(NEXT) | instid1(VALU_DEP_1)
	v_cvt_f16_f32_e32 v24, v38
	v_and_b32_e32 v24, 0xffff, v24
	s_delay_alu instid0(VALU_DEP_1) | instskip(NEXT) | instid1(VALU_DEP_1)
	v_mul_u32_u24_e32 v24, 0x10001, v24
	v_pk_mul_f16 v24, v113, v24
	v_fma_f32 v113, 0x3fb8aa3b, v35, -v37
	v_sub_f32_e32 v37, v37, v114
	s_delay_alu instid0(VALU_DEP_2) | instskip(NEXT) | instid1(VALU_DEP_1)
	v_fmac_f32_e32 v113, 0x32a5705f, v35
	v_add_f32_e32 v37, v37, v113
	v_cvt_i32_f32_e32 v113, v114
	s_delay_alu instid0(VALU_DEP_2) | instskip(SKIP_1) | instid1(TRANS32_DEP_1)
	v_exp_f32_e32 v37, v37
	v_nop
	v_ldexp_f32 v37, v37, v113
	s_delay_alu instid0(VALU_DEP_1) | instskip(SKIP_1) | instid1(VALU_DEP_2)
	v_cndmask_b32_e32 v37, 0, v37, vcc_lo
	v_cmp_nlt_f32_e32 vcc_lo, 0x42b17218, v35
	v_cndmask_b32_e32 v35, 0x7f800000, v37, vcc_lo
	v_sub_f32_e32 v37, v39, v7
	s_delay_alu instid0(VALU_DEP_2) | instskip(NEXT) | instid1(VALU_DEP_2)
	v_cvt_pk_f16_f32 v29, v34, v35
	v_mul_f32_e32 v39, 0x3fb8aa3b, v37
	v_cmp_ngt_f32_e32 vcc_lo, 0xc2ce8ed0, v37
	s_delay_alu instid0(VALU_DEP_2) | instskip(SKIP_1) | instid1(VALU_DEP_2)
	v_fma_f32 v113, 0x3fb8aa3b, v37, -v39
	v_rndne_f32_e32 v114, v39
	v_fmac_f32_e32 v113, 0x32a5705f, v37
	s_delay_alu instid0(VALU_DEP_2) | instskip(NEXT) | instid1(VALU_DEP_1)
	v_sub_f32_e32 v39, v39, v114
	v_add_f32_e32 v39, v39, v113
	v_cvt_i32_f32_e32 v113, v114
	s_delay_alu instid0(VALU_DEP_2) | instskip(SKIP_1) | instid1(TRANS32_DEP_1)
	v_exp_f32_e32 v39, v39
	v_nop
	v_ldexp_f32 v39, v39, v113
	s_delay_alu instid0(VALU_DEP_1) | instskip(SKIP_1) | instid1(VALU_DEP_2)
	v_cndmask_b32_e32 v39, 0, v39, vcc_lo
	v_cmp_nlt_f32_e32 vcc_lo, 0x42b17218, v37
	v_cndmask_b32_e32 v37, 0x7f800000, v39, vcc_lo
	v_mul_f32_e32 v39, 0x3fb8aa3b, v25
	v_cmp_ngt_f32_e32 vcc_lo, 0xc2ce8ed0, v25
	s_delay_alu instid0(VALU_DEP_3) | instskip(NEXT) | instid1(VALU_DEP_3)
	v_cvt_pk_f16_f32 v15, v36, v37
	v_fma_f32 v113, 0x3fb8aa3b, v25, -v39
	v_rndne_f32_e32 v114, v39
	v_pk_add_f32 v[120:121], v[34:35], v[36:37]
	s_delay_alu instid0(VALU_DEP_3) | instskip(NEXT) | instid1(VALU_DEP_3)
	v_fmac_f32_e32 v113, 0x32a5705f, v25
	v_sub_f32_e32 v39, v39, v114
	s_delay_alu instid0(VALU_DEP_1) | instskip(SKIP_3) | instid1(VALU_DEP_4)
	v_add_f32_e32 v39, v39, v113
	v_cvt_i32_f32_e32 v113, v114
	v_pk_add_f32 v[114:115], v[8:9], v[10:11]
	v_lshl_add_u64 v[8:9], v[52:53], 2, s[20:21]
	v_exp_f32_e32 v39, v39
	s_delay_alu instid0(VALU_DEP_2) | instskip(SKIP_1) | instid1(VALU_DEP_3)
	v_pk_fma_f32 v[46:47], v[46:47], v[12:13], v[114:115]
	v_cvt_pk_f16_f32 v13, v16, v17
	v_add_nc_u64_e32 v[8:9], v[8:9], v[48:49]
	s_delay_alu instid0(TRANS32_DEP_1) | instskip(NEXT) | instid1(VALU_DEP_1)
	v_ldexp_f32 v39, v39, v113
	v_cndmask_b32_e32 v39, 0, v39, vcc_lo
	v_cmp_nlt_f32_e32 vcc_lo, 0x42b17218, v25
	s_delay_alu instid0(VALU_DEP_2) | instskip(NEXT) | instid1(VALU_DEP_1)
	v_cndmask_b32_e32 v39, 0x7f800000, v39, vcc_lo
	v_cvt_f16_f32_e32 v12, v39
	s_delay_alu instid0(VALU_DEP_1) | instskip(NEXT) | instid1(VALU_DEP_1)
	v_and_b32_e32 v12, 0xffff, v12
	v_mul_u32_u24_e32 v12, 0x10001, v12
	s_delay_alu instid0(VALU_DEP_1)
	v_pk_mul_f16 v25, v112, v12
	v_cvt_pk_f16_f32 v12, v10, v11
	v_lshl_add_u64 v[10:11], v[56:57], 2, s[20:21]
	ds_store_b128 v93, v[26:29]
	global_load_b128 v[26:29], v[8:9], off
	ds_store_b128 v93, v[12:15] offset:512
	v_add_nc_u64_e32 v[14:15], v[10:11], v[48:49]
	v_lshl_add_u64 v[10:11], v[60:61], 2, s[20:21]
	v_lshl_add_u64 v[12:13], v[64:65], 2, s[20:21]
	s_delay_alu instid0(VALU_DEP_2)
	v_add_nc_u64_e32 v[10:11], v[10:11], v[48:49]
	global_load_b128 v[14:17], v[14:15], off
	v_add_nc_u64_e32 v[12:13], v[12:13], v[48:49]
	global_load_b128 v[8:11], v[10:11], off
	s_wait_loadcnt 0x2
	ds_store_b128 v102, v[26:29]
	s_wait_loadcnt 0x1
	ds_store_b128 v106, v[14:17]
	;; [unrolled: 2-line block ×3, first 2 shown]
	global_load_b128 v[8:11], v[12:13], off
	s_wait_loadcnt 0x0
	ds_store_b128 v108, v[8:11]
	s_wait_dscnt 0x0
	s_barrier_signal -1
	s_barrier_wait -1
	ds_load_2addr_b32 v[16:17], v88 offset1:32
	ds_load_b128 v[8:11], v91
	ds_load_b128 v[12:15], v91 offset:16
	ds_load_b128 v[26:29], v91 offset:32
	;; [unrolled: 1-line block ×3, first 2 shown]
	s_wait_dscnt 0x3
	v_dual_lshrrev_b32 v34, 16, v8 :: v_dual_lshrrev_b32 v35, 16, v9
	v_lshrrev_b32_e32 v36, 16, v10
	v_and_b32_e32 v8, 0xffff, v8
	v_and_b32_e32 v10, 0xffff, v10
	s_delay_alu instid0(VALU_DEP_4)
	v_mul_u32_u24_e32 v34, 0x10001, v34
	v_and_b32_e32 v9, 0xffff, v9
	v_mul_u32_u24_e32 v35, 0x10001, v35
	v_mul_u32_u24_e32 v8, 0x10001, v8
	;; [unrolled: 1-line block ×3, first 2 shown]
	v_lshrrev_b32_e32 v37, 16, v11
	v_mul_u32_u24_e32 v9, 0x10001, v9
	v_and_b32_e32 v11, 0xffff, v11
	v_pk_fma_f16 v8, v16, v8, v18
	v_pk_fma_f16 v18, v16, v34, v19
	;; [unrolled: 1-line block ×4, first 2 shown]
	s_wait_dscnt 0x2
	v_dual_lshrrev_b32 v21, 16, v12 :: v_dual_lshrrev_b32 v22, 16, v13
	v_and_b32_e32 v12, 0xffff, v12
	v_and_b32_e32 v13, 0xffff, v13
	v_mul_u32_u24_e32 v36, 0x10001, v36
	v_mul_u32_u24_e32 v11, 0x10001, v11
	v_pk_fma_f16 v9, v16, v9, v20
	v_mul_u32_u24_e32 v12, 0x10001, v12
	v_mul_u32_u24_e32 v13, 0x10001, v13
	;; [unrolled: 1-line block ×3, first 2 shown]
	v_pk_fma_f16 v20, v16, v36, v23
	v_pk_fma_f16 v11, v16, v11, v24
	v_dual_lshrrev_b32 v23, 16, v14 :: v_dual_lshrrev_b32 v24, 16, v15
	v_and_b32_e32 v14, 0xffff, v14
	v_and_b32_e32 v15, 0xffff, v15
	v_pk_fma_f16 v12, v17, v12, v8
	v_pk_fma_f16 v13, v17, v13, v9
	ds_load_2addr_b32 v[8:9], v88 offset0:64 offset1:96
	v_pk_fma_f16 v16, v16, v37, v25
	v_mul_u32_u24_e32 v21, 0x10001, v21
	v_mul_u32_u24_e32 v22, 0x10001, v22
	;; [unrolled: 1-line block ×6, first 2 shown]
	v_pk_fma_f16 v18, v17, v21, v18
	v_pk_fma_f16 v19, v17, v22, v19
	;; [unrolled: 1-line block ×6, first 2 shown]
	s_wait_dscnt 0x2
	v_dual_lshrrev_b32 v16, 16, v26 :: v_dual_lshrrev_b32 v17, 16, v27
	v_dual_lshrrev_b32 v21, 16, v29 :: v_dual_lshrrev_b32 v20, 16, v28
	v_and_b32_e32 v22, 0xffff, v26
	v_and_b32_e32 v23, 0xffff, v27
	;; [unrolled: 1-line block ×4, first 2 shown]
	v_mul_u32_u24_e32 v16, 0x10001, v16
	v_mul_u32_u24_e32 v22, 0x10001, v22
	;; [unrolled: 1-line block ×8, first 2 shown]
	s_wait_dscnt 0x0
	v_pk_fma_f16 v12, v8, v22, v12
	v_pk_fma_f16 v16, v8, v16, v18
	;; [unrolled: 1-line block ×8, first 2 shown]
	v_dual_lshrrev_b32 v15, 16, v30 :: v_dual_lshrrev_b32 v19, 16, v32
	v_dual_lshrrev_b32 v18, 16, v31 :: v_dual_lshrrev_b32 v20, 16, v33
	v_and_b32_e32 v21, 0xffff, v30
	v_and_b32_e32 v22, 0xffff, v31
	;; [unrolled: 1-line block ×4, first 2 shown]
	v_mul_u32_u24_e32 v15, 0x10001, v15
	v_mul_u32_u24_e32 v21, 0x10001, v21
	;; [unrolled: 1-line block ×8, first 2 shown]
	v_pk_fma_f16 v21, v9, v21, v12
	v_pk_fma_f16 v15, v9, v15, v16
	;; [unrolled: 1-line block ×8, first 2 shown]
	ds_load_2addr_b32 v[8:9], v88 offset0:128 offset1:160
	ds_load_b128 v[10:13], v91 offset:64
	s_wait_dscnt 0x0
	v_dual_lshrrev_b32 v22, 16, v10 :: v_dual_lshrrev_b32 v23, 16, v11
	v_dual_lshrrev_b32 v25, 16, v13 :: v_dual_lshrrev_b32 v24, 16, v12
	v_and_b32_e32 v10, 0xffff, v10
	v_and_b32_e32 v11, 0xffff, v11
	;; [unrolled: 1-line block ×4, first 2 shown]
	v_mul_u32_u24_e32 v22, 0x10001, v22
	v_mul_u32_u24_e32 v10, 0x10001, v10
	;; [unrolled: 1-line block ×6, first 2 shown]
	v_pk_fma_f16 v21, v8, v10, v21
	v_pk_fma_f16 v16, v8, v11, v16
	;; [unrolled: 1-line block ×4, first 2 shown]
	ds_load_b128 v[10:13], v91 offset:80
	v_mul_u32_u24_e32 v24, 0x10001, v24
	v_mul_u32_u24_e32 v25, 0x10001, v25
	v_pk_fma_f16 v15, v8, v22, v15
	v_pk_fma_f16 v17, v8, v23, v17
	s_delay_alu instid0(VALU_DEP_4) | instskip(NEXT) | instid1(VALU_DEP_4)
	v_pk_fma_f16 v14, v8, v24, v14
	v_pk_fma_f16 v8, v8, v25, v20
	s_wait_dscnt 0x0
	v_dual_lshrrev_b32 v20, 16, v10 :: v_dual_lshrrev_b32 v22, 16, v11
	v_dual_lshrrev_b32 v23, 16, v12 :: v_dual_lshrrev_b32 v24, 16, v13
	v_and_b32_e32 v10, 0xffff, v10
	v_and_b32_e32 v11, 0xffff, v11
	;; [unrolled: 1-line block ×4, first 2 shown]
	v_mul_u32_u24_e32 v20, 0x10001, v20
	v_mul_u32_u24_e32 v10, 0x10001, v10
	;; [unrolled: 1-line block ×8, first 2 shown]
	v_pk_fma_f16 v21, v9, v10, v21
	v_pk_fma_f16 v15, v9, v20, v15
	;; [unrolled: 1-line block ×8, first 2 shown]
	ds_load_2addr_b32 v[12:13], v88 offset0:192 offset1:224
	ds_load_b128 v[8:11], v91 offset:96
	v_pk_fma_f32 v[40:41], v[40:41], v[38:39], v[120:121]
	s_wait_dscnt 0x0
	v_dual_lshrrev_b32 v22, 16, v8 :: v_dual_lshrrev_b32 v23, 16, v9
	v_dual_lshrrev_b32 v24, 16, v10 :: v_dual_lshrrev_b32 v25, 16, v11
	v_and_b32_e32 v8, 0xffff, v8
	v_and_b32_e32 v9, 0xffff, v9
	;; [unrolled: 1-line block ×4, first 2 shown]
	v_mul_u32_u24_e32 v22, 0x10001, v22
	v_mul_u32_u24_e32 v8, 0x10001, v8
	;; [unrolled: 1-line block ×6, first 2 shown]
	v_pk_fma_f16 v21, v12, v8, v21
	v_pk_fma_f16 v16, v12, v9, v16
	;; [unrolled: 1-line block ×4, first 2 shown]
	ds_load_b128 v[8:11], v91 offset:112
	v_mul_u32_u24_e32 v24, 0x10001, v24
	v_mul_u32_u24_e32 v25, 0x10001, v25
	v_pk_fma_f16 v15, v12, v22, v15
	v_pk_fma_f16 v17, v12, v23, v17
	s_delay_alu instid0(VALU_DEP_4) | instskip(NEXT) | instid1(VALU_DEP_4)
	v_pk_fma_f16 v14, v12, v24, v14
	v_pk_fma_f16 v12, v12, v25, v20
	s_wait_dscnt 0x0
	v_dual_lshrrev_b32 v20, 16, v8 :: v_dual_lshrrev_b32 v22, 16, v9
	v_dual_lshrrev_b32 v23, 16, v10 :: v_dual_lshrrev_b32 v24, 16, v11
	v_and_b32_e32 v8, 0xffff, v8
	v_and_b32_e32 v9, 0xffff, v9
	;; [unrolled: 1-line block ×4, first 2 shown]
	v_mul_u32_u24_e32 v20, 0x10001, v20
	v_mul_u32_u24_e32 v8, 0x10001, v8
	;; [unrolled: 1-line block ×8, first 2 shown]
	v_pk_fma_f16 v21, v13, v8, v21
	v_pk_fma_f16 v15, v13, v20, v15
	;; [unrolled: 1-line block ×8, first 2 shown]
	ds_load_2addr_b32 v[12:13], v94 offset1:32
	ds_load_b128 v[8:11], v91 offset:128
	s_wait_dscnt 0x0
	v_dual_lshrrev_b32 v22, 16, v8 :: v_dual_lshrrev_b32 v23, 16, v9
	v_dual_lshrrev_b32 v24, 16, v10 :: v_dual_lshrrev_b32 v25, 16, v11
	v_and_b32_e32 v8, 0xffff, v8
	v_and_b32_e32 v9, 0xffff, v9
	v_and_b32_e32 v10, 0xffff, v10
	v_and_b32_e32 v11, 0xffff, v11
	v_mul_u32_u24_e32 v22, 0x10001, v22
	v_mul_u32_u24_e32 v8, 0x10001, v8
	v_mul_u32_u24_e32 v9, 0x10001, v9
	v_mul_u32_u24_e32 v10, 0x10001, v10
	v_mul_u32_u24_e32 v11, 0x10001, v11
	v_mul_u32_u24_e32 v23, 0x10001, v23
	v_pk_fma_f16 v21, v12, v8, v21
	v_pk_fma_f16 v16, v12, v9, v16
	v_pk_fma_f16 v18, v12, v10, v18
	v_pk_fma_f16 v19, v12, v11, v19
	ds_load_b128 v[8:11], v91 offset:144
	v_mul_u32_u24_e32 v24, 0x10001, v24
	v_mul_u32_u24_e32 v25, 0x10001, v25
	v_pk_fma_f16 v15, v12, v22, v15
	v_pk_fma_f16 v17, v12, v23, v17
	s_delay_alu instid0(VALU_DEP_4) | instskip(NEXT) | instid1(VALU_DEP_4)
	v_pk_fma_f16 v14, v12, v24, v14
	v_pk_fma_f16 v12, v12, v25, v20
	s_wait_dscnt 0x0
	v_dual_lshrrev_b32 v20, 16, v8 :: v_dual_lshrrev_b32 v22, 16, v9
	v_dual_lshrrev_b32 v23, 16, v10 :: v_dual_lshrrev_b32 v24, 16, v11
	v_and_b32_e32 v8, 0xffff, v8
	v_and_b32_e32 v9, 0xffff, v9
	v_and_b32_e32 v10, 0xffff, v10
	v_and_b32_e32 v11, 0xffff, v11
	v_mul_u32_u24_e32 v20, 0x10001, v20
	v_mul_u32_u24_e32 v8, 0x10001, v8
	v_mul_u32_u24_e32 v9, 0x10001, v9
	v_mul_u32_u24_e32 v22, 0x10001, v22
	v_mul_u32_u24_e32 v10, 0x10001, v10
	v_mul_u32_u24_e32 v23, 0x10001, v23
	v_mul_u32_u24_e32 v11, 0x10001, v11
	v_mul_u32_u24_e32 v24, 0x10001, v24
	v_pk_fma_f16 v21, v13, v8, v21
	v_pk_fma_f16 v15, v13, v20, v15
	v_pk_fma_f16 v16, v13, v9, v16
	v_pk_fma_f16 v17, v13, v22, v17
	v_pk_fma_f16 v18, v13, v10, v18
	v_pk_fma_f16 v14, v13, v23, v14
	v_pk_fma_f16 v19, v13, v11, v19
	v_pk_fma_f16 v20, v13, v24, v12
	ds_load_2addr_b32 v[12:13], v94 offset0:64 offset1:96
	ds_load_b128 v[8:11], v91 offset:160
	s_wait_dscnt 0x0
	v_dual_lshrrev_b32 v22, 16, v8 :: v_dual_lshrrev_b32 v23, 16, v9
	v_dual_lshrrev_b32 v24, 16, v10 :: v_dual_lshrrev_b32 v25, 16, v11
	v_and_b32_e32 v8, 0xffff, v8
	v_and_b32_e32 v9, 0xffff, v9
	v_and_b32_e32 v10, 0xffff, v10
	v_and_b32_e32 v11, 0xffff, v11
	v_mul_u32_u24_e32 v22, 0x10001, v22
	v_mul_u32_u24_e32 v8, 0x10001, v8
	v_mul_u32_u24_e32 v9, 0x10001, v9
	v_mul_u32_u24_e32 v10, 0x10001, v10
	v_mul_u32_u24_e32 v11, 0x10001, v11
	v_mul_u32_u24_e32 v23, 0x10001, v23
	v_pk_fma_f16 v21, v12, v8, v21
	v_pk_fma_f16 v16, v12, v9, v16
	v_pk_fma_f16 v18, v12, v10, v18
	v_pk_fma_f16 v19, v12, v11, v19
	ds_load_b128 v[8:11], v91 offset:176
	v_mul_u32_u24_e32 v24, 0x10001, v24
	v_mul_u32_u24_e32 v25, 0x10001, v25
	v_pk_fma_f16 v15, v12, v22, v15
	v_pk_fma_f16 v17, v12, v23, v17
	s_delay_alu instid0(VALU_DEP_4) | instskip(NEXT) | instid1(VALU_DEP_4)
	v_pk_fma_f16 v14, v12, v24, v14
	v_pk_fma_f16 v12, v12, v25, v20
	s_wait_dscnt 0x0
	v_dual_lshrrev_b32 v20, 16, v8 :: v_dual_lshrrev_b32 v22, 16, v9
	v_dual_lshrrev_b32 v23, 16, v10 :: v_dual_lshrrev_b32 v24, 16, v11
	v_and_b32_e32 v8, 0xffff, v8
	v_and_b32_e32 v9, 0xffff, v9
	v_and_b32_e32 v10, 0xffff, v10
	v_and_b32_e32 v11, 0xffff, v11
	v_mul_u32_u24_e32 v20, 0x10001, v20
	v_mul_u32_u24_e32 v8, 0x10001, v8
	v_mul_u32_u24_e32 v9, 0x10001, v9
	v_mul_u32_u24_e32 v22, 0x10001, v22
	v_mul_u32_u24_e32 v10, 0x10001, v10
	v_mul_u32_u24_e32 v23, 0x10001, v23
	v_mul_u32_u24_e32 v11, 0x10001, v11
	v_mul_u32_u24_e32 v24, 0x10001, v24
	v_pk_fma_f16 v21, v13, v8, v21
	v_pk_fma_f16 v15, v13, v20, v15
	v_pk_fma_f16 v16, v13, v9, v16
	v_pk_fma_f16 v17, v13, v22, v17
	v_pk_fma_f16 v18, v13, v10, v18
	v_pk_fma_f16 v14, v13, v23, v14
	v_pk_fma_f16 v19, v13, v11, v19
	v_pk_fma_f16 v20, v13, v24, v12
	ds_load_2addr_b32 v[12:13], v94 offset0:128 offset1:160
	;; [unrolled: 50-line block ×3, first 2 shown]
	ds_load_b128 v[8:11], v91 offset:224
	s_wait_dscnt 0x0
	v_dual_lshrrev_b32 v22, 16, v8 :: v_dual_lshrrev_b32 v23, 16, v9
	v_dual_lshrrev_b32 v24, 16, v10 :: v_dual_lshrrev_b32 v25, 16, v11
	v_and_b32_e32 v8, 0xffff, v8
	v_and_b32_e32 v9, 0xffff, v9
	;; [unrolled: 1-line block ×4, first 2 shown]
	v_mul_u32_u24_e32 v22, 0x10001, v22
	v_mul_u32_u24_e32 v8, 0x10001, v8
	;; [unrolled: 1-line block ×6, first 2 shown]
	v_pk_fma_f16 v21, v12, v8, v21
	v_pk_fma_f16 v16, v12, v9, v16
	;; [unrolled: 1-line block ×4, first 2 shown]
	ds_load_b128 v[8:11], v91 offset:240
	v_mul_u32_u24_e32 v24, 0x10001, v24
	v_mul_u32_u24_e32 v25, 0x10001, v25
	v_pk_fma_f16 v15, v12, v22, v15
	v_pk_fma_f16 v17, v12, v23, v17
	s_delay_alu instid0(VALU_DEP_4) | instskip(NEXT) | instid1(VALU_DEP_4)
	v_pk_fma_f16 v14, v12, v24, v14
	v_pk_fma_f16 v12, v12, v25, v20
	s_wait_dscnt 0x0
	v_dual_lshrrev_b32 v20, 16, v8 :: v_dual_lshrrev_b32 v22, 16, v9
	v_dual_lshrrev_b32 v23, 16, v10 :: v_dual_lshrrev_b32 v24, 16, v11
	v_and_b32_e32 v8, 0xffff, v8
	v_and_b32_e32 v9, 0xffff, v9
	;; [unrolled: 1-line block ×4, first 2 shown]
	v_mul_u32_u24_e32 v20, 0x10001, v20
	v_mul_u32_u24_e32 v8, 0x10001, v8
	;; [unrolled: 1-line block ×8, first 2 shown]
	v_pk_fma_f16 v21, v13, v8, v21
	v_pk_fma_f16 v15, v13, v20, v15
	;; [unrolled: 1-line block ×8, first 2 shown]
	ds_load_2addr_b32 v[12:13], v95 offset1:32
	ds_load_b128 v[8:11], v91 offset:256
	s_wait_dscnt 0x0
	v_dual_lshrrev_b32 v22, 16, v8 :: v_dual_lshrrev_b32 v23, 16, v9
	v_dual_lshrrev_b32 v24, 16, v10 :: v_dual_lshrrev_b32 v25, 16, v11
	v_and_b32_e32 v8, 0xffff, v8
	v_and_b32_e32 v9, 0xffff, v9
	v_and_b32_e32 v10, 0xffff, v10
	v_and_b32_e32 v11, 0xffff, v11
	v_mul_u32_u24_e32 v22, 0x10001, v22
	v_mul_u32_u24_e32 v8, 0x10001, v8
	v_mul_u32_u24_e32 v9, 0x10001, v9
	v_mul_u32_u24_e32 v10, 0x10001, v10
	v_mul_u32_u24_e32 v11, 0x10001, v11
	v_mul_u32_u24_e32 v23, 0x10001, v23
	v_pk_fma_f16 v21, v12, v8, v21
	v_pk_fma_f16 v16, v12, v9, v16
	v_pk_fma_f16 v18, v12, v10, v18
	v_pk_fma_f16 v19, v12, v11, v19
	ds_load_b128 v[8:11], v91 offset:272
	v_mul_u32_u24_e32 v24, 0x10001, v24
	v_mul_u32_u24_e32 v25, 0x10001, v25
	v_pk_fma_f16 v15, v12, v22, v15
	v_pk_fma_f16 v17, v12, v23, v17
	s_delay_alu instid0(VALU_DEP_4) | instskip(NEXT) | instid1(VALU_DEP_4)
	v_pk_fma_f16 v14, v12, v24, v14
	v_pk_fma_f16 v12, v12, v25, v20
	s_wait_dscnt 0x0
	v_dual_lshrrev_b32 v20, 16, v8 :: v_dual_lshrrev_b32 v22, 16, v9
	v_dual_lshrrev_b32 v23, 16, v10 :: v_dual_lshrrev_b32 v24, 16, v11
	v_and_b32_e32 v8, 0xffff, v8
	v_and_b32_e32 v9, 0xffff, v9
	v_and_b32_e32 v10, 0xffff, v10
	v_and_b32_e32 v11, 0xffff, v11
	v_mul_u32_u24_e32 v20, 0x10001, v20
	v_mul_u32_u24_e32 v8, 0x10001, v8
	v_mul_u32_u24_e32 v9, 0x10001, v9
	v_mul_u32_u24_e32 v22, 0x10001, v22
	v_mul_u32_u24_e32 v10, 0x10001, v10
	v_mul_u32_u24_e32 v23, 0x10001, v23
	v_mul_u32_u24_e32 v11, 0x10001, v11
	v_mul_u32_u24_e32 v24, 0x10001, v24
	v_pk_fma_f16 v21, v13, v8, v21
	v_pk_fma_f16 v15, v13, v20, v15
	v_pk_fma_f16 v16, v13, v9, v16
	v_pk_fma_f16 v17, v13, v22, v17
	v_pk_fma_f16 v18, v13, v10, v18
	v_pk_fma_f16 v14, v13, v23, v14
	v_pk_fma_f16 v19, v13, v11, v19
	v_pk_fma_f16 v20, v13, v24, v12
	ds_load_2addr_b32 v[12:13], v95 offset0:64 offset1:96
	ds_load_b128 v[8:11], v91 offset:288
	s_wait_dscnt 0x0
	v_dual_lshrrev_b32 v22, 16, v8 :: v_dual_lshrrev_b32 v23, 16, v9
	v_dual_lshrrev_b32 v24, 16, v10 :: v_dual_lshrrev_b32 v25, 16, v11
	v_and_b32_e32 v8, 0xffff, v8
	v_and_b32_e32 v9, 0xffff, v9
	v_and_b32_e32 v10, 0xffff, v10
	v_and_b32_e32 v11, 0xffff, v11
	v_mul_u32_u24_e32 v22, 0x10001, v22
	v_mul_u32_u24_e32 v8, 0x10001, v8
	v_mul_u32_u24_e32 v9, 0x10001, v9
	v_mul_u32_u24_e32 v10, 0x10001, v10
	v_mul_u32_u24_e32 v11, 0x10001, v11
	v_mul_u32_u24_e32 v23, 0x10001, v23
	v_pk_fma_f16 v21, v12, v8, v21
	v_pk_fma_f16 v16, v12, v9, v16
	v_pk_fma_f16 v18, v12, v10, v18
	v_pk_fma_f16 v19, v12, v11, v19
	ds_load_b128 v[8:11], v91 offset:304
	v_mul_u32_u24_e32 v24, 0x10001, v24
	v_mul_u32_u24_e32 v25, 0x10001, v25
	v_pk_fma_f16 v15, v12, v22, v15
	v_pk_fma_f16 v17, v12, v23, v17
	s_delay_alu instid0(VALU_DEP_4) | instskip(NEXT) | instid1(VALU_DEP_4)
	v_pk_fma_f16 v14, v12, v24, v14
	v_pk_fma_f16 v12, v12, v25, v20
	s_wait_dscnt 0x0
	v_dual_lshrrev_b32 v20, 16, v8 :: v_dual_lshrrev_b32 v22, 16, v9
	v_dual_lshrrev_b32 v23, 16, v10 :: v_dual_lshrrev_b32 v24, 16, v11
	v_and_b32_e32 v8, 0xffff, v8
	v_and_b32_e32 v9, 0xffff, v9
	v_and_b32_e32 v10, 0xffff, v10
	v_and_b32_e32 v11, 0xffff, v11
	v_mul_u32_u24_e32 v20, 0x10001, v20
	v_mul_u32_u24_e32 v8, 0x10001, v8
	v_mul_u32_u24_e32 v9, 0x10001, v9
	v_mul_u32_u24_e32 v22, 0x10001, v22
	v_mul_u32_u24_e32 v10, 0x10001, v10
	v_mul_u32_u24_e32 v23, 0x10001, v23
	v_mul_u32_u24_e32 v11, 0x10001, v11
	v_mul_u32_u24_e32 v24, 0x10001, v24
	v_pk_fma_f16 v21, v13, v8, v21
	v_pk_fma_f16 v15, v13, v20, v15
	v_pk_fma_f16 v16, v13, v9, v16
	v_pk_fma_f16 v17, v13, v22, v17
	v_pk_fma_f16 v18, v13, v10, v18
	v_pk_fma_f16 v14, v13, v23, v14
	v_pk_fma_f16 v19, v13, v11, v19
	v_pk_fma_f16 v20, v13, v24, v12
	ds_load_2addr_b32 v[12:13], v95 offset0:128 offset1:160
	;; [unrolled: 50-line block ×3, first 2 shown]
	ds_load_b128 v[8:11], v91 offset:352
	s_wait_dscnt 0x0
	v_dual_lshrrev_b32 v22, 16, v8 :: v_dual_lshrrev_b32 v23, 16, v9
	v_dual_lshrrev_b32 v24, 16, v10 :: v_dual_lshrrev_b32 v25, 16, v11
	v_and_b32_e32 v8, 0xffff, v8
	v_and_b32_e32 v9, 0xffff, v9
	;; [unrolled: 1-line block ×4, first 2 shown]
	v_mul_u32_u24_e32 v22, 0x10001, v22
	v_mul_u32_u24_e32 v8, 0x10001, v8
	v_mul_u32_u24_e32 v9, 0x10001, v9
	v_mul_u32_u24_e32 v10, 0x10001, v10
	v_mul_u32_u24_e32 v11, 0x10001, v11
	v_mul_u32_u24_e32 v23, 0x10001, v23
	v_pk_fma_f16 v21, v12, v8, v21
	v_pk_fma_f16 v16, v12, v9, v16
	;; [unrolled: 1-line block ×4, first 2 shown]
	ds_load_b128 v[8:11], v91 offset:368
	v_mul_u32_u24_e32 v24, 0x10001, v24
	v_mul_u32_u24_e32 v25, 0x10001, v25
	v_pk_fma_f16 v15, v12, v22, v15
	v_pk_fma_f16 v17, v12, v23, v17
	s_delay_alu instid0(VALU_DEP_4) | instskip(NEXT) | instid1(VALU_DEP_4)
	v_pk_fma_f16 v14, v12, v24, v14
	v_pk_fma_f16 v12, v12, v25, v20
	s_wait_dscnt 0x0
	v_dual_lshrrev_b32 v20, 16, v8 :: v_dual_lshrrev_b32 v22, 16, v9
	v_dual_lshrrev_b32 v23, 16, v10 :: v_dual_lshrrev_b32 v24, 16, v11
	v_and_b32_e32 v8, 0xffff, v8
	v_and_b32_e32 v9, 0xffff, v9
	;; [unrolled: 1-line block ×4, first 2 shown]
	v_mul_u32_u24_e32 v20, 0x10001, v20
	v_mul_u32_u24_e32 v8, 0x10001, v8
	v_mul_u32_u24_e32 v9, 0x10001, v9
	v_mul_u32_u24_e32 v22, 0x10001, v22
	v_mul_u32_u24_e32 v10, 0x10001, v10
	v_mul_u32_u24_e32 v23, 0x10001, v23
	v_mul_u32_u24_e32 v11, 0x10001, v11
	v_mul_u32_u24_e32 v24, 0x10001, v24
	v_pk_fma_f16 v21, v13, v8, v21
	v_pk_fma_f16 v15, v13, v20, v15
	;; [unrolled: 1-line block ×8, first 2 shown]
	ds_load_2addr_b32 v[12:13], v96 offset1:32
	ds_load_b128 v[8:11], v91 offset:384
	s_wait_dscnt 0x0
	v_dual_lshrrev_b32 v22, 16, v8 :: v_dual_lshrrev_b32 v23, 16, v9
	v_dual_lshrrev_b32 v24, 16, v10 :: v_dual_lshrrev_b32 v25, 16, v11
	v_and_b32_e32 v8, 0xffff, v8
	v_and_b32_e32 v9, 0xffff, v9
	v_and_b32_e32 v10, 0xffff, v10
	v_and_b32_e32 v11, 0xffff, v11
	v_mul_u32_u24_e32 v22, 0x10001, v22
	v_mul_u32_u24_e32 v8, 0x10001, v8
	v_mul_u32_u24_e32 v9, 0x10001, v9
	v_mul_u32_u24_e32 v10, 0x10001, v10
	v_mul_u32_u24_e32 v11, 0x10001, v11
	v_mul_u32_u24_e32 v23, 0x10001, v23
	v_pk_fma_f16 v21, v12, v8, v21
	v_pk_fma_f16 v16, v12, v9, v16
	v_pk_fma_f16 v18, v12, v10, v18
	v_pk_fma_f16 v19, v12, v11, v19
	ds_load_b128 v[8:11], v91 offset:400
	v_mul_u32_u24_e32 v24, 0x10001, v24
	v_mul_u32_u24_e32 v25, 0x10001, v25
	v_pk_fma_f16 v15, v12, v22, v15
	v_pk_fma_f16 v17, v12, v23, v17
	s_delay_alu instid0(VALU_DEP_4) | instskip(NEXT) | instid1(VALU_DEP_4)
	v_pk_fma_f16 v14, v12, v24, v14
	v_pk_fma_f16 v12, v12, v25, v20
	s_wait_dscnt 0x0
	v_dual_lshrrev_b32 v20, 16, v8 :: v_dual_lshrrev_b32 v22, 16, v9
	v_dual_lshrrev_b32 v23, 16, v10 :: v_dual_lshrrev_b32 v24, 16, v11
	v_and_b32_e32 v8, 0xffff, v8
	v_and_b32_e32 v9, 0xffff, v9
	v_and_b32_e32 v10, 0xffff, v10
	v_and_b32_e32 v11, 0xffff, v11
	v_mul_u32_u24_e32 v20, 0x10001, v20
	v_mul_u32_u24_e32 v8, 0x10001, v8
	v_mul_u32_u24_e32 v9, 0x10001, v9
	v_mul_u32_u24_e32 v22, 0x10001, v22
	v_mul_u32_u24_e32 v10, 0x10001, v10
	v_mul_u32_u24_e32 v23, 0x10001, v23
	v_mul_u32_u24_e32 v11, 0x10001, v11
	v_mul_u32_u24_e32 v24, 0x10001, v24
	v_pk_fma_f16 v21, v13, v8, v21
	v_pk_fma_f16 v15, v13, v20, v15
	v_pk_fma_f16 v16, v13, v9, v16
	v_pk_fma_f16 v17, v13, v22, v17
	v_pk_fma_f16 v18, v13, v10, v18
	v_pk_fma_f16 v14, v13, v23, v14
	v_pk_fma_f16 v19, v13, v11, v19
	v_pk_fma_f16 v20, v13, v24, v12
	ds_load_2addr_b32 v[12:13], v96 offset0:64 offset1:96
	ds_load_b128 v[8:11], v91 offset:416
	s_wait_dscnt 0x0
	v_dual_lshrrev_b32 v22, 16, v8 :: v_dual_lshrrev_b32 v23, 16, v9
	v_dual_lshrrev_b32 v24, 16, v10 :: v_dual_lshrrev_b32 v25, 16, v11
	v_and_b32_e32 v8, 0xffff, v8
	v_and_b32_e32 v9, 0xffff, v9
	v_and_b32_e32 v10, 0xffff, v10
	v_and_b32_e32 v11, 0xffff, v11
	v_mul_u32_u24_e32 v22, 0x10001, v22
	v_mul_u32_u24_e32 v8, 0x10001, v8
	v_mul_u32_u24_e32 v9, 0x10001, v9
	v_mul_u32_u24_e32 v10, 0x10001, v10
	v_mul_u32_u24_e32 v11, 0x10001, v11
	v_mul_u32_u24_e32 v23, 0x10001, v23
	v_pk_fma_f16 v21, v12, v8, v21
	v_pk_fma_f16 v16, v12, v9, v16
	v_pk_fma_f16 v18, v12, v10, v18
	v_pk_fma_f16 v19, v12, v11, v19
	ds_load_b128 v[8:11], v91 offset:432
	v_mul_u32_u24_e32 v24, 0x10001, v24
	v_mul_u32_u24_e32 v25, 0x10001, v25
	v_pk_fma_f16 v15, v12, v22, v15
	v_pk_fma_f16 v17, v12, v23, v17
	s_delay_alu instid0(VALU_DEP_4) | instskip(NEXT) | instid1(VALU_DEP_4)
	v_pk_fma_f16 v14, v12, v24, v14
	v_pk_fma_f16 v12, v12, v25, v20
	s_wait_dscnt 0x0
	v_dual_lshrrev_b32 v20, 16, v8 :: v_dual_lshrrev_b32 v22, 16, v9
	v_dual_lshrrev_b32 v23, 16, v10 :: v_dual_lshrrev_b32 v24, 16, v11
	v_and_b32_e32 v8, 0xffff, v8
	v_and_b32_e32 v9, 0xffff, v9
	v_and_b32_e32 v10, 0xffff, v10
	v_and_b32_e32 v11, 0xffff, v11
	v_mul_u32_u24_e32 v20, 0x10001, v20
	v_mul_u32_u24_e32 v8, 0x10001, v8
	v_mul_u32_u24_e32 v9, 0x10001, v9
	v_mul_u32_u24_e32 v22, 0x10001, v22
	v_mul_u32_u24_e32 v10, 0x10001, v10
	v_mul_u32_u24_e32 v23, 0x10001, v23
	v_mul_u32_u24_e32 v11, 0x10001, v11
	v_mul_u32_u24_e32 v24, 0x10001, v24
	v_pk_fma_f16 v21, v13, v8, v21
	v_pk_fma_f16 v15, v13, v20, v15
	v_pk_fma_f16 v16, v13, v9, v16
	v_pk_fma_f16 v17, v13, v22, v17
	v_pk_fma_f16 v18, v13, v10, v18
	v_pk_fma_f16 v14, v13, v23, v14
	v_pk_fma_f16 v19, v13, v11, v19
	v_pk_fma_f16 v20, v13, v24, v12
	ds_load_2addr_b32 v[12:13], v96 offset0:128 offset1:160
	;; [unrolled: 50-line block ×3, first 2 shown]
	ds_load_b128 v[8:11], v91 offset:480
	s_wait_dscnt 0x0
	v_dual_lshrrev_b32 v22, 16, v8 :: v_dual_lshrrev_b32 v23, 16, v9
	v_dual_lshrrev_b32 v24, 16, v10 :: v_dual_lshrrev_b32 v25, 16, v11
	v_and_b32_e32 v8, 0xffff, v8
	v_and_b32_e32 v9, 0xffff, v9
	;; [unrolled: 1-line block ×4, first 2 shown]
	v_mul_u32_u24_e32 v22, 0x10001, v22
	v_mul_u32_u24_e32 v8, 0x10001, v8
	;; [unrolled: 1-line block ×6, first 2 shown]
	v_pk_fma_f16 v21, v12, v8, v21
	v_pk_fma_f16 v16, v12, v9, v16
	;; [unrolled: 1-line block ×4, first 2 shown]
	ds_load_b128 v[8:11], v91 offset:496
	v_mul_u32_u24_e32 v24, 0x10001, v24
	v_mul_u32_u24_e32 v25, 0x10001, v25
	v_pk_fma_f16 v15, v12, v22, v15
	v_pk_fma_f16 v17, v12, v23, v17
	s_delay_alu instid0(VALU_DEP_4) | instskip(NEXT) | instid1(VALU_DEP_4)
	v_pk_fma_f16 v14, v12, v24, v14
	v_pk_fma_f16 v12, v12, v25, v20
	s_wait_dscnt 0x0
	v_dual_lshrrev_b32 v20, 16, v8 :: v_dual_lshrrev_b32 v22, 16, v9
	v_dual_lshrrev_b32 v23, 16, v10 :: v_dual_lshrrev_b32 v24, 16, v11
	v_and_b32_e32 v8, 0xffff, v8
	v_and_b32_e32 v9, 0xffff, v9
	;; [unrolled: 1-line block ×4, first 2 shown]
	v_mul_u32_u24_e32 v20, 0x10001, v20
	v_mul_u32_u24_e32 v8, 0x10001, v8
	;; [unrolled: 1-line block ×8, first 2 shown]
	v_pk_fma_f16 v21, v13, v8, v21
	v_pk_fma_f16 v15, v13, v20, v15
	;; [unrolled: 1-line block ×8, first 2 shown]
	ds_load_2addr_b32 v[8:9], v97 offset1:32
	ds_load_b128 v[10:13], v91 offset:512
	s_wait_dscnt 0x0
	v_dual_lshrrev_b32 v22, 16, v10 :: v_dual_lshrrev_b32 v23, 16, v11
	v_dual_lshrrev_b32 v24, 16, v12 :: v_dual_lshrrev_b32 v25, 16, v13
	v_and_b32_e32 v10, 0xffff, v10
	v_and_b32_e32 v11, 0xffff, v11
	v_and_b32_e32 v12, 0xffff, v12
	v_and_b32_e32 v13, 0xffff, v13
	v_mul_u32_u24_e32 v22, 0x10001, v22
	v_mul_u32_u24_e32 v10, 0x10001, v10
	v_mul_u32_u24_e32 v11, 0x10001, v11
	v_mul_u32_u24_e32 v12, 0x10001, v12
	v_mul_u32_u24_e32 v13, 0x10001, v13
	v_mul_u32_u24_e32 v23, 0x10001, v23
	v_pk_fma_f16 v21, v8, v10, v21
	v_pk_fma_f16 v16, v8, v11, v16
	v_pk_fma_f16 v18, v8, v12, v18
	v_pk_fma_f16 v19, v8, v13, v19
	ds_load_b128 v[10:13], v91 offset:528
	v_mul_u32_u24_e32 v24, 0x10001, v24
	v_mul_u32_u24_e32 v25, 0x10001, v25
	v_pk_fma_f16 v15, v8, v22, v15
	v_pk_fma_f16 v17, v8, v23, v17
	s_delay_alu instid0(VALU_DEP_4) | instskip(NEXT) | instid1(VALU_DEP_4)
	v_pk_fma_f16 v14, v8, v24, v14
	v_pk_fma_f16 v8, v8, v25, v20
	s_wait_dscnt 0x0
	v_dual_lshrrev_b32 v20, 16, v10 :: v_dual_lshrrev_b32 v22, 16, v11
	v_dual_lshrrev_b32 v23, 16, v12 :: v_dual_lshrrev_b32 v24, 16, v13
	v_and_b32_e32 v10, 0xffff, v10
	v_and_b32_e32 v11, 0xffff, v11
	v_and_b32_e32 v12, 0xffff, v12
	v_and_b32_e32 v13, 0xffff, v13
	v_mul_u32_u24_e32 v20, 0x10001, v20
	v_mul_u32_u24_e32 v10, 0x10001, v10
	v_mul_u32_u24_e32 v11, 0x10001, v11
	v_mul_u32_u24_e32 v22, 0x10001, v22
	v_mul_u32_u24_e32 v12, 0x10001, v12
	v_mul_u32_u24_e32 v23, 0x10001, v23
	v_mul_u32_u24_e32 v13, 0x10001, v13
	v_mul_u32_u24_e32 v24, 0x10001, v24
	v_pk_fma_f16 v21, v9, v10, v21
	v_pk_fma_f16 v15, v9, v20, v15
	v_pk_fma_f16 v16, v9, v11, v16
	v_pk_fma_f16 v17, v9, v22, v17
	v_pk_fma_f16 v18, v9, v12, v18
	v_pk_fma_f16 v14, v9, v23, v14
	v_pk_fma_f16 v19, v9, v13, v19
	v_pk_fma_f16 v20, v9, v24, v8
	ds_load_2addr_b32 v[12:13], v97 offset0:64 offset1:96
	ds_load_b128 v[8:11], v91 offset:544
	s_wait_dscnt 0x0
	v_dual_lshrrev_b32 v22, 16, v8 :: v_dual_lshrrev_b32 v23, 16, v9
	v_dual_lshrrev_b32 v24, 16, v10 :: v_dual_lshrrev_b32 v25, 16, v11
	v_and_b32_e32 v8, 0xffff, v8
	v_and_b32_e32 v9, 0xffff, v9
	v_and_b32_e32 v10, 0xffff, v10
	v_and_b32_e32 v11, 0xffff, v11
	v_mul_u32_u24_e32 v22, 0x10001, v22
	v_mul_u32_u24_e32 v8, 0x10001, v8
	v_mul_u32_u24_e32 v9, 0x10001, v9
	v_mul_u32_u24_e32 v10, 0x10001, v10
	v_mul_u32_u24_e32 v11, 0x10001, v11
	v_mul_u32_u24_e32 v23, 0x10001, v23
	v_pk_fma_f16 v21, v12, v8, v21
	v_pk_fma_f16 v16, v12, v9, v16
	v_pk_fma_f16 v18, v12, v10, v18
	v_pk_fma_f16 v19, v12, v11, v19
	ds_load_b128 v[8:11], v91 offset:560
	v_mul_u32_u24_e32 v24, 0x10001, v24
	v_mul_u32_u24_e32 v25, 0x10001, v25
	v_pk_fma_f16 v15, v12, v22, v15
	v_pk_fma_f16 v17, v12, v23, v17
	s_delay_alu instid0(VALU_DEP_4) | instskip(NEXT) | instid1(VALU_DEP_4)
	v_pk_fma_f16 v14, v12, v24, v14
	v_pk_fma_f16 v12, v12, v25, v20
	s_wait_dscnt 0x0
	v_dual_lshrrev_b32 v20, 16, v8 :: v_dual_lshrrev_b32 v22, 16, v9
	v_dual_lshrrev_b32 v23, 16, v10 :: v_dual_lshrrev_b32 v24, 16, v11
	v_and_b32_e32 v8, 0xffff, v8
	v_and_b32_e32 v9, 0xffff, v9
	v_and_b32_e32 v10, 0xffff, v10
	v_and_b32_e32 v11, 0xffff, v11
	v_mul_u32_u24_e32 v20, 0x10001, v20
	v_mul_u32_u24_e32 v8, 0x10001, v8
	v_mul_u32_u24_e32 v9, 0x10001, v9
	v_mul_u32_u24_e32 v22, 0x10001, v22
	v_mul_u32_u24_e32 v10, 0x10001, v10
	v_mul_u32_u24_e32 v23, 0x10001, v23
	v_mul_u32_u24_e32 v11, 0x10001, v11
	v_mul_u32_u24_e32 v24, 0x10001, v24
	v_pk_fma_f16 v21, v13, v8, v21
	v_pk_fma_f16 v15, v13, v20, v15
	v_pk_fma_f16 v16, v13, v9, v16
	v_pk_fma_f16 v17, v13, v22, v17
	v_pk_fma_f16 v18, v13, v10, v18
	v_pk_fma_f16 v14, v13, v23, v14
	v_pk_fma_f16 v19, v13, v11, v19
	v_pk_fma_f16 v20, v13, v24, v12
	ds_load_2addr_b32 v[12:13], v97 offset0:128 offset1:160
	ds_load_b128 v[8:11], v91 offset:576
	s_wait_dscnt 0x0
	v_dual_lshrrev_b32 v22, 16, v8 :: v_dual_lshrrev_b32 v23, 16, v9
	v_dual_lshrrev_b32 v24, 16, v10 :: v_dual_lshrrev_b32 v25, 16, v11
	v_and_b32_e32 v8, 0xffff, v8
	v_and_b32_e32 v9, 0xffff, v9
	v_and_b32_e32 v10, 0xffff, v10
	v_and_b32_e32 v11, 0xffff, v11
	v_mul_u32_u24_e32 v22, 0x10001, v22
	v_mul_u32_u24_e32 v8, 0x10001, v8
	v_mul_u32_u24_e32 v9, 0x10001, v9
	v_mul_u32_u24_e32 v10, 0x10001, v10
	v_mul_u32_u24_e32 v11, 0x10001, v11
	v_mul_u32_u24_e32 v23, 0x10001, v23
	v_pk_fma_f16 v21, v12, v8, v21
	v_pk_fma_f16 v16, v12, v9, v16
	v_pk_fma_f16 v18, v12, v10, v18
	v_pk_fma_f16 v19, v12, v11, v19
	ds_load_b128 v[8:11], v91 offset:592
	v_mul_u32_u24_e32 v24, 0x10001, v24
	v_mul_u32_u24_e32 v25, 0x10001, v25
	v_pk_fma_f16 v15, v12, v22, v15
	v_pk_fma_f16 v17, v12, v23, v17
	s_delay_alu instid0(VALU_DEP_4) | instskip(NEXT) | instid1(VALU_DEP_4)
	v_pk_fma_f16 v14, v12, v24, v14
	v_pk_fma_f16 v12, v12, v25, v20
	s_wait_dscnt 0x0
	v_dual_lshrrev_b32 v20, 16, v8 :: v_dual_lshrrev_b32 v22, 16, v9
	v_dual_lshrrev_b32 v23, 16, v10 :: v_dual_lshrrev_b32 v24, 16, v11
	v_and_b32_e32 v8, 0xffff, v8
	v_and_b32_e32 v9, 0xffff, v9
	v_and_b32_e32 v10, 0xffff, v10
	v_and_b32_e32 v11, 0xffff, v11
	v_mul_u32_u24_e32 v20, 0x10001, v20
	v_mul_u32_u24_e32 v8, 0x10001, v8
	v_mul_u32_u24_e32 v9, 0x10001, v9
	v_mul_u32_u24_e32 v22, 0x10001, v22
	v_mul_u32_u24_e32 v10, 0x10001, v10
	v_mul_u32_u24_e32 v23, 0x10001, v23
	v_mul_u32_u24_e32 v11, 0x10001, v11
	v_mul_u32_u24_e32 v24, 0x10001, v24
	v_pk_fma_f16 v21, v13, v8, v21
	v_pk_fma_f16 v15, v13, v20, v15
	v_pk_fma_f16 v16, v13, v9, v16
	v_pk_fma_f16 v17, v13, v22, v17
	v_pk_fma_f16 v18, v13, v10, v18
	v_pk_fma_f16 v14, v13, v23, v14
	v_pk_fma_f16 v19, v13, v11, v19
	v_pk_fma_f16 v20, v13, v24, v12
	ds_load_2addr_b32 v[12:13], v97 offset0:192 offset1:224
	ds_load_b128 v[8:11], v91 offset:608
	s_wait_dscnt 0x0
	v_dual_lshrrev_b32 v22, 16, v8 :: v_dual_lshrrev_b32 v23, 16, v9
	v_dual_lshrrev_b32 v24, 16, v10 :: v_dual_lshrrev_b32 v25, 16, v11
	v_and_b32_e32 v8, 0xffff, v8
	v_and_b32_e32 v9, 0xffff, v9
	;; [unrolled: 1-line block ×4, first 2 shown]
	v_mul_u32_u24_e32 v22, 0x10001, v22
	v_mul_u32_u24_e32 v8, 0x10001, v8
	;; [unrolled: 1-line block ×6, first 2 shown]
	v_pk_fma_f16 v21, v12, v8, v21
	v_pk_fma_f16 v16, v12, v9, v16
	;; [unrolled: 1-line block ×4, first 2 shown]
	ds_load_b128 v[8:11], v91 offset:624
	v_mul_u32_u24_e32 v24, 0x10001, v24
	v_mul_u32_u24_e32 v25, 0x10001, v25
	v_pk_fma_f16 v15, v12, v22, v15
	v_pk_fma_f16 v17, v12, v23, v17
	s_delay_alu instid0(VALU_DEP_4) | instskip(NEXT) | instid1(VALU_DEP_4)
	v_pk_fma_f16 v14, v12, v24, v14
	v_pk_fma_f16 v12, v12, v25, v20
	s_wait_dscnt 0x0
	v_dual_lshrrev_b32 v20, 16, v8 :: v_dual_lshrrev_b32 v22, 16, v9
	v_dual_lshrrev_b32 v23, 16, v10 :: v_dual_lshrrev_b32 v24, 16, v11
	v_and_b32_e32 v8, 0xffff, v8
	v_and_b32_e32 v9, 0xffff, v9
	;; [unrolled: 1-line block ×4, first 2 shown]
	v_mul_u32_u24_e32 v20, 0x10001, v20
	v_mul_u32_u24_e32 v8, 0x10001, v8
	;; [unrolled: 1-line block ×8, first 2 shown]
	v_pk_fma_f16 v21, v13, v8, v21
	v_pk_fma_f16 v15, v13, v20, v15
	;; [unrolled: 1-line block ×8, first 2 shown]
	ds_load_2addr_b32 v[12:13], v98 offset1:32
	ds_load_b128 v[8:11], v91 offset:640
	s_wait_dscnt 0x0
	v_dual_lshrrev_b32 v22, 16, v8 :: v_dual_lshrrev_b32 v23, 16, v9
	v_dual_lshrrev_b32 v24, 16, v10 :: v_dual_lshrrev_b32 v25, 16, v11
	v_and_b32_e32 v8, 0xffff, v8
	v_and_b32_e32 v9, 0xffff, v9
	v_and_b32_e32 v10, 0xffff, v10
	v_and_b32_e32 v11, 0xffff, v11
	v_mul_u32_u24_e32 v22, 0x10001, v22
	v_mul_u32_u24_e32 v8, 0x10001, v8
	v_mul_u32_u24_e32 v9, 0x10001, v9
	v_mul_u32_u24_e32 v10, 0x10001, v10
	v_mul_u32_u24_e32 v11, 0x10001, v11
	v_mul_u32_u24_e32 v23, 0x10001, v23
	v_pk_fma_f16 v21, v12, v8, v21
	v_pk_fma_f16 v16, v12, v9, v16
	v_pk_fma_f16 v18, v12, v10, v18
	v_pk_fma_f16 v19, v12, v11, v19
	ds_load_b128 v[8:11], v91 offset:656
	v_mul_u32_u24_e32 v24, 0x10001, v24
	v_mul_u32_u24_e32 v25, 0x10001, v25
	v_pk_fma_f16 v15, v12, v22, v15
	v_pk_fma_f16 v17, v12, v23, v17
	s_delay_alu instid0(VALU_DEP_4) | instskip(NEXT) | instid1(VALU_DEP_4)
	v_pk_fma_f16 v14, v12, v24, v14
	v_pk_fma_f16 v12, v12, v25, v20
	s_wait_dscnt 0x0
	v_dual_lshrrev_b32 v20, 16, v8 :: v_dual_lshrrev_b32 v22, 16, v9
	v_dual_lshrrev_b32 v23, 16, v10 :: v_dual_lshrrev_b32 v24, 16, v11
	v_and_b32_e32 v8, 0xffff, v8
	v_and_b32_e32 v9, 0xffff, v9
	v_and_b32_e32 v10, 0xffff, v10
	v_and_b32_e32 v11, 0xffff, v11
	v_mul_u32_u24_e32 v20, 0x10001, v20
	v_mul_u32_u24_e32 v8, 0x10001, v8
	v_mul_u32_u24_e32 v9, 0x10001, v9
	v_mul_u32_u24_e32 v22, 0x10001, v22
	v_mul_u32_u24_e32 v10, 0x10001, v10
	v_mul_u32_u24_e32 v23, 0x10001, v23
	v_mul_u32_u24_e32 v11, 0x10001, v11
	v_mul_u32_u24_e32 v24, 0x10001, v24
	v_pk_fma_f16 v21, v13, v8, v21
	v_pk_fma_f16 v15, v13, v20, v15
	v_pk_fma_f16 v16, v13, v9, v16
	v_pk_fma_f16 v17, v13, v22, v17
	v_pk_fma_f16 v18, v13, v10, v18
	v_pk_fma_f16 v14, v13, v23, v14
	v_pk_fma_f16 v19, v13, v11, v19
	v_pk_fma_f16 v20, v13, v24, v12
	ds_load_2addr_b32 v[12:13], v98 offset0:64 offset1:96
	ds_load_b128 v[8:11], v91 offset:672
	s_wait_dscnt 0x0
	v_dual_lshrrev_b32 v22, 16, v8 :: v_dual_lshrrev_b32 v23, 16, v9
	v_dual_lshrrev_b32 v24, 16, v10 :: v_dual_lshrrev_b32 v25, 16, v11
	v_and_b32_e32 v8, 0xffff, v8
	v_and_b32_e32 v9, 0xffff, v9
	v_and_b32_e32 v10, 0xffff, v10
	v_and_b32_e32 v11, 0xffff, v11
	v_mul_u32_u24_e32 v22, 0x10001, v22
	v_mul_u32_u24_e32 v8, 0x10001, v8
	v_mul_u32_u24_e32 v9, 0x10001, v9
	v_mul_u32_u24_e32 v10, 0x10001, v10
	v_mul_u32_u24_e32 v11, 0x10001, v11
	v_mul_u32_u24_e32 v23, 0x10001, v23
	v_pk_fma_f16 v21, v12, v8, v21
	v_pk_fma_f16 v16, v12, v9, v16
	v_pk_fma_f16 v18, v12, v10, v18
	v_pk_fma_f16 v19, v12, v11, v19
	ds_load_b128 v[8:11], v91 offset:688
	v_mul_u32_u24_e32 v24, 0x10001, v24
	v_mul_u32_u24_e32 v25, 0x10001, v25
	v_pk_fma_f16 v15, v12, v22, v15
	v_pk_fma_f16 v17, v12, v23, v17
	s_delay_alu instid0(VALU_DEP_4) | instskip(NEXT) | instid1(VALU_DEP_4)
	v_pk_fma_f16 v14, v12, v24, v14
	v_pk_fma_f16 v12, v12, v25, v20
	s_wait_dscnt 0x0
	v_dual_lshrrev_b32 v20, 16, v8 :: v_dual_lshrrev_b32 v22, 16, v9
	v_dual_lshrrev_b32 v23, 16, v10 :: v_dual_lshrrev_b32 v24, 16, v11
	v_and_b32_e32 v8, 0xffff, v8
	v_and_b32_e32 v9, 0xffff, v9
	v_and_b32_e32 v10, 0xffff, v10
	v_and_b32_e32 v11, 0xffff, v11
	v_mul_u32_u24_e32 v20, 0x10001, v20
	v_mul_u32_u24_e32 v8, 0x10001, v8
	v_mul_u32_u24_e32 v9, 0x10001, v9
	v_mul_u32_u24_e32 v22, 0x10001, v22
	v_mul_u32_u24_e32 v10, 0x10001, v10
	v_mul_u32_u24_e32 v23, 0x10001, v23
	v_mul_u32_u24_e32 v11, 0x10001, v11
	v_mul_u32_u24_e32 v24, 0x10001, v24
	v_pk_fma_f16 v21, v13, v8, v21
	v_pk_fma_f16 v15, v13, v20, v15
	v_pk_fma_f16 v16, v13, v9, v16
	v_pk_fma_f16 v17, v13, v22, v17
	v_pk_fma_f16 v18, v13, v10, v18
	v_pk_fma_f16 v14, v13, v23, v14
	v_pk_fma_f16 v19, v13, v11, v19
	v_pk_fma_f16 v20, v13, v24, v12
	ds_load_2addr_b32 v[12:13], v98 offset0:128 offset1:160
	;; [unrolled: 50-line block ×3, first 2 shown]
	ds_load_b128 v[8:11], v91 offset:736
	s_wait_dscnt 0x0
	v_dual_lshrrev_b32 v22, 16, v8 :: v_dual_lshrrev_b32 v23, 16, v9
	v_dual_lshrrev_b32 v24, 16, v10 :: v_dual_lshrrev_b32 v25, 16, v11
	v_and_b32_e32 v8, 0xffff, v8
	v_and_b32_e32 v9, 0xffff, v9
	;; [unrolled: 1-line block ×4, first 2 shown]
	v_mul_u32_u24_e32 v22, 0x10001, v22
	v_mul_u32_u24_e32 v8, 0x10001, v8
	;; [unrolled: 1-line block ×6, first 2 shown]
	v_pk_fma_f16 v21, v12, v8, v21
	v_pk_fma_f16 v16, v12, v9, v16
	;; [unrolled: 1-line block ×4, first 2 shown]
	ds_load_b128 v[8:11], v91 offset:752
	v_mul_u32_u24_e32 v24, 0x10001, v24
	v_mul_u32_u24_e32 v25, 0x10001, v25
	v_pk_fma_f16 v15, v12, v22, v15
	v_pk_fma_f16 v17, v12, v23, v17
	s_delay_alu instid0(VALU_DEP_4) | instskip(NEXT) | instid1(VALU_DEP_4)
	v_pk_fma_f16 v14, v12, v24, v14
	v_pk_fma_f16 v12, v12, v25, v20
	s_wait_dscnt 0x0
	v_dual_lshrrev_b32 v20, 16, v8 :: v_dual_lshrrev_b32 v22, 16, v9
	v_dual_lshrrev_b32 v23, 16, v10 :: v_dual_lshrrev_b32 v24, 16, v11
	v_and_b32_e32 v8, 0xffff, v8
	v_and_b32_e32 v9, 0xffff, v9
	;; [unrolled: 1-line block ×4, first 2 shown]
	v_mul_u32_u24_e32 v20, 0x10001, v20
	v_mul_u32_u24_e32 v8, 0x10001, v8
	;; [unrolled: 1-line block ×8, first 2 shown]
	v_pk_fma_f16 v21, v13, v8, v21
	v_pk_fma_f16 v15, v13, v20, v15
	;; [unrolled: 1-line block ×8, first 2 shown]
	ds_load_2addr_b32 v[12:13], v99 offset1:32
	ds_load_b128 v[8:11], v91 offset:768
	s_wait_dscnt 0x0
	v_dual_lshrrev_b32 v22, 16, v8 :: v_dual_lshrrev_b32 v23, 16, v9
	v_dual_lshrrev_b32 v24, 16, v10 :: v_dual_lshrrev_b32 v25, 16, v11
	v_and_b32_e32 v8, 0xffff, v8
	v_and_b32_e32 v9, 0xffff, v9
	v_and_b32_e32 v10, 0xffff, v10
	v_and_b32_e32 v11, 0xffff, v11
	v_mul_u32_u24_e32 v22, 0x10001, v22
	v_mul_u32_u24_e32 v8, 0x10001, v8
	v_mul_u32_u24_e32 v9, 0x10001, v9
	v_mul_u32_u24_e32 v10, 0x10001, v10
	v_mul_u32_u24_e32 v11, 0x10001, v11
	v_mul_u32_u24_e32 v23, 0x10001, v23
	v_pk_fma_f16 v21, v12, v8, v21
	v_pk_fma_f16 v16, v12, v9, v16
	v_pk_fma_f16 v18, v12, v10, v18
	v_pk_fma_f16 v19, v12, v11, v19
	ds_load_b128 v[8:11], v91 offset:784
	v_mul_u32_u24_e32 v24, 0x10001, v24
	v_mul_u32_u24_e32 v25, 0x10001, v25
	v_pk_fma_f16 v15, v12, v22, v15
	v_pk_fma_f16 v17, v12, v23, v17
	s_delay_alu instid0(VALU_DEP_4) | instskip(NEXT) | instid1(VALU_DEP_4)
	v_pk_fma_f16 v14, v12, v24, v14
	v_pk_fma_f16 v12, v12, v25, v20
	s_wait_dscnt 0x0
	v_dual_lshrrev_b32 v20, 16, v8 :: v_dual_lshrrev_b32 v22, 16, v9
	v_dual_lshrrev_b32 v23, 16, v10 :: v_dual_lshrrev_b32 v24, 16, v11
	v_and_b32_e32 v8, 0xffff, v8
	v_and_b32_e32 v9, 0xffff, v9
	v_and_b32_e32 v10, 0xffff, v10
	v_and_b32_e32 v11, 0xffff, v11
	v_mul_u32_u24_e32 v20, 0x10001, v20
	v_mul_u32_u24_e32 v8, 0x10001, v8
	v_mul_u32_u24_e32 v9, 0x10001, v9
	v_mul_u32_u24_e32 v22, 0x10001, v22
	v_mul_u32_u24_e32 v10, 0x10001, v10
	v_mul_u32_u24_e32 v23, 0x10001, v23
	v_mul_u32_u24_e32 v11, 0x10001, v11
	v_mul_u32_u24_e32 v24, 0x10001, v24
	v_pk_fma_f16 v21, v13, v8, v21
	v_pk_fma_f16 v15, v13, v20, v15
	v_pk_fma_f16 v16, v13, v9, v16
	v_pk_fma_f16 v17, v13, v22, v17
	v_pk_fma_f16 v18, v13, v10, v18
	v_pk_fma_f16 v14, v13, v23, v14
	v_pk_fma_f16 v19, v13, v11, v19
	v_pk_fma_f16 v20, v13, v24, v12
	ds_load_2addr_b32 v[12:13], v99 offset0:64 offset1:96
	ds_load_b128 v[8:11], v91 offset:800
	s_wait_dscnt 0x0
	v_dual_lshrrev_b32 v22, 16, v8 :: v_dual_lshrrev_b32 v23, 16, v9
	v_dual_lshrrev_b32 v24, 16, v10 :: v_dual_lshrrev_b32 v25, 16, v11
	v_and_b32_e32 v8, 0xffff, v8
	v_and_b32_e32 v9, 0xffff, v9
	v_and_b32_e32 v10, 0xffff, v10
	v_and_b32_e32 v11, 0xffff, v11
	v_mul_u32_u24_e32 v22, 0x10001, v22
	v_mul_u32_u24_e32 v8, 0x10001, v8
	v_mul_u32_u24_e32 v9, 0x10001, v9
	v_mul_u32_u24_e32 v10, 0x10001, v10
	v_mul_u32_u24_e32 v11, 0x10001, v11
	v_mul_u32_u24_e32 v23, 0x10001, v23
	v_pk_fma_f16 v21, v12, v8, v21
	v_pk_fma_f16 v16, v12, v9, v16
	v_pk_fma_f16 v18, v12, v10, v18
	v_pk_fma_f16 v19, v12, v11, v19
	ds_load_b128 v[8:11], v91 offset:816
	v_mul_u32_u24_e32 v24, 0x10001, v24
	v_mul_u32_u24_e32 v25, 0x10001, v25
	v_pk_fma_f16 v15, v12, v22, v15
	v_pk_fma_f16 v17, v12, v23, v17
	s_delay_alu instid0(VALU_DEP_4) | instskip(NEXT) | instid1(VALU_DEP_4)
	v_pk_fma_f16 v14, v12, v24, v14
	v_pk_fma_f16 v12, v12, v25, v20
	s_wait_dscnt 0x0
	v_dual_lshrrev_b32 v20, 16, v8 :: v_dual_lshrrev_b32 v22, 16, v9
	v_dual_lshrrev_b32 v23, 16, v10 :: v_dual_lshrrev_b32 v24, 16, v11
	v_and_b32_e32 v8, 0xffff, v8
	v_and_b32_e32 v9, 0xffff, v9
	v_and_b32_e32 v10, 0xffff, v10
	v_and_b32_e32 v11, 0xffff, v11
	v_mul_u32_u24_e32 v20, 0x10001, v20
	v_mul_u32_u24_e32 v8, 0x10001, v8
	v_mul_u32_u24_e32 v9, 0x10001, v9
	v_mul_u32_u24_e32 v22, 0x10001, v22
	v_mul_u32_u24_e32 v10, 0x10001, v10
	v_mul_u32_u24_e32 v23, 0x10001, v23
	v_mul_u32_u24_e32 v11, 0x10001, v11
	v_mul_u32_u24_e32 v24, 0x10001, v24
	v_pk_fma_f16 v21, v13, v8, v21
	v_pk_fma_f16 v15, v13, v20, v15
	v_pk_fma_f16 v16, v13, v9, v16
	v_pk_fma_f16 v17, v13, v22, v17
	v_pk_fma_f16 v18, v13, v10, v18
	v_pk_fma_f16 v14, v13, v23, v14
	v_pk_fma_f16 v19, v13, v11, v19
	v_pk_fma_f16 v20, v13, v24, v12
	ds_load_2addr_b32 v[12:13], v99 offset0:128 offset1:160
	;; [unrolled: 50-line block ×3, first 2 shown]
	ds_load_b128 v[8:11], v91 offset:864
	s_wait_dscnt 0x0
	v_dual_lshrrev_b32 v22, 16, v8 :: v_dual_lshrrev_b32 v23, 16, v9
	v_dual_lshrrev_b32 v24, 16, v10 :: v_dual_lshrrev_b32 v25, 16, v11
	v_and_b32_e32 v8, 0xffff, v8
	v_and_b32_e32 v9, 0xffff, v9
	;; [unrolled: 1-line block ×4, first 2 shown]
	v_mul_u32_u24_e32 v22, 0x10001, v22
	v_mul_u32_u24_e32 v8, 0x10001, v8
	;; [unrolled: 1-line block ×6, first 2 shown]
	v_pk_fma_f16 v21, v12, v8, v21
	v_pk_fma_f16 v16, v12, v9, v16
	;; [unrolled: 1-line block ×4, first 2 shown]
	ds_load_b128 v[8:11], v91 offset:880
	v_mul_u32_u24_e32 v24, 0x10001, v24
	v_mul_u32_u24_e32 v25, 0x10001, v25
	v_pk_fma_f16 v15, v12, v22, v15
	v_pk_fma_f16 v17, v12, v23, v17
	s_delay_alu instid0(VALU_DEP_4) | instskip(NEXT) | instid1(VALU_DEP_4)
	v_pk_fma_f16 v14, v12, v24, v14
	v_pk_fma_f16 v12, v12, v25, v20
	s_wait_dscnt 0x0
	v_dual_lshrrev_b32 v20, 16, v8 :: v_dual_lshrrev_b32 v22, 16, v9
	v_dual_lshrrev_b32 v23, 16, v10 :: v_dual_lshrrev_b32 v24, 16, v11
	v_and_b32_e32 v8, 0xffff, v8
	v_and_b32_e32 v9, 0xffff, v9
	;; [unrolled: 1-line block ×4, first 2 shown]
	v_mul_u32_u24_e32 v20, 0x10001, v20
	v_mul_u32_u24_e32 v8, 0x10001, v8
	;; [unrolled: 1-line block ×8, first 2 shown]
	v_pk_fma_f16 v21, v13, v8, v21
	v_pk_fma_f16 v15, v13, v20, v15
	;; [unrolled: 1-line block ×8, first 2 shown]
	ds_load_2addr_b32 v[12:13], v100 offset1:32
	ds_load_b128 v[8:11], v91 offset:896
	s_wait_dscnt 0x0
	v_dual_lshrrev_b32 v22, 16, v8 :: v_dual_lshrrev_b32 v23, 16, v9
	v_dual_lshrrev_b32 v24, 16, v10 :: v_dual_lshrrev_b32 v25, 16, v11
	v_and_b32_e32 v8, 0xffff, v8
	v_and_b32_e32 v9, 0xffff, v9
	v_and_b32_e32 v10, 0xffff, v10
	v_and_b32_e32 v11, 0xffff, v11
	v_mul_u32_u24_e32 v22, 0x10001, v22
	v_mul_u32_u24_e32 v8, 0x10001, v8
	v_mul_u32_u24_e32 v9, 0x10001, v9
	v_mul_u32_u24_e32 v10, 0x10001, v10
	v_mul_u32_u24_e32 v11, 0x10001, v11
	v_mul_u32_u24_e32 v23, 0x10001, v23
	v_pk_fma_f16 v21, v12, v8, v21
	v_pk_fma_f16 v16, v12, v9, v16
	v_pk_fma_f16 v18, v12, v10, v18
	v_pk_fma_f16 v19, v12, v11, v19
	ds_load_b128 v[8:11], v91 offset:912
	v_mul_u32_u24_e32 v24, 0x10001, v24
	v_mul_u32_u24_e32 v25, 0x10001, v25
	v_pk_fma_f16 v15, v12, v22, v15
	v_pk_fma_f16 v17, v12, v23, v17
	s_delay_alu instid0(VALU_DEP_4) | instskip(NEXT) | instid1(VALU_DEP_4)
	v_pk_fma_f16 v14, v12, v24, v14
	v_pk_fma_f16 v12, v12, v25, v20
	s_wait_dscnt 0x0
	v_dual_lshrrev_b32 v20, 16, v8 :: v_dual_lshrrev_b32 v22, 16, v9
	v_dual_lshrrev_b32 v23, 16, v10 :: v_dual_lshrrev_b32 v24, 16, v11
	v_and_b32_e32 v8, 0xffff, v8
	v_and_b32_e32 v9, 0xffff, v9
	v_and_b32_e32 v10, 0xffff, v10
	v_and_b32_e32 v11, 0xffff, v11
	v_mul_u32_u24_e32 v20, 0x10001, v20
	v_mul_u32_u24_e32 v8, 0x10001, v8
	v_mul_u32_u24_e32 v9, 0x10001, v9
	v_mul_u32_u24_e32 v22, 0x10001, v22
	v_mul_u32_u24_e32 v10, 0x10001, v10
	v_mul_u32_u24_e32 v23, 0x10001, v23
	v_mul_u32_u24_e32 v11, 0x10001, v11
	v_mul_u32_u24_e32 v24, 0x10001, v24
	v_pk_fma_f16 v21, v13, v8, v21
	v_pk_fma_f16 v15, v13, v20, v15
	v_pk_fma_f16 v16, v13, v9, v16
	v_pk_fma_f16 v17, v13, v22, v17
	v_pk_fma_f16 v18, v13, v10, v18
	v_pk_fma_f16 v14, v13, v23, v14
	v_pk_fma_f16 v19, v13, v11, v19
	v_pk_fma_f16 v20, v13, v24, v12
	ds_load_2addr_b32 v[12:13], v100 offset0:64 offset1:96
	ds_load_b128 v[8:11], v91 offset:928
	s_wait_dscnt 0x0
	v_dual_lshrrev_b32 v22, 16, v8 :: v_dual_lshrrev_b32 v23, 16, v9
	v_dual_lshrrev_b32 v24, 16, v10 :: v_dual_lshrrev_b32 v25, 16, v11
	v_and_b32_e32 v8, 0xffff, v8
	v_and_b32_e32 v9, 0xffff, v9
	v_and_b32_e32 v10, 0xffff, v10
	v_and_b32_e32 v11, 0xffff, v11
	v_mul_u32_u24_e32 v22, 0x10001, v22
	v_mul_u32_u24_e32 v8, 0x10001, v8
	v_mul_u32_u24_e32 v9, 0x10001, v9
	v_mul_u32_u24_e32 v10, 0x10001, v10
	v_mul_u32_u24_e32 v11, 0x10001, v11
	v_mul_u32_u24_e32 v23, 0x10001, v23
	v_pk_fma_f16 v21, v12, v8, v21
	v_pk_fma_f16 v16, v12, v9, v16
	v_pk_fma_f16 v18, v12, v10, v18
	v_pk_fma_f16 v19, v12, v11, v19
	ds_load_b128 v[8:11], v91 offset:944
	v_mul_u32_u24_e32 v24, 0x10001, v24
	v_mul_u32_u24_e32 v25, 0x10001, v25
	v_pk_fma_f16 v15, v12, v22, v15
	v_pk_fma_f16 v17, v12, v23, v17
	s_delay_alu instid0(VALU_DEP_4) | instskip(NEXT) | instid1(VALU_DEP_4)
	v_pk_fma_f16 v14, v12, v24, v14
	v_pk_fma_f16 v12, v12, v25, v20
	s_wait_dscnt 0x0
	v_dual_lshrrev_b32 v20, 16, v8 :: v_dual_lshrrev_b32 v22, 16, v9
	v_dual_lshrrev_b32 v23, 16, v10 :: v_dual_lshrrev_b32 v24, 16, v11
	v_and_b32_e32 v8, 0xffff, v8
	v_and_b32_e32 v9, 0xffff, v9
	v_and_b32_e32 v10, 0xffff, v10
	v_and_b32_e32 v11, 0xffff, v11
	v_mul_u32_u24_e32 v20, 0x10001, v20
	v_mul_u32_u24_e32 v8, 0x10001, v8
	v_mul_u32_u24_e32 v9, 0x10001, v9
	v_mul_u32_u24_e32 v22, 0x10001, v22
	v_mul_u32_u24_e32 v10, 0x10001, v10
	v_mul_u32_u24_e32 v23, 0x10001, v23
	v_mul_u32_u24_e32 v11, 0x10001, v11
	v_mul_u32_u24_e32 v24, 0x10001, v24
	v_pk_fma_f16 v21, v13, v8, v21
	v_pk_fma_f16 v15, v13, v20, v15
	v_pk_fma_f16 v16, v13, v9, v16
	v_pk_fma_f16 v17, v13, v22, v17
	v_pk_fma_f16 v18, v13, v10, v18
	v_pk_fma_f16 v14, v13, v23, v14
	v_pk_fma_f16 v19, v13, v11, v19
	v_pk_fma_f16 v20, v13, v24, v12
	ds_load_2addr_b32 v[12:13], v100 offset0:128 offset1:160
	;; [unrolled: 50-line block ×3, first 2 shown]
	ds_load_b128 v[8:11], v91 offset:992
	s_wait_dscnt 0x0
	v_dual_lshrrev_b32 v14, 16, v8 :: v_dual_lshrrev_b32 v19, 16, v9
	v_dual_lshrrev_b32 v24, 16, v10 :: v_dual_lshrrev_b32 v25, 16, v11
	v_and_b32_e32 v8, 0xffff, v8
	v_and_b32_e32 v9, 0xffff, v9
	;; [unrolled: 1-line block ×4, first 2 shown]
	v_mul_u32_u24_e32 v19, 0x10001, v19
	v_mul_u32_u24_e32 v8, 0x10001, v8
	;; [unrolled: 1-line block ×7, first 2 shown]
	v_pk_fma_f16 v14, v12, v8, v21
	v_pk_fma_f16 v16, v12, v9, v16
	;; [unrolled: 1-line block ×6, first 2 shown]
	ds_load_b128 v[8:11], v91 offset:1008
	s_wait_dscnt 0x0
	s_barrier_signal -1
	s_barrier_wait -1
	s_load_b32 s3, s[10:11], 0x4
	v_pk_fma_f16 v15, v12, v26, v15
	v_lshrrev_b32_e32 v21, 16, v8
	v_mul_u32_u24_e32 v25, 0x10001, v25
	v_dual_lshrrev_b32 v22, 16, v9 :: v_dual_lshrrev_b32 v24, 16, v11
	v_and_b32_e32 v8, 0xffff, v8
	v_and_b32_e32 v9, 0xffff, v9
	s_delay_alu instid0(VALU_DEP_4)
	v_pk_fma_f16 v12, v12, v25, v23
	v_lshrrev_b32_e32 v23, 16, v10
	v_and_b32_e32 v10, 0xffff, v10
	v_and_b32_e32 v11, 0xffff, v11
	v_mul_u32_u24_e32 v8, 0x10001, v8
	v_mul_u32_u24_e32 v21, 0x10001, v21
	;; [unrolled: 1-line block ×8, first 2 shown]
	s_wait_kmcnt 0x0
	s_lshl_b32 s3, s3, 6
	v_pk_fma_f16 v119, v13, v8, v14
	v_pk_fma_f16 v118, v13, v21, v15
	;; [unrolled: 1-line block ×8, first 2 shown]
	s_add_co_i32 s4, s3, s4
	s_delay_alu instid0(SALU_CYCLE_1)
	s_cmp_ge_i32 s4, s30
	s_cbranch_scc0 .LBB37_9
; %bb.10:
	v_mov_b32_e32 v9, v85
.LBB37_11:
	v_lshlrev_b32_e32 v26, 1, v80
	v_cmp_lt_i32_e32 vcc_lo, v87, v81
	s_cmp_lg_u64 s[12:13], 0
	s_cselect_b32 s3, -1, 0
	s_cmp_eq_u32 s31, 0
	v_cndmask_b32_e32 v8, v9, v87, vcc_lo
	v_cmp_lt_i32_e32 vcc_lo, v86, v81
	s_cselect_b32 s4, -1, 0
	s_delay_alu instid0(SALU_CYCLE_1) | instskip(NEXT) | instid1(VALU_DEP_2)
	s_and_b32 s3, s4, s3
	v_lshlrev_b32_e32 v8, 2, v8
	ds_bpermute_b32 v10, v8, v46
	ds_bpermute_b32 v11, v8, v47
	;; [unrolled: 1-line block ×8, first 2 shown]
	v_cndmask_b32_e32 v8, v9, v86, vcc_lo
	v_cmp_lt_i32_e32 vcc_lo, v84, v81
	s_delay_alu instid0(VALU_DEP_2)
	v_lshlrev_b32_e32 v8, 2, v8
	s_wait_dscnt 0x6
	v_pk_add_f32 v[10:11], v[46:47], v[10:11]
	s_wait_dscnt 0x4
	v_pk_add_f32 v[12:13], v[44:45], v[12:13]
	s_wait_dscnt 0x2
	v_pk_add_f32 v[14:15], v[42:43], v[14:15]
	ds_bpermute_b32 v18, v8, v10
	s_wait_dscnt 0x1
	v_pk_add_f32 v[16:17], v[40:41], v[16:17]
	ds_bpermute_b32 v19, v8, v11
	ds_bpermute_b32 v20, v8, v12
	ds_bpermute_b32 v21, v8, v13
	ds_bpermute_b32 v22, v8, v14
	ds_bpermute_b32 v23, v8, v15
	ds_bpermute_b32 v24, v8, v16
	ds_bpermute_b32 v25, v8, v17
	v_cndmask_b32_e32 v8, v9, v84, vcc_lo
	v_cmp_lt_i32_e32 vcc_lo, v83, v81
	s_delay_alu instid0(VALU_DEP_2)
	v_lshlrev_b32_e32 v8, 2, v8
	s_wait_dscnt 0x6
	v_pk_add_f32 v[10:11], v[10:11], v[18:19]
	s_wait_dscnt 0x4
	v_pk_add_f32 v[12:13], v[12:13], v[20:21]
	s_wait_dscnt 0x2
	v_pk_add_f32 v[14:15], v[14:15], v[22:23]
	ds_bpermute_b32 v18, v8, v10
	s_wait_dscnt 0x1
	v_pk_add_f32 v[16:17], v[16:17], v[24:25]
	ds_bpermute_b32 v19, v8, v11
	ds_bpermute_b32 v20, v8, v12
	ds_bpermute_b32 v21, v8, v13
	ds_bpermute_b32 v22, v8, v14
	ds_bpermute_b32 v23, v8, v15
	ds_bpermute_b32 v24, v8, v16
	ds_bpermute_b32 v25, v8, v17
	;; [unrolled: 20-line block ×3, first 2 shown]
	v_cndmask_b32_e32 v8, v9, v82, vcc_lo
	s_and_b32 vcc_lo, exec_lo, s3
	s_delay_alu instid0(VALU_DEP_1)
	v_lshlrev_b32_e32 v27, 2, v8
	s_wait_dscnt 0x6
	v_pk_add_f32 v[8:9], v[10:11], v[18:19]
	s_wait_dscnt 0x4
	v_pk_add_f32 v[10:11], v[12:13], v[20:21]
	;; [unrolled: 2-line block ×4, first 2 shown]
	ds_bpermute_b32 v16, v27, v8
	ds_bpermute_b32 v17, v27, v9
	ds_bpermute_b32 v18, v27, v10
	ds_bpermute_b32 v19, v27, v11
	ds_bpermute_b32 v24, v27, v12
	ds_bpermute_b32 v25, v27, v13
	ds_bpermute_b32 v28, v27, v14
	ds_bpermute_b32 v29, v27, v15
	s_wait_dscnt 0x6
	v_pk_add_f32 v[22:23], v[8:9], v[16:17]
	s_wait_dscnt 0x4
	v_pk_add_f32 v[20:21], v[10:11], v[18:19]
	;; [unrolled: 2-line block ×4, first 2 shown]
	s_cbranch_vccz .LBB37_13
; %bb.12:
	s_ashr_i32 s3, s2, 31
	v_dual_mov_b32 v8, 0 :: v_dual_max_num_f32 v9, v1, v1
	s_lshl_b64 s[4:5], s[2:3], 2
	v_dual_max_num_f32 v11, v3, v3 :: v_dual_max_num_f32 v12, v4, v4
	s_add_nc_u64 s[4:5], s[12:13], s[4:5]
	v_max_num_f32_e32 v10, v2, v2
	global_load_b64 v[24:25], v8, s[4:5]
	s_wait_xcnt 0x0
	v_dual_max_num_f32 v8, v0, v0 :: v_dual_max_num_f32 v13, v5, v5
	s_wait_loadcnt 0x0
	v_dual_max_num_f32 v27, v6, v6 :: v_dual_max_num_f32 v14, v24, v24
	v_dual_max_num_f32 v15, v25, v25 :: v_dual_max_num_f32 v28, v7, v7
	s_delay_alu instid0(VALU_DEP_1) | instskip(SKIP_2) | instid1(VALU_DEP_4)
	v_dual_max_num_f32 v8, v8, v14 :: v_dual_max_num_f32 v9, v9, v15
	v_dual_max_num_f32 v10, v10, v14 :: v_dual_max_num_f32 v11, v11, v15
	;; [unrolled: 1-line block ×4, first 2 shown]
	s_delay_alu instid0(VALU_DEP_4) | instskip(NEXT) | instid1(VALU_DEP_4)
	v_dual_sub_f32 v1, v1, v9 :: v_dual_sub_f32 v0, v0, v8
	v_dual_sub_f32 v28, v25, v9 :: v_dual_sub_f32 v30, v24, v10
	v_dual_sub_f32 v31, v3, v11 :: v_dual_sub_f32 v32, v25, v11
	v_sub_f32_e32 v33, v4, v12
	v_dual_sub_f32 v27, v24, v8 :: v_dual_sub_f32 v29, v2, v10
	v_dual_sub_f32 v34, v24, v12 :: v_dual_sub_f32 v35, v5, v13
	;; [unrolled: 1-line block ×3, first 2 shown]
	v_dual_sub_f32 v40, v25, v15 :: v_dual_mul_f32 v5, 0x3fb8aa3b, v28
	s_delay_alu instid0(VALU_DEP_4) | instskip(SKIP_2) | instid1(VALU_DEP_3)
	v_dual_mul_f32 v2, 0x3fb8aa3b, v0 :: v_dual_mul_f32 v3, 0x3fb8aa3b, v27
	v_dual_mul_f32 v24, 0x3fb8aa3b, v31 :: v_dual_mul_f32 v41, 0x3fb8aa3b, v33
	;; [unrolled: 1-line block ×3, first 2 shown]
	v_fma_f32 v49, 0x3fb8aa3b, v0, -v2
	v_rndne_f32_e32 v50, v2
	s_delay_alu instid0(VALU_DEP_4)
	v_rndne_f32_e32 v81, v41
	v_mul_f32_e32 v48, 0x3fb8aa3b, v40
	v_dual_sub_f32 v36, v25, v13 :: v_dual_sub_f32 v37, v6, v14
	v_dual_mul_f32 v6, 0x3fb8aa3b, v29 :: v_dual_mul_f32 v25, 0x3fb8aa3b, v32
	v_fma_f32 v51, 0x3fb8aa3b, v27, -v3
	v_rndne_f32_e32 v52, v3
	v_fma_f32 v53, 0x3fb8aa3b, v1, -v4
	v_rndne_f32_e32 v54, v4
	v_fma_f32 v65, 0x3fb8aa3b, v33, -v41
	v_dual_fmac_f32 v49, 0x32a5705f, v0 :: v_dual_sub_f32 v2, v2, v50
	v_sub_f32_e32 v41, v41, v81
	v_rndne_f32_e32 v95, v48
	v_rndne_f32_e32 v58, v6
	;; [unrolled: 1-line block ×3, first 2 shown]
	v_fma_f32 v94, 0x3fb8aa3b, v40, -v48
	v_dual_fmac_f32 v51, 0x32a5705f, v27 :: v_dual_sub_f32 v4, v4, v54
	v_sub_f32_e32 v3, v3, v52
	v_dual_fmac_f32 v53, 0x32a5705f, v1 :: v_dual_sub_f32 v48, v48, v95
	v_add_f32_e32 v2, v2, v49
	v_dual_mul_f32 v42, 0x3fb8aa3b, v34 :: v_dual_mul_f32 v43, 0x3fb8aa3b, v35
	v_fma_f32 v55, 0x3fb8aa3b, v28, -v5
	v_rndne_f32_e32 v56, v5
	v_fma_f32 v57, 0x3fb8aa3b, v29, -v6
	v_fma_f32 v61, 0x3fb8aa3b, v31, -v24
	v_sub_f32_e32 v6, v6, v58
	v_dual_sub_f32 v24, v24, v62 :: v_dual_add_f32 v3, v3, v51
	v_add_f32_e32 v4, v4, v53
	v_exp_f32_e32 v2, v2
	v_dual_mul_f32 v46, 0x3fb8aa3b, v38 :: v_dual_mul_f32 v47, 0x3fb8aa3b, v39
	v_cvt_i32_f32_e32 v50, v50
	v_fma_f32 v82, 0x3fb8aa3b, v34, -v42
	v_rndne_f32_e32 v83, v42
	v_fma_f32 v84, 0x3fb8aa3b, v35, -v43
	v_fmac_f32_e32 v55, 0x32a5705f, v28
	v_sub_f32_e32 v5, v5, v56
	v_exp_f32_e32 v3, v3
	v_exp_f32_e32 v4, v4
	v_rndne_f32_e32 v93, v47
	v_cvt_i32_f32_e32 v52, v52
	v_cvt_i32_f32_e32 v54, v54
	v_ldexp_f32 v2, v2, v50
	v_cmp_ngt_f32_e32 vcc_lo, 0xc2ce8ed0, v0
	v_dual_mul_f32 v44, 0x3fb8aa3b, v36 :: v_dual_mul_f32 v45, 0x3fb8aa3b, v37
	v_fma_f32 v59, 0x3fb8aa3b, v30, -v7
	v_rndne_f32_e32 v60, v7
	v_dual_fmac_f32 v57, 0x32a5705f, v29 :: v_dual_fmac_f32 v84, 0x32a5705f, v35
	v_fmac_f32_e32 v82, 0x32a5705f, v34
	v_sub_f32_e32 v42, v42, v83
	s_delay_alu instid0(VALU_DEP_3)
	v_dual_add_f32 v5, v5, v55 :: v_dual_add_f32 v6, v6, v57
	v_fma_f32 v92, 0x3fb8aa3b, v39, -v47
	v_dual_sub_f32 v47, v47, v93 :: v_dual_fmac_f32 v94, 0x32a5705f, v40
	v_ldexp_f32 v3, v3, v52
	v_ldexp_f32 v4, v4, v54
	v_cndmask_b32_e32 v2, 0, v2, vcc_lo
	v_cmp_ngt_f32_e32 vcc_lo, 0xc2ce8ed0, v27
	v_fma_f32 v86, 0x3fb8aa3b, v36, -v44
	v_rndne_f32_e32 v87, v44
	v_fma_f32 v88, 0x3fb8aa3b, v37, -v45
	v_fmac_f32_e32 v59, 0x32a5705f, v30
	v_sub_f32_e32 v7, v7, v60
	v_exp_f32_e32 v5, v5
	v_cvt_i32_f32_e32 v56, v56
	v_dual_add_f32 v48, v48, v94 :: v_dual_cndmask_b32 v3, 0, v3
	v_cmp_ngt_f32_e32 vcc_lo, 0xc2ce8ed0, v1
	v_fma_f32 v63, 0x3fb8aa3b, v32, -v25
	v_rndne_f32_e32 v64, v25
	v_dual_fmac_f32 v61, 0x32a5705f, v31 :: v_dual_fmac_f32 v88, 0x32a5705f, v37
	v_fmac_f32_e32 v86, 0x32a5705f, v36
	v_sub_f32_e32 v44, v44, v87
	s_delay_alu instid0(VALU_DEP_3)
	v_dual_add_f32 v7, v7, v59 :: v_dual_add_f32 v24, v24, v61
	v_exp_f32_e32 v6, v6
	v_cvt_i32_f32_e32 v58, v58
	v_ldexp_f32 v5, v5, v56
	v_cndmask_b32_e32 v4, 0, v4, vcc_lo
	v_cmp_ngt_f32_e32 vcc_lo, 0xc2ce8ed0, v28
	v_rndne_f32_e32 v85, v43
	v_fma_f32 v90, 0x3fb8aa3b, v38, -v46
	v_fmac_f32_e32 v63, 0x32a5705f, v32
	v_sub_f32_e32 v25, v25, v64
	v_exp_f32_e32 v7, v7
	v_cvt_i32_f32_e32 v60, v60
	v_ldexp_f32 v6, v6, v58
	v_cndmask_b32_e32 v5, 0, v5, vcc_lo
	v_cmp_ngt_f32_e32 vcc_lo, 0xc2ce8ed0, v29
	v_rndne_f32_e32 v91, v46
	v_fmac_f32_e32 v65, 0x32a5705f, v33
	v_dual_sub_f32 v43, v43, v85 :: v_dual_fmac_f32 v90, 0x32a5705f, v38
	v_dual_add_f32 v25, v25, v63 :: v_dual_add_f32 v42, v42, v82
	v_exp_f32_e32 v24, v24
	v_cvt_i32_f32_e32 v62, v62
	v_ldexp_f32 v7, v7, v60
	v_cndmask_b32_e32 v6, 0, v6, vcc_lo
	v_cmp_ngt_f32_e32 vcc_lo, 0xc2ce8ed0, v30
	v_dual_sub_f32 v46, v46, v91 :: v_dual_add_f32 v41, v41, v65
	v_add_f32_e32 v43, v43, v84
	v_exp_f32_e32 v25, v25
	v_cvt_i32_f32_e32 v64, v64
	v_ldexp_f32 v24, v24, v62
	v_cndmask_b32_e32 v7, 0, v7, vcc_lo
	v_cmp_ngt_f32_e32 vcc_lo, 0xc2ce8ed0, v31
	v_exp_f32_e32 v41, v41
	v_exp_f32_e32 v42, v42
	v_cvt_i32_f32_e32 v81, v81
	v_cvt_i32_f32_e32 v83, v83
	v_ldexp_f32 v25, v25, v64
	v_cndmask_b32_e32 v24, 0, v24, vcc_lo
	v_cmp_ngt_f32_e32 vcc_lo, 0xc2ce8ed0, v32
	v_rndne_f32_e32 v89, v45
	v_exp_f32_e32 v43, v43
	v_cvt_i32_f32_e32 v85, v85
	v_ldexp_f32 v41, v41, v81
	v_ldexp_f32 v42, v42, v83
	v_cndmask_b32_e32 v25, 0, v25, vcc_lo
	v_cmp_ngt_f32_e32 vcc_lo, 0xc2ce8ed0, v33
	v_dual_sub_f32 v45, v45, v89 :: v_dual_fmac_f32 v92, 0x32a5705f, v39
	v_add_f32_e32 v44, v44, v86
	v_ldexp_f32 v43, v43, v85
	v_cndmask_b32_e32 v41, 0, v41, vcc_lo
	v_cmp_ngt_f32_e32 vcc_lo, 0xc2ce8ed0, v34
	v_add_f32_e32 v45, v45, v88
	v_exp_f32_e32 v44, v44
	v_cvt_i32_f32_e32 v87, v87
	v_dual_add_f32 v46, v46, v90 :: v_dual_add_f32 v47, v47, v92
	v_cndmask_b32_e32 v42, 0, v42, vcc_lo
	v_cmp_ngt_f32_e32 vcc_lo, 0xc2ce8ed0, v35
	v_exp_f32_e32 v45, v45
	v_cvt_i32_f32_e32 v89, v89
	v_ldexp_f32 v44, v44, v87
	v_exp_f32_e32 v46, v46
	v_cndmask_b32_e32 v43, 0, v43, vcc_lo
	v_cmp_ngt_f32_e32 vcc_lo, 0xc2ce8ed0, v36
	v_cvt_i32_f32_e32 v91, v91
	v_ldexp_f32 v45, v45, v89
	v_exp_f32_e32 v47, v47
	v_cvt_i32_f32_e32 v93, v93
	v_cndmask_b32_e32 v44, 0, v44, vcc_lo
	v_cmp_ngt_f32_e32 vcc_lo, 0xc2ce8ed0, v37
	v_ldexp_f32 v46, v46, v91
	v_exp_f32_e32 v48, v48
	v_cvt_i32_f32_e32 v95, v95
	v_ldexp_f32 v47, v47, v93
	v_cndmask_b32_e32 v45, 0, v45, vcc_lo
	v_cmp_ngt_f32_e32 vcc_lo, 0xc2ce8ed0, v38
	s_delay_alu instid0(TRANS32_DEP_1) | instid1(VALU_DEP_4)
	v_ldexp_f32 v48, v48, v95
	v_cndmask_b32_e32 v46, 0, v46, vcc_lo
	v_cmp_ngt_f32_e32 vcc_lo, 0xc2ce8ed0, v39
	v_cndmask_b32_e32 v47, 0, v47, vcc_lo
	v_cmp_ngt_f32_e32 vcc_lo, 0xc2ce8ed0, v40
	v_cndmask_b32_e32 v48, 0, v48, vcc_lo
	v_cmp_nlt_f32_e32 vcc_lo, 0x42b17218, v0
	v_cndmask_b32_e32 v0, 0x7f800000, v2, vcc_lo
	v_cmp_nlt_f32_e32 vcc_lo, 0x42b17218, v27
	s_delay_alu instid0(VALU_DEP_2)
	v_cvt_f16_f32_e32 v27, v0
	v_cndmask_b32_e32 v2, 0x7f800000, v3, vcc_lo
	v_cmp_nlt_f32_e32 vcc_lo, 0x42b17218, v1
	v_cndmask_b32_e32 v1, 0x7f800000, v4, vcc_lo
	v_cmp_nlt_f32_e32 vcc_lo, 0x42b17218, v28
	;; [unrolled: 2-line block ×3, first 2 shown]
	s_delay_alu instid0(VALU_DEP_2)
	v_pk_fma_f32 v[22:23], v[22:23], v[0:1], v[2:3]
	v_cndmask_b32_e32 v4, 0x7f800000, v6, vcc_lo
	v_cmp_nlt_f32_e32 vcc_lo, 0x42b17218, v30
	v_cndmask_b32_e32 v6, 0x7f800000, v7, vcc_lo
	v_cmp_nlt_f32_e32 vcc_lo, 0x42b17218, v31
	;; [unrolled: 2-line block ×4, first 2 shown]
	s_delay_alu instid0(VALU_DEP_2)
	v_pk_fma_f32 v[20:21], v[20:21], v[4:5], v[6:7]
	v_cndmask_b32_e32 v24, 0x7f800000, v41, vcc_lo
	v_cmp_nlt_f32_e32 vcc_lo, 0x42b17218, v34
	v_cvt_f16_f32_e32 v34, v1
	v_and_b32_e32 v1, 0xffff, v27
	v_cndmask_b32_e32 v28, 0x7f800000, v42, vcc_lo
	v_cmp_nlt_f32_e32 vcc_lo, 0x42b17218, v35
	v_cvt_f16_f32_e32 v35, v4
	v_and_b32_e32 v2, 0xffff, v34
	v_mul_u32_u24_e32 v1, 0x10001, v1
	v_cndmask_b32_e32 v25, 0x7f800000, v43, vcc_lo
	v_cmp_nlt_f32_e32 vcc_lo, 0x42b17218, v36
	v_cvt_f16_f32_e32 v36, v5
	v_and_b32_e32 v3, 0xffff, v35
	v_mul_u32_u24_e32 v2, 0x10001, v2
	v_pk_mul_f16 v119, v119, v1
	v_cndmask_b32_e32 v29, 0x7f800000, v44, vcc_lo
	v_cmp_nlt_f32_e32 vcc_lo, 0x42b17218, v37
	v_cvt_f16_f32_e32 v37, v24
	v_and_b32_e32 v4, 0xffff, v36
	v_mul_u32_u24_e32 v3, 0x10001, v3
	v_pk_mul_f16 v118, v118, v2
	;; [unrolled: 6-line block ×4, first 2 shown]
	v_cndmask_b32_e32 v31, 0x7f800000, v47, vcc_lo
	v_and_b32_e32 v7, 0xffff, v39
	v_cmp_nlt_f32_e32 vcc_lo, 0x42b17218, v40
	v_mul_u32_u24_e32 v6, 0x10001, v6
	v_pk_mul_f16 v115, v115, v5
	v_cvt_f16_f32_e32 v0, v31
	v_mul_u32_u24_e32 v7, 0x10001, v7
	v_cndmask_b32_e32 v33, 0x7f800000, v48, vcc_lo
	v_pk_mul_f16 v114, v114, v6
	v_pk_fma_f32 v[18:19], v[18:19], v[24:25], v[28:29]
	v_and_b32_e32 v0, 0xffff, v0
	v_pk_mul_f16 v113, v113, v7
	v_pk_fma_f32 v[16:17], v[16:17], v[30:31], v[32:33]
	s_delay_alu instid0(VALU_DEP_3) | instskip(NEXT) | instid1(VALU_DEP_1)
	v_mul_u32_u24_e32 v0, 0x10001, v0
	v_pk_mul_f16 v112, v112, v0
	v_mov_b64_e32 v[0:1], v[8:9]
	v_mov_b64_e32 v[2:3], v[10:11]
	;; [unrolled: 1-line block ×4, first 2 shown]
.LBB37_13:
	s_mov_b32 s3, exec_lo
	v_cmpx_gt_i32_e64 s22, v78
	s_cbranch_execz .LBB37_52
; %bb.14:
	s_load_b32 s0, s[0:1], 0xd4
	v_mov_b32_e32 v8, 1.0
	s_wait_kmcnt 0x0
	s_cmp_lg_u32 s0, 1
	s_cselect_b32 s3, -1, 0
	s_cmp_eq_u32 s0, 1
	s_cselect_b32 s4, -1, 0
	s_and_b32 vcc_lo, exec_lo, s3
	s_cbranch_vccnz .LBB37_16
; %bb.15:
	v_div_scale_f32 v8, null, v22, v22, 1.0
	s_delay_alu instid0(VALU_DEP_1) | instskip(SKIP_1) | instid1(TRANS32_DEP_1)
	v_rcp_f32_e32 v9, v8
	v_nop
	v_fma_f32 v10, -v8, v9, 1.0
	s_delay_alu instid0(VALU_DEP_1) | instskip(SKIP_1) | instid1(VALU_DEP_1)
	v_fmac_f32_e32 v9, v10, v9
	v_div_scale_f32 v10, vcc_lo, 1.0, v22, 1.0
	v_mul_f32_e32 v11, v10, v9
	s_delay_alu instid0(VALU_DEP_1) | instskip(NEXT) | instid1(VALU_DEP_1)
	v_fma_f32 v12, -v8, v11, v10
	v_fmac_f32_e32 v11, v12, v9
	s_delay_alu instid0(VALU_DEP_1) | instskip(NEXT) | instid1(VALU_DEP_1)
	v_fma_f32 v8, -v8, v11, v10
	v_div_fmas_f32 v8, v8, v9, v11
	s_delay_alu instid0(VALU_DEP_1)
	v_div_fixup_f32 v8, v8, v22, 1.0
.LBB37_16:
	s_mul_i32 s1, s28, s22
	v_cvt_f32_f16_e32 v14, v119
	s_add_co_i32 s1, s1, s33
	v_cmp_eq_u32_e32 vcc_lo, 0, v80
	v_dual_add_nc_u32 v9, s1, v76 :: v_dual_lshrrev_b32 v11, 16, v119
	v_mov_b32_e32 v13, 0
	s_and_b32 s3, vcc_lo, s3
	s_delay_alu instid0(VALU_DEP_2) | instskip(NEXT) | instid1(VALU_DEP_3)
	v_mul_lo_u32 v9, v9, s23
	v_cvt_f32_f16_e32 v15, v11
	s_delay_alu instid0(VALU_DEP_2) | instskip(NEXT) | instid1(VALU_DEP_2)
	v_add_nc_u32_e32 v10, s2, v9
	v_pk_mul_f32 v[14:15], v[8:9], v[14:15] op_sel_hi:[0,1]
	s_delay_alu instid0(VALU_DEP_2) | instskip(NEXT) | instid1(VALU_DEP_1)
	v_mad_u32 v10, s0, v10, s31
	v_lshl_add_u32 v12, v10, 6, v26
	s_delay_alu instid0(VALU_DEP_1)
	v_lshl_add_u64 v[12:13], v[12:13], 2, s[16:17]
	global_store_b64 v[12:13], v[14:15], off
	s_wait_xcnt 0x0
	s_and_saveexec_b32 s5, s3
	s_cbranch_execz .LBB37_18
; %bb.17:
	v_dual_mov_b32 v12, v0 :: v_dual_mov_b32 v13, v22
	global_store_b64 v10, v[12:13], s[18:19] scale_offset
.LBB37_18:
	s_wait_xcnt 0x0
	s_or_b32 exec_lo, exec_lo, s5
	v_cndmask_b32_e64 v8, 0, 1, s4
	v_mov_b32_e32 v0, 1.0
	s_and_not1_b32 vcc_lo, exec_lo, s4
	s_cbranch_vccnz .LBB37_20
; %bb.19:
	v_div_scale_f32 v0, null, v23, v23, 1.0
	s_delay_alu instid0(VALU_DEP_1) | instskip(SKIP_1) | instid1(TRANS32_DEP_1)
	v_rcp_f32_e32 v10, v0
	v_nop
	v_fma_f32 v11, -v0, v10, 1.0
	s_delay_alu instid0(VALU_DEP_1) | instskip(SKIP_1) | instid1(VALU_DEP_1)
	v_fmac_f32_e32 v10, v11, v10
	v_div_scale_f32 v11, vcc_lo, 1.0, v23, 1.0
	v_mul_f32_e32 v12, v11, v10
	s_delay_alu instid0(VALU_DEP_1) | instskip(NEXT) | instid1(VALU_DEP_1)
	v_fma_f32 v13, -v0, v12, v11
	v_fmac_f32_e32 v12, v13, v10
	s_delay_alu instid0(VALU_DEP_1) | instskip(NEXT) | instid1(VALU_DEP_1)
	v_fma_f32 v0, -v0, v12, v11
	v_div_fmas_f32 v0, v0, v10, v12
	s_delay_alu instid0(VALU_DEP_1)
	v_div_fixup_f32 v0, v0, v23, 1.0
.LBB37_20:
	s_add_co_i32 s4, s2, 1
	s_delay_alu instid0(SALU_CYCLE_1) | instskip(SKIP_2) | instid1(VALU_DEP_3)
	v_dual_mov_b32 v11, 0 :: v_dual_add_nc_u32 v9, s4, v9
	v_lshrrev_b32_e32 v13, 16, v118
	v_cvt_f32_f16_e32 v12, v118
	v_mad_u32 v9, s0, v9, s31
	s_delay_alu instid0(VALU_DEP_3) | instskip(NEXT) | instid1(VALU_DEP_1)
	v_cvt_f32_f16_e32 v13, v13
	v_pk_mul_f32 v[12:13], v[0:1], v[12:13] op_sel_hi:[0,1]
	s_delay_alu instid0(VALU_DEP_3) | instskip(NEXT) | instid1(VALU_DEP_1)
	v_lshl_add_u32 v10, v9, 6, v26
	v_lshl_add_u64 v[10:11], v[10:11], 2, s[16:17]
	global_store_b64 v[10:11], v[12:13], off
	s_wait_xcnt 0x0
	s_and_saveexec_b32 s5, s3
	s_cbranch_execz .LBB37_22
; %bb.21:
	v_mov_b32_e32 v22, v1
	global_store_b64 v9, v[22:23], s[18:19] scale_offset
.LBB37_22:
	s_wait_xcnt 0x0
	s_or_b32 exec_lo, exec_lo, s5
	v_cmp_gt_i32_e32 vcc_lo, s22, v79
	s_and_b32 exec_lo, exec_lo, vcc_lo
	s_cbranch_execz .LBB37_52
; %bb.23:
	v_cmp_ne_u32_e32 vcc_lo, 1, v8
	v_mov_b32_e32 v0, 1.0
	s_cbranch_vccnz .LBB37_25
; %bb.24:
	v_div_scale_f32 v0, null, v20, v20, 1.0
	s_delay_alu instid0(VALU_DEP_1) | instskip(SKIP_1) | instid1(TRANS32_DEP_1)
	v_rcp_f32_e32 v1, v0
	v_nop
	v_fma_f32 v9, -v0, v1, 1.0
	s_delay_alu instid0(VALU_DEP_1) | instskip(SKIP_1) | instid1(VALU_DEP_1)
	v_fmac_f32_e32 v1, v9, v1
	v_div_scale_f32 v9, vcc_lo, 1.0, v20, 1.0
	v_mul_f32_e32 v10, v9, v1
	s_delay_alu instid0(VALU_DEP_1) | instskip(NEXT) | instid1(VALU_DEP_1)
	v_fma_f32 v11, -v0, v10, v9
	v_fmac_f32_e32 v10, v11, v1
	s_delay_alu instid0(VALU_DEP_1) | instskip(NEXT) | instid1(VALU_DEP_1)
	v_fma_f32 v0, -v0, v10, v9
	v_div_fmas_f32 v0, v0, v1, v10
	s_delay_alu instid0(VALU_DEP_1)
	v_div_fixup_f32 v0, v0, v20, 1.0
.LBB37_25:
	v_dual_add_nc_u32 v1, s1, v77 :: v_dual_mov_b32 v11, 0
	v_lshrrev_b32_e32 v9, 16, v117
	v_cvt_f32_f16_e32 v12, v117
	s_delay_alu instid0(VALU_DEP_3) | instskip(NEXT) | instid1(VALU_DEP_3)
	v_mad_u32 v1, v1, s23, s2
	v_cvt_f32_f16_e32 v13, v9
	s_delay_alu instid0(VALU_DEP_2) | instskip(NEXT) | instid1(VALU_DEP_1)
	v_mad_u32 v1, s0, v1, s31
	v_lshl_add_u32 v10, v1, 6, v26
	s_delay_alu instid0(VALU_DEP_3) | instskip(NEXT) | instid1(VALU_DEP_2)
	v_pk_mul_f32 v[12:13], v[0:1], v[12:13] op_sel_hi:[0,1]
	v_lshl_add_u64 v[10:11], v[10:11], 2, s[16:17]
	global_store_b64 v[10:11], v[12:13], off
	s_wait_xcnt 0x0
	s_and_saveexec_b32 s5, s3
	s_cbranch_execz .LBB37_27
; %bb.26:
	v_dual_mov_b32 v10, v2 :: v_dual_mov_b32 v11, v20
	global_store_b64 v1, v[10:11], s[18:19] scale_offset
.LBB37_27:
	s_wait_xcnt 0x0
	s_or_b32 exec_lo, exec_lo, s5
	v_cmp_gt_i32_e32 vcc_lo, s22, v75
	s_and_b32 exec_lo, exec_lo, vcc_lo
	s_cbranch_execz .LBB37_52
; %bb.28:
	v_cmp_ne_u32_e32 vcc_lo, 1, v8
	v_mov_b32_e32 v0, 1.0
	s_cbranch_vccnz .LBB37_30
; %bb.29:
	v_div_scale_f32 v0, null, v21, v21, 1.0
	s_delay_alu instid0(VALU_DEP_1) | instskip(SKIP_1) | instid1(TRANS32_DEP_1)
	v_rcp_f32_e32 v1, v0
	v_nop
	v_fma_f32 v2, -v0, v1, 1.0
	s_delay_alu instid0(VALU_DEP_1) | instskip(SKIP_1) | instid1(VALU_DEP_1)
	v_fmac_f32_e32 v1, v2, v1
	v_div_scale_f32 v2, vcc_lo, 1.0, v21, 1.0
	v_mul_f32_e32 v9, v2, v1
	s_delay_alu instid0(VALU_DEP_1) | instskip(NEXT) | instid1(VALU_DEP_1)
	v_fma_f32 v10, -v0, v9, v2
	v_fmac_f32_e32 v9, v10, v1
	s_delay_alu instid0(VALU_DEP_1) | instskip(NEXT) | instid1(VALU_DEP_1)
	v_fma_f32 v0, -v0, v9, v2
	v_div_fmas_f32 v0, v0, v1, v9
	s_delay_alu instid0(VALU_DEP_1)
	v_div_fixup_f32 v0, v0, v21, 1.0
.LBB37_30:
	v_dual_add_nc_u32 v1, s1, v74 :: v_dual_lshrrev_b32 v2, 16, v116
	v_mov_b32_e32 v11, 0
	v_cvt_f32_f16_e32 v12, v116
	s_delay_alu instid0(VALU_DEP_3) | instskip(NEXT) | instid1(VALU_DEP_4)
	v_mad_u32 v1, v1, s23, s4
	v_cvt_f32_f16_e32 v13, v2
	s_delay_alu instid0(VALU_DEP_2) | instskip(NEXT) | instid1(VALU_DEP_1)
	v_mad_u32 v1, s0, v1, s31
	v_lshl_add_u32 v10, v1, 6, v26
	s_delay_alu instid0(VALU_DEP_3) | instskip(NEXT) | instid1(VALU_DEP_2)
	v_pk_mul_f32 v[12:13], v[0:1], v[12:13] op_sel_hi:[0,1]
	v_lshl_add_u64 v[10:11], v[10:11], 2, s[16:17]
	global_store_b64 v[10:11], v[12:13], off
	s_wait_xcnt 0x0
	s_and_saveexec_b32 s5, s3
	s_cbranch_execz .LBB37_32
; %bb.31:
	v_mov_b32_e32 v20, v3
	global_store_b64 v1, v[20:21], s[18:19] scale_offset
.LBB37_32:
	s_wait_xcnt 0x0
	s_or_b32 exec_lo, exec_lo, s5
	v_cmp_gt_i32_e32 vcc_lo, s22, v73
	s_and_b32 exec_lo, exec_lo, vcc_lo
	s_cbranch_execz .LBB37_52
; %bb.33:
	v_cmp_ne_u32_e32 vcc_lo, 1, v8
	v_mov_b32_e32 v0, 1.0
	s_cbranch_vccnz .LBB37_35
; %bb.34:
	v_div_scale_f32 v0, null, v18, v18, 1.0
	s_delay_alu instid0(VALU_DEP_1) | instskip(SKIP_1) | instid1(TRANS32_DEP_1)
	v_rcp_f32_e32 v1, v0
	v_nop
	v_fma_f32 v2, -v0, v1, 1.0
	s_delay_alu instid0(VALU_DEP_1) | instskip(SKIP_1) | instid1(VALU_DEP_1)
	v_fmac_f32_e32 v1, v2, v1
	v_div_scale_f32 v2, vcc_lo, 1.0, v18, 1.0
	v_mul_f32_e32 v3, v2, v1
	s_delay_alu instid0(VALU_DEP_1) | instskip(NEXT) | instid1(VALU_DEP_1)
	v_fma_f32 v9, -v0, v3, v2
	v_fmac_f32_e32 v3, v9, v1
	s_delay_alu instid0(VALU_DEP_1) | instskip(NEXT) | instid1(VALU_DEP_1)
	v_fma_f32 v0, -v0, v3, v2
	v_div_fmas_f32 v0, v0, v1, v3
	s_delay_alu instid0(VALU_DEP_1)
	v_div_fixup_f32 v0, v0, v18, 1.0
.LBB37_35:
	v_dual_add_nc_u32 v1, s1, v72 :: v_dual_lshrrev_b32 v9, 16, v115
	v_mov_b32_e32 v3, 0
	v_cvt_f32_f16_e32 v10, v115
	s_delay_alu instid0(VALU_DEP_3) | instskip(NEXT) | instid1(VALU_DEP_4)
	v_mad_u32 v1, v1, s23, s2
	v_cvt_f32_f16_e32 v11, v9
	s_delay_alu instid0(VALU_DEP_2) | instskip(NEXT) | instid1(VALU_DEP_1)
	v_mad_u32 v1, s0, v1, s31
	v_lshl_add_u32 v2, v1, 6, v26
	s_delay_alu instid0(VALU_DEP_3) | instskip(NEXT) | instid1(VALU_DEP_2)
	v_pk_mul_f32 v[10:11], v[0:1], v[10:11] op_sel_hi:[0,1]
	v_lshl_add_u64 v[2:3], v[2:3], 2, s[16:17]
	global_store_b64 v[2:3], v[10:11], off
	s_wait_xcnt 0x0
	s_and_saveexec_b32 s5, s3
	s_cbranch_execz .LBB37_37
; %bb.36:
	v_dual_mov_b32 v2, v4 :: v_dual_mov_b32 v3, v18
	global_store_b64 v1, v[2:3], s[18:19] scale_offset
.LBB37_37:
	s_wait_xcnt 0x0
	s_or_b32 exec_lo, exec_lo, s5
	v_cmp_gt_i32_e32 vcc_lo, s22, v71
	s_and_b32 exec_lo, exec_lo, vcc_lo
	s_cbranch_execz .LBB37_52
; %bb.38:
	v_cmp_ne_u32_e32 vcc_lo, 1, v8
	v_mov_b32_e32 v0, 1.0
	s_cbranch_vccnz .LBB37_40
; %bb.39:
	v_div_scale_f32 v0, null, v19, v19, 1.0
	s_delay_alu instid0(VALU_DEP_1) | instskip(SKIP_1) | instid1(TRANS32_DEP_1)
	v_rcp_f32_e32 v1, v0
	v_nop
	v_fma_f32 v2, -v0, v1, 1.0
	s_delay_alu instid0(VALU_DEP_1) | instskip(SKIP_1) | instid1(VALU_DEP_1)
	v_fmac_f32_e32 v1, v2, v1
	v_div_scale_f32 v2, vcc_lo, 1.0, v19, 1.0
	v_mul_f32_e32 v3, v2, v1
	s_delay_alu instid0(VALU_DEP_1) | instskip(NEXT) | instid1(VALU_DEP_1)
	v_fma_f32 v4, -v0, v3, v2
	v_fmac_f32_e32 v3, v4, v1
	s_delay_alu instid0(VALU_DEP_1) | instskip(NEXT) | instid1(VALU_DEP_1)
	v_fma_f32 v0, -v0, v3, v2
	v_div_fmas_f32 v0, v0, v1, v3
	s_delay_alu instid0(VALU_DEP_1)
	v_div_fixup_f32 v0, v0, v19, 1.0
.LBB37_40:
	v_dual_add_nc_u32 v1, s1, v70 :: v_dual_mov_b32 v3, 0
	v_lshrrev_b32_e32 v4, 16, v114
	v_cvt_f32_f16_e32 v10, v114
	s_delay_alu instid0(VALU_DEP_3) | instskip(NEXT) | instid1(VALU_DEP_3)
	v_mad_u32 v1, v1, s23, s4
	v_cvt_f32_f16_e32 v11, v4
	s_delay_alu instid0(VALU_DEP_2) | instskip(NEXT) | instid1(VALU_DEP_1)
	v_mad_u32 v1, s0, v1, s31
	v_lshl_add_u32 v2, v1, 6, v26
	s_delay_alu instid0(VALU_DEP_3) | instskip(NEXT) | instid1(VALU_DEP_2)
	v_pk_mul_f32 v[10:11], v[0:1], v[10:11] op_sel_hi:[0,1]
	v_lshl_add_u64 v[2:3], v[2:3], 2, s[16:17]
	global_store_b64 v[2:3], v[10:11], off
	s_wait_xcnt 0x0
	s_and_saveexec_b32 s5, s3
	s_cbranch_execz .LBB37_42
; %bb.41:
	v_mov_b32_e32 v18, v5
	global_store_b64 v1, v[18:19], s[18:19] scale_offset
.LBB37_42:
	s_wait_xcnt 0x0
	s_or_b32 exec_lo, exec_lo, s5
	v_cmp_gt_i32_e32 vcc_lo, s22, v69
	s_and_b32 exec_lo, exec_lo, vcc_lo
	s_cbranch_execz .LBB37_52
; %bb.43:
	v_cmp_ne_u32_e32 vcc_lo, 1, v8
	v_mov_b32_e32 v0, 1.0
	s_cbranch_vccnz .LBB37_45
; %bb.44:
	v_div_scale_f32 v0, null, v16, v16, 1.0
	s_delay_alu instid0(VALU_DEP_1) | instskip(SKIP_1) | instid1(TRANS32_DEP_1)
	v_rcp_f32_e32 v1, v0
	v_nop
	v_fma_f32 v2, -v0, v1, 1.0
	s_delay_alu instid0(VALU_DEP_1) | instskip(SKIP_1) | instid1(VALU_DEP_1)
	v_fmac_f32_e32 v1, v2, v1
	v_div_scale_f32 v2, vcc_lo, 1.0, v16, 1.0
	v_mul_f32_e32 v3, v2, v1
	s_delay_alu instid0(VALU_DEP_1) | instskip(NEXT) | instid1(VALU_DEP_1)
	v_fma_f32 v4, -v0, v3, v2
	v_fmac_f32_e32 v3, v4, v1
	s_delay_alu instid0(VALU_DEP_1) | instskip(NEXT) | instid1(VALU_DEP_1)
	v_fma_f32 v0, -v0, v3, v2
	v_div_fmas_f32 v0, v0, v1, v3
	s_delay_alu instid0(VALU_DEP_1)
	v_div_fixup_f32 v0, v0, v16, 1.0
.LBB37_45:
	v_dual_add_nc_u32 v1, s1, v68 :: v_dual_lshrrev_b32 v5, 16, v113
	v_mov_b32_e32 v3, 0
	v_cvt_f32_f16_e32 v4, v113
	s_delay_alu instid0(VALU_DEP_3) | instskip(NEXT) | instid1(VALU_DEP_4)
	v_mad_u32 v1, v1, s23, s2
	v_cvt_f32_f16_e32 v5, v5
	s_delay_alu instid0(VALU_DEP_2) | instskip(NEXT) | instid1(VALU_DEP_1)
	v_mad_u32 v1, s0, v1, s31
	v_lshl_add_u32 v2, v1, 6, v26
	s_delay_alu instid0(VALU_DEP_3) | instskip(NEXT) | instid1(VALU_DEP_2)
	v_pk_mul_f32 v[4:5], v[0:1], v[4:5] op_sel_hi:[0,1]
	v_lshl_add_u64 v[2:3], v[2:3], 2, s[16:17]
	global_store_b64 v[2:3], v[4:5], off
	s_wait_xcnt 0x0
	s_and_saveexec_b32 s2, s3
	s_cbranch_execz .LBB37_47
; %bb.46:
	v_dual_mov_b32 v2, v6 :: v_dual_mov_b32 v3, v16
	global_store_b64 v1, v[2:3], s[18:19] scale_offset
.LBB37_47:
	s_wait_xcnt 0x0
	s_or_b32 exec_lo, exec_lo, s2
	v_cmp_gt_i32_e32 vcc_lo, s22, v67
	s_and_b32 exec_lo, exec_lo, vcc_lo
	s_cbranch_execz .LBB37_52
; %bb.48:
	v_cmp_ne_u32_e32 vcc_lo, 1, v8
	v_mov_b32_e32 v0, 1.0
	s_cbranch_vccnz .LBB37_50
; %bb.49:
	v_div_scale_f32 v0, null, v17, v17, 1.0
	s_delay_alu instid0(VALU_DEP_1) | instskip(SKIP_1) | instid1(TRANS32_DEP_1)
	v_rcp_f32_e32 v1, v0
	v_nop
	v_fma_f32 v2, -v0, v1, 1.0
	s_delay_alu instid0(VALU_DEP_1) | instskip(SKIP_1) | instid1(VALU_DEP_1)
	v_fmac_f32_e32 v1, v2, v1
	v_div_scale_f32 v2, vcc_lo, 1.0, v17, 1.0
	v_mul_f32_e32 v3, v2, v1
	s_delay_alu instid0(VALU_DEP_1) | instskip(NEXT) | instid1(VALU_DEP_1)
	v_fma_f32 v4, -v0, v3, v2
	v_fmac_f32_e32 v3, v4, v1
	s_delay_alu instid0(VALU_DEP_1) | instskip(NEXT) | instid1(VALU_DEP_1)
	v_fma_f32 v0, -v0, v3, v2
	v_div_fmas_f32 v0, v0, v1, v3
	s_delay_alu instid0(VALU_DEP_1)
	v_div_fixup_f32 v0, v0, v17, 1.0
.LBB37_50:
	v_dual_add_nc_u32 v1, s1, v66 :: v_dual_lshrrev_b32 v5, 16, v112
	v_mov_b32_e32 v3, 0
	v_cvt_f32_f16_e32 v4, v112
	s_delay_alu instid0(VALU_DEP_3) | instskip(NEXT) | instid1(VALU_DEP_4)
	v_mad_u32 v1, v1, s23, s4
	v_cvt_f32_f16_e32 v5, v5
	s_delay_alu instid0(VALU_DEP_2) | instskip(NEXT) | instid1(VALU_DEP_1)
	v_mad_u32 v1, s0, v1, s31
	v_lshl_add_u32 v2, v1, 6, v26
	s_delay_alu instid0(VALU_DEP_3) | instskip(NEXT) | instid1(VALU_DEP_2)
	v_pk_mul_f32 v[4:5], v[0:1], v[4:5] op_sel_hi:[0,1]
	v_lshl_add_u64 v[2:3], v[2:3], 2, s[16:17]
	global_store_b64 v[2:3], v[4:5], off
	s_wait_xcnt 0x0
	s_and_b32 exec_lo, exec_lo, s3
	s_cbranch_execz .LBB37_52
; %bb.51:
	v_mov_b32_e32 v16, v7
	global_store_b64 v1, v[16:17], s[18:19] scale_offset
.LBB37_52:
	s_sendmsg sendmsg(MSG_DEALLOC_VGPRS)
	s_endpgm
	.section	.rodata,"a",@progbits
	.p2align	6, 0x0
	.amdhsa_kernel _ZL15flash_attn_tileILi64ELi64ELi16ELi2ELb0EEvPKcS1_S1_S1_S1_PKiPfP15HIP_vector_typeIfLj2EEffffjfiS5_IjLj3EEiiiiiiiiiiiliiliiiiil
		.amdhsa_group_segment_fixed_size 17408
		.amdhsa_private_segment_fixed_size 0
		.amdhsa_kernarg_size 464
		.amdhsa_user_sgpr_count 2
		.amdhsa_user_sgpr_dispatch_ptr 0
		.amdhsa_user_sgpr_queue_ptr 0
		.amdhsa_user_sgpr_kernarg_segment_ptr 1
		.amdhsa_user_sgpr_dispatch_id 0
		.amdhsa_user_sgpr_kernarg_preload_length 0
		.amdhsa_user_sgpr_kernarg_preload_offset 0
		.amdhsa_user_sgpr_private_segment_size 0
		.amdhsa_wavefront_size32 1
		.amdhsa_uses_dynamic_stack 0
		.amdhsa_enable_private_segment 0
		.amdhsa_system_sgpr_workgroup_id_x 1
		.amdhsa_system_sgpr_workgroup_id_y 1
		.amdhsa_system_sgpr_workgroup_id_z 1
		.amdhsa_system_sgpr_workgroup_info 0
		.amdhsa_system_vgpr_workitem_id 1
		.amdhsa_next_free_vgpr 168
		.amdhsa_next_free_sgpr 47
		.amdhsa_named_barrier_count 0
		.amdhsa_reserve_vcc 1
		.amdhsa_float_round_mode_32 0
		.amdhsa_float_round_mode_16_64 0
		.amdhsa_float_denorm_mode_32 3
		.amdhsa_float_denorm_mode_16_64 3
		.amdhsa_fp16_overflow 0
		.amdhsa_memory_ordered 1
		.amdhsa_forward_progress 1
		.amdhsa_inst_pref_size 205
		.amdhsa_round_robin_scheduling 0
		.amdhsa_exception_fp_ieee_invalid_op 0
		.amdhsa_exception_fp_denorm_src 0
		.amdhsa_exception_fp_ieee_div_zero 0
		.amdhsa_exception_fp_ieee_overflow 0
		.amdhsa_exception_fp_ieee_underflow 0
		.amdhsa_exception_fp_ieee_inexact 0
		.amdhsa_exception_int_div_zero 0
	.end_amdhsa_kernel
	.section	.text._ZL15flash_attn_tileILi64ELi64ELi16ELi2ELb0EEvPKcS1_S1_S1_S1_PKiPfP15HIP_vector_typeIfLj2EEffffjfiS5_IjLj3EEiiiiiiiiiiiliiliiiiil,"axG",@progbits,_ZL15flash_attn_tileILi64ELi64ELi16ELi2ELb0EEvPKcS1_S1_S1_S1_PKiPfP15HIP_vector_typeIfLj2EEffffjfiS5_IjLj3EEiiiiiiiiiiiliiliiiiil,comdat
.Lfunc_end37:
	.size	_ZL15flash_attn_tileILi64ELi64ELi16ELi2ELb0EEvPKcS1_S1_S1_S1_PKiPfP15HIP_vector_typeIfLj2EEffffjfiS5_IjLj3EEiiiiiiiiiiiliiliiiiil, .Lfunc_end37-_ZL15flash_attn_tileILi64ELi64ELi16ELi2ELb0EEvPKcS1_S1_S1_S1_PKiPfP15HIP_vector_typeIfLj2EEffffjfiS5_IjLj3EEiiiiiiiiiiiliiliiiiil
                                        ; -- End function
	.set _ZL15flash_attn_tileILi64ELi64ELi16ELi2ELb0EEvPKcS1_S1_S1_S1_PKiPfP15HIP_vector_typeIfLj2EEffffjfiS5_IjLj3EEiiiiiiiiiiiliiliiiiil.num_vgpr, 168
	.set _ZL15flash_attn_tileILi64ELi64ELi16ELi2ELb0EEvPKcS1_S1_S1_S1_PKiPfP15HIP_vector_typeIfLj2EEffffjfiS5_IjLj3EEiiiiiiiiiiiliiliiiiil.num_agpr, 0
	.set _ZL15flash_attn_tileILi64ELi64ELi16ELi2ELb0EEvPKcS1_S1_S1_S1_PKiPfP15HIP_vector_typeIfLj2EEffffjfiS5_IjLj3EEiiiiiiiiiiiliiliiiiil.numbered_sgpr, 47
	.set _ZL15flash_attn_tileILi64ELi64ELi16ELi2ELb0EEvPKcS1_S1_S1_S1_PKiPfP15HIP_vector_typeIfLj2EEffffjfiS5_IjLj3EEiiiiiiiiiiiliiliiiiil.num_named_barrier, 0
	.set _ZL15flash_attn_tileILi64ELi64ELi16ELi2ELb0EEvPKcS1_S1_S1_S1_PKiPfP15HIP_vector_typeIfLj2EEffffjfiS5_IjLj3EEiiiiiiiiiiiliiliiiiil.private_seg_size, 0
	.set _ZL15flash_attn_tileILi64ELi64ELi16ELi2ELb0EEvPKcS1_S1_S1_S1_PKiPfP15HIP_vector_typeIfLj2EEffffjfiS5_IjLj3EEiiiiiiiiiiiliiliiiiil.uses_vcc, 1
	.set _ZL15flash_attn_tileILi64ELi64ELi16ELi2ELb0EEvPKcS1_S1_S1_S1_PKiPfP15HIP_vector_typeIfLj2EEffffjfiS5_IjLj3EEiiiiiiiiiiiliiliiiiil.uses_flat_scratch, 0
	.set _ZL15flash_attn_tileILi64ELi64ELi16ELi2ELb0EEvPKcS1_S1_S1_S1_PKiPfP15HIP_vector_typeIfLj2EEffffjfiS5_IjLj3EEiiiiiiiiiiiliiliiiiil.has_dyn_sized_stack, 0
	.set _ZL15flash_attn_tileILi64ELi64ELi16ELi2ELb0EEvPKcS1_S1_S1_S1_PKiPfP15HIP_vector_typeIfLj2EEffffjfiS5_IjLj3EEiiiiiiiiiiiliiliiiiil.has_recursion, 0
	.set _ZL15flash_attn_tileILi64ELi64ELi16ELi2ELb0EEvPKcS1_S1_S1_S1_PKiPfP15HIP_vector_typeIfLj2EEffffjfiS5_IjLj3EEiiiiiiiiiiiliiliiiiil.has_indirect_call, 0
	.section	.AMDGPU.csdata,"",@progbits
; Kernel info:
; codeLenInByte = 26180
; TotalNumSgprs: 49
; NumVgprs: 168
; ScratchSize: 0
; MemoryBound: 0
; FloatMode: 240
; IeeeMode: 1
; LDSByteSize: 17408 bytes/workgroup (compile time only)
; SGPRBlocks: 0
; VGPRBlocks: 10
; NumSGPRsForWavesPerEU: 49
; NumVGPRsForWavesPerEU: 168
; NamedBarCnt: 0
; Occupancy: 5
; WaveLimiterHint : 1
; COMPUTE_PGM_RSRC2:SCRATCH_EN: 0
; COMPUTE_PGM_RSRC2:USER_SGPR: 2
; COMPUTE_PGM_RSRC2:TRAP_HANDLER: 0
; COMPUTE_PGM_RSRC2:TGID_X_EN: 1
; COMPUTE_PGM_RSRC2:TGID_Y_EN: 1
; COMPUTE_PGM_RSRC2:TGID_Z_EN: 1
; COMPUTE_PGM_RSRC2:TIDIG_COMP_CNT: 1
	.section	.text._ZL33flash_attn_stream_k_fixup_uniformILi64ELi16ELi2EEvPfPK15HIP_vector_typeIfLj2EEiiiiiiS1_IjLj3EES5_S5_,"axG",@progbits,_ZL33flash_attn_stream_k_fixup_uniformILi64ELi16ELi2EEvPfPK15HIP_vector_typeIfLj2EEiiiiiiS1_IjLj3EES5_S5_,comdat
	.globl	_ZL33flash_attn_stream_k_fixup_uniformILi64ELi16ELi2EEvPfPK15HIP_vector_typeIfLj2EEiiiiiiS1_IjLj3EES5_S5_ ; -- Begin function _ZL33flash_attn_stream_k_fixup_uniformILi64ELi16ELi2EEvPfPK15HIP_vector_typeIfLj2EEiiiiiiS1_IjLj3EES5_S5_
	.p2align	8
	.type	_ZL33flash_attn_stream_k_fixup_uniformILi64ELi16ELi2EEvPfPK15HIP_vector_typeIfLj2EEiiiiiiS1_IjLj3EES5_S5_,@function
_ZL33flash_attn_stream_k_fixup_uniformILi64ELi16ELi2EEvPfPK15HIP_vector_typeIfLj2EEiiiiiiS1_IjLj3EES5_S5_: ; @_ZL33flash_attn_stream_k_fixup_uniformILi64ELi16ELi2EEvPfPK15HIP_vector_typeIfLj2EEiiiiiiS1_IjLj3EES5_S5_
; %bb.0:
	s_load_b256 s[4:11], s[0:1], 0x1c
	s_bfe_u32 s2, ttmp6, 0x40014
	s_lshr_b32 s3, ttmp7, 16
	s_add_co_i32 s2, s2, 1
	s_bfe_u32 s13, ttmp6, 0x40010
	s_mul_i32 s2, s3, s2
	s_bfe_u32 s12, ttmp6, 0x40008
	s_and_b32 s15, ttmp7, 0xffff
	s_add_co_i32 s13, s13, 1
	s_bfe_u32 s14, ttmp6, 0x4000c
	s_add_co_i32 s12, s12, s2
	s_mul_i32 s2, s15, s13
	s_bfe_u32 s13, ttmp6, 0x40004
	s_add_co_i32 s14, s14, 1
	s_add_co_i32 s13, s13, s2
	s_and_b32 s2, ttmp6, 15
	s_mul_i32 s14, ttmp9, s14
	s_getreg_b32 s20, hwreg(HW_REG_IB_STS2, 6, 4)
	s_add_co_i32 s2, s2, s14
	s_load_b128 s[16:19], s[0:1], 0x3c
	s_cmp_eq_u32 s20, 0
	s_cselect_b32 s14, ttmp9, s2
	s_cselect_b32 s13, s15, s13
	s_wait_kmcnt 0x0
	s_mul_hi_u32 s2, s7, s14
	s_cselect_b32 s12, s3, s12
	s_add_co_i32 s2, s14, s2
	s_delay_alu instid0(SALU_CYCLE_1) | instskip(NEXT) | instid1(SALU_CYCLE_1)
	s_lshr_b32 s7, s2, s8
	s_mul_i32 s2, s7, s9
	s_delay_alu instid0(SALU_CYCLE_1) | instskip(NEXT) | instid1(SALU_CYCLE_1)
	s_sub_co_i32 s8, s14, s2
	s_mul_hi_u32 s2, s8, s10
	s_delay_alu instid0(SALU_CYCLE_1) | instskip(SKIP_2) | instid1(SALU_CYCLE_1)
	s_add_co_i32 s9, s8, s2
	s_load_b64 s[2:3], s[0:1], 0x10
	s_lshr_b32 s15, s9, s11
	s_mul_i32 s9, s15, s16
	s_delay_alu instid0(SALU_CYCLE_1) | instskip(NEXT) | instid1(SALU_CYCLE_1)
	s_sub_co_i32 s8, s8, s9
	s_mul_hi_u32 s9, s8, s17
	s_delay_alu instid0(SALU_CYCLE_1) | instskip(NEXT) | instid1(SALU_CYCLE_1)
	s_add_co_i32 s9, s8, s9
	s_lshr_b32 s9, s9, s18
	s_delay_alu instid0(SALU_CYCLE_1) | instskip(SKIP_2) | instid1(SALU_CYCLE_1)
	s_mul_i32 s10, s9, s19
	s_lshl_b32 s17, s9, 1
	s_sub_co_i32 s16, s8, s10
	s_lshl_b32 s8, s16, 4
	s_delay_alu instid0(SALU_CYCLE_1) | instskip(SKIP_4) | instid1(SALU_CYCLE_1)
	s_add_co_i32 s8, s8, s13
	s_wait_kmcnt 0x0
	s_cmp_lt_i32 s8, s2
	s_cselect_b32 s8, -1, 0
	s_add_co_i32 s9, s17, s12
	s_cmp_lt_i32 s9, s5
	s_cselect_b32 s9, -1, 0
	s_delay_alu instid0(SALU_CYCLE_1) | instskip(NEXT) | instid1(SALU_CYCLE_1)
	s_and_b32 s8, s8, s9
	s_and_not1_b32 vcc_lo, exec_lo, s8
	s_cbranch_vccnz .LBB38_6
; %bb.1:
	s_mul_i32 s2, s7, s2
	s_load_b128 s[8:11], s[0:1], 0x0
	s_wait_xcnt 0x0
	s_add_co_i32 s0, s2, s13
	s_mul_i32 s15, s15, s5
	s_mul_i32 s0, s0, s3
	;; [unrolled: 1-line block ×3, first 2 shown]
	s_add_co_i32 s0, s0, s12
	s_lshl_b32 s1, s1, 10
	s_add_co_i32 s0, s0, s15
	s_mul_i32 s7, s6, s14
	s_add_co_i32 s0, s0, s17
	s_lshl_b32 s5, s13, 1
	s_lshl_b32 s0, s0, 6
	s_add_co_i32 s15, s7, s6
	s_add_co_i32 s1, s1, s0
	;; [unrolled: 1-line block ×3, first 2 shown]
	v_or_b32_e32 v4, s1, v0
	s_lshl_b32 s1, s15, 5
	s_add_co_i32 s2, s15, -2
	s_add_co_i32 s0, s0, s1
	s_delay_alu instid0(SALU_CYCLE_1)
	s_sub_co_i32 s0, s0, 32
	s_wait_kmcnt 0x0
	global_load_b32 v3, v4, s[8:9] scale_offset
	s_ashr_i32 s1, s0, 31
	v_ashrrev_i32_e32 v5, 31, v4
	s_lshl_b64 s[0:1], s[0:1], 3
	s_cmp_lt_i32 s2, s7
	s_add_nc_u64 s[0:1], s[10:11], s[0:1]
	s_load_b32 s16, s[0:1], 0x4
	s_cbranch_scc1 .LBB38_4
; %bb.2:
	s_wait_xcnt 0x0
	s_load_b32 s0, s[0:1], 0x0
	s_add_co_i32 s14, s14, 1
	s_lshl_b32 s3, s13, 7
	s_wait_xcnt 0x0
	s_mul_i32 s1, s6, s14
	s_lshl_b32 s6, s12, 6
	s_lshl_b32 s13, s1, 11
	s_add_co_i32 s6, s6, s3
	s_lshl_b32 s1, s1, 5
	s_add_co_i32 s6, s6, s13
	s_lshl_b32 s2, s4, 7
	s_wait_kmcnt 0x0
	v_dual_mov_b32 v2, s16 :: v_dual_bitop2_b32 v0, s6, v0 bitop3:0x54
	s_add_co_i32 s1, s12, s1
	s_lshl_b32 s4, s4, 5
	s_ashr_i32 s3, s2, 31
	s_add_co_i32 s1, s1, s4
	v_add_nc_u32_e32 v0, 0xfffff000, v0
	s_lshl_b64 s[2:3], s[2:3], 2
	s_add_co_i32 s4, s1, s5
	s_add_nc_u64 s[2:3], s[10:11], s[2:3]
	s_add_co_i32 s1, s15, -1
	s_sub_co_i32 s4, s4, 64
.LBB38_3:                               ; =>This Inner Loop Header: Depth=1
	global_load_b32 v7, v0, s[2:3] scale_offset
	s_ashr_i32 s5, s4, 31
	v_max_num_f32_e64 v1, s0, s0
	s_lshl_b64 s[12:13], s[4:5], 3
	s_delay_alu instid0(SALU_CYCLE_1) | instskip(SKIP_1) | instid1(VALU_DEP_1)
	s_add_nc_u64 s[12:13], s[10:11], s[12:13]
	s_load_b64 s[12:13], s[12:13], 0x0
	v_readfirstlane_b32 s5, v1
	v_add_nc_u32_e32 v0, 0xfffff800, v0
	s_wait_kmcnt 0x0
	v_max_num_f32_e64 v1, s12, s12
	s_delay_alu instid0(VALU_DEP_1) | instskip(SKIP_1) | instid1(SALU_CYCLE_3)
	v_readfirstlane_b32 s6, v1
	s_max_num_f32 s5, s5, s6
	s_sub_f32 s0, s0, s5
	s_sub_f32 s6, s12, s5
	s_delay_alu instid0(SALU_CYCLE_2) | instskip(NEXT) | instid1(SALU_CYCLE_2)
	s_mul_f32 s12, s0, 0x3fb8aa3b
	s_mul_f32 s14, s6, 0x3fb8aa3b
	s_delay_alu instid0(SALU_CYCLE_2)
	s_xor_b32 s15, s12, 0x80000000
	s_rndne_f32 s16, s12
	s_fmamk_f32 s15, s0, 0x3fb8aa3b, s15
	s_cmp_nlt_f32 s0, 0xc2ce8ed0
	s_rndne_f32 s17, s14
	s_sub_f32 s12, s12, s16
	s_fmamk_f32 s15, s0, 0x32a5705f, s15
	s_cselect_b32 vcc_lo, -1, 0
	s_cmp_ngt_f32 s0, 0x42b17218
	s_delay_alu instid0(SALU_CYCLE_1) | instskip(SKIP_2) | instid1(SALU_CYCLE_1)
	s_add_f32 s12, s12, s15
	s_cvt_i32_f32 s15, s16
	s_sub_f32 s16, s14, s17
	v_s_exp_f32 s12, s12
	v_nop
	s_delay_alu instid0(TRANS32_DEP_1) | instskip(SKIP_1) | instid1(VALU_DEP_1)
	v_ldexp_f32 v1, s12, s15
	s_cvt_i32_f32 s12, s17
	v_cndmask_b32_e32 v1, 0, v1, vcc_lo
	s_cselect_b32 vcc_lo, -1, 0
	s_cmp_ge_f32 s0, 0xc1a00000
	s_delay_alu instid0(VALU_DEP_1)
	v_cndmask_b32_e32 v1, 0x7f800000, v1, vcc_lo
	s_cselect_b32 vcc_lo, -1, 0
	s_xor_b32 s0, s14, 0x80000000
	s_cmp_nlt_f32 s6, 0xc2ce8ed0
	s_fmamk_f32 s0, s6, 0x3fb8aa3b, s0
	v_cndmask_b32_e32 v10, 0, v1, vcc_lo
	s_delay_alu instid0(SALU_CYCLE_2) | instskip(NEXT) | instid1(SALU_CYCLE_3)
	s_fmamk_f32 s0, s6, 0x32a5705f, s0
	s_add_f32 s0, s16, s0
	s_delay_alu instid0(SALU_CYCLE_3) | instskip(SKIP_1) | instid1(TRANS32_DEP_1)
	v_s_exp_f32 s0, s0
	v_nop
	v_ldexp_f32 v6, s0, s12
	s_cselect_b32 s0, -1, 0
	s_cmp_ngt_f32 s6, 0x42b17218
	s_delay_alu instid0(VALU_DEP_1) | instskip(SKIP_2) | instid1(VALU_DEP_1)
	v_cndmask_b32_e64 v6, 0, v6, s0
	s_cselect_b32 s0, -1, 0
	s_cmp_ge_f32 s6, 0xc1a00000
	v_cndmask_b32_e64 v8, 0x7f800000, v6, s0
	s_cselect_b32 s0, -1, 0
	v_mov_b32_e32 v6, s13
	s_add_co_i32 s1, s1, -1
	s_sub_co_i32 s4, s4, 32
	v_cndmask_b32_e64 v8, 0, v8, s0
	s_cmp_le_i32 s1, s7
	s_mov_b32 s0, s5
	s_wait_loadcnt 0x0
	s_delay_alu instid0(VALU_DEP_1) | instskip(NEXT) | instid1(VALU_DEP_1)
	v_pk_mul_f32 v[6:7], v[6:7], v[8:9] op_sel_hi:[1,0]
	v_pk_fma_f32 v[2:3], v[2:3], v[10:11], v[6:7] op_sel_hi:[1,0,1]
	s_cbranch_scc0 .LBB38_3
	s_branch .LBB38_5
.LBB38_4:
	s_wait_kmcnt 0x0
	v_mov_b32_e32 v2, s16
.LBB38_5:
	v_lshl_add_u64 v[0:1], v[4:5], 2, s[8:9]
	s_wait_loadcnt 0x0
	s_delay_alu instid0(VALU_DEP_2) | instskip(NEXT) | instid1(VALU_DEP_1)
	v_div_scale_f32 v4, null, v2, v2, v3
	v_rcp_f32_e32 v5, v4
	v_nop
	s_delay_alu instid0(TRANS32_DEP_1) | instskip(NEXT) | instid1(VALU_DEP_1)
	v_fma_f32 v6, -v4, v5, 1.0
	v_fmac_f32_e32 v5, v6, v5
	v_div_scale_f32 v6, vcc_lo, v3, v2, v3
	s_delay_alu instid0(VALU_DEP_1) | instskip(NEXT) | instid1(VALU_DEP_1)
	v_mul_f32_e32 v7, v6, v5
	v_fma_f32 v8, -v4, v7, v6
	s_delay_alu instid0(VALU_DEP_1) | instskip(NEXT) | instid1(VALU_DEP_1)
	v_fmac_f32_e32 v7, v8, v5
	v_fma_f32 v4, -v4, v7, v6
	s_delay_alu instid0(VALU_DEP_1) | instskip(NEXT) | instid1(VALU_DEP_1)
	v_div_fmas_f32 v4, v4, v5, v7
	v_div_fixup_f32 v2, v4, v2, v3
	global_store_b32 v[0:1], v2, off
.LBB38_6:
	s_endpgm
	.section	.rodata,"a",@progbits
	.p2align	6, 0x0
	.amdhsa_kernel _ZL33flash_attn_stream_k_fixup_uniformILi64ELi16ELi2EEvPfPK15HIP_vector_typeIfLj2EEiiiiiiS1_IjLj3EES5_S5_
		.amdhsa_group_segment_fixed_size 0
		.amdhsa_private_segment_fixed_size 0
		.amdhsa_kernarg_size 76
		.amdhsa_user_sgpr_count 2
		.amdhsa_user_sgpr_dispatch_ptr 0
		.amdhsa_user_sgpr_queue_ptr 0
		.amdhsa_user_sgpr_kernarg_segment_ptr 1
		.amdhsa_user_sgpr_dispatch_id 0
		.amdhsa_user_sgpr_kernarg_preload_length 0
		.amdhsa_user_sgpr_kernarg_preload_offset 0
		.amdhsa_user_sgpr_private_segment_size 0
		.amdhsa_wavefront_size32 1
		.amdhsa_uses_dynamic_stack 0
		.amdhsa_enable_private_segment 0
		.amdhsa_system_sgpr_workgroup_id_x 1
		.amdhsa_system_sgpr_workgroup_id_y 1
		.amdhsa_system_sgpr_workgroup_id_z 1
		.amdhsa_system_sgpr_workgroup_info 0
		.amdhsa_system_vgpr_workitem_id 0
		.amdhsa_next_free_vgpr 12
		.amdhsa_next_free_sgpr 21
		.amdhsa_named_barrier_count 0
		.amdhsa_reserve_vcc 1
		.amdhsa_float_round_mode_32 0
		.amdhsa_float_round_mode_16_64 0
		.amdhsa_float_denorm_mode_32 3
		.amdhsa_float_denorm_mode_16_64 3
		.amdhsa_fp16_overflow 0
		.amdhsa_memory_ordered 1
		.amdhsa_forward_progress 1
		.amdhsa_inst_pref_size 9
		.amdhsa_round_robin_scheduling 0
		.amdhsa_exception_fp_ieee_invalid_op 0
		.amdhsa_exception_fp_denorm_src 0
		.amdhsa_exception_fp_ieee_div_zero 0
		.amdhsa_exception_fp_ieee_overflow 0
		.amdhsa_exception_fp_ieee_underflow 0
		.amdhsa_exception_fp_ieee_inexact 0
		.amdhsa_exception_int_div_zero 0
	.end_amdhsa_kernel
	.section	.text._ZL33flash_attn_stream_k_fixup_uniformILi64ELi16ELi2EEvPfPK15HIP_vector_typeIfLj2EEiiiiiiS1_IjLj3EES5_S5_,"axG",@progbits,_ZL33flash_attn_stream_k_fixup_uniformILi64ELi16ELi2EEvPfPK15HIP_vector_typeIfLj2EEiiiiiiS1_IjLj3EES5_S5_,comdat
.Lfunc_end38:
	.size	_ZL33flash_attn_stream_k_fixup_uniformILi64ELi16ELi2EEvPfPK15HIP_vector_typeIfLj2EEiiiiiiS1_IjLj3EES5_S5_, .Lfunc_end38-_ZL33flash_attn_stream_k_fixup_uniformILi64ELi16ELi2EEvPfPK15HIP_vector_typeIfLj2EEiiiiiiS1_IjLj3EES5_S5_
                                        ; -- End function
	.set _ZL33flash_attn_stream_k_fixup_uniformILi64ELi16ELi2EEvPfPK15HIP_vector_typeIfLj2EEiiiiiiS1_IjLj3EES5_S5_.num_vgpr, 12
	.set _ZL33flash_attn_stream_k_fixup_uniformILi64ELi16ELi2EEvPfPK15HIP_vector_typeIfLj2EEiiiiiiS1_IjLj3EES5_S5_.num_agpr, 0
	.set _ZL33flash_attn_stream_k_fixup_uniformILi64ELi16ELi2EEvPfPK15HIP_vector_typeIfLj2EEiiiiiiS1_IjLj3EES5_S5_.numbered_sgpr, 21
	.set _ZL33flash_attn_stream_k_fixup_uniformILi64ELi16ELi2EEvPfPK15HIP_vector_typeIfLj2EEiiiiiiS1_IjLj3EES5_S5_.num_named_barrier, 0
	.set _ZL33flash_attn_stream_k_fixup_uniformILi64ELi16ELi2EEvPfPK15HIP_vector_typeIfLj2EEiiiiiiS1_IjLj3EES5_S5_.private_seg_size, 0
	.set _ZL33flash_attn_stream_k_fixup_uniformILi64ELi16ELi2EEvPfPK15HIP_vector_typeIfLj2EEiiiiiiS1_IjLj3EES5_S5_.uses_vcc, 1
	.set _ZL33flash_attn_stream_k_fixup_uniformILi64ELi16ELi2EEvPfPK15HIP_vector_typeIfLj2EEiiiiiiS1_IjLj3EES5_S5_.uses_flat_scratch, 0
	.set _ZL33flash_attn_stream_k_fixup_uniformILi64ELi16ELi2EEvPfPK15HIP_vector_typeIfLj2EEiiiiiiS1_IjLj3EES5_S5_.has_dyn_sized_stack, 0
	.set _ZL33flash_attn_stream_k_fixup_uniformILi64ELi16ELi2EEvPfPK15HIP_vector_typeIfLj2EEiiiiiiS1_IjLj3EES5_S5_.has_recursion, 0
	.set _ZL33flash_attn_stream_k_fixup_uniformILi64ELi16ELi2EEvPfPK15HIP_vector_typeIfLj2EEiiiiiiS1_IjLj3EES5_S5_.has_indirect_call, 0
	.section	.AMDGPU.csdata,"",@progbits
; Kernel info:
; codeLenInByte = 1092
; TotalNumSgprs: 23
; NumVgprs: 12
; ScratchSize: 0
; MemoryBound: 0
; FloatMode: 240
; IeeeMode: 1
; LDSByteSize: 0 bytes/workgroup (compile time only)
; SGPRBlocks: 0
; VGPRBlocks: 0
; NumSGPRsForWavesPerEU: 23
; NumVGPRsForWavesPerEU: 12
; NamedBarCnt: 0
; Occupancy: 16
; WaveLimiterHint : 0
; COMPUTE_PGM_RSRC2:SCRATCH_EN: 0
; COMPUTE_PGM_RSRC2:USER_SGPR: 2
; COMPUTE_PGM_RSRC2:TRAP_HANDLER: 0
; COMPUTE_PGM_RSRC2:TGID_X_EN: 1
; COMPUTE_PGM_RSRC2:TGID_Y_EN: 1
; COMPUTE_PGM_RSRC2:TGID_Z_EN: 1
; COMPUTE_PGM_RSRC2:TIDIG_COMP_CNT: 0
	.section	.text._ZL33flash_attn_stream_k_fixup_generalILi64ELi16ELi2EEvPfPK15HIP_vector_typeIfLj2EEiiiiS1_IjLj3EES5_S5_S5_,"axG",@progbits,_ZL33flash_attn_stream_k_fixup_generalILi64ELi16ELi2EEvPfPK15HIP_vector_typeIfLj2EEiiiiS1_IjLj3EES5_S5_S5_,comdat
	.globl	_ZL33flash_attn_stream_k_fixup_generalILi64ELi16ELi2EEvPfPK15HIP_vector_typeIfLj2EEiiiiS1_IjLj3EES5_S5_S5_ ; -- Begin function _ZL33flash_attn_stream_k_fixup_generalILi64ELi16ELi2EEvPfPK15HIP_vector_typeIfLj2EEiiiiS1_IjLj3EES5_S5_S5_
	.p2align	8
	.type	_ZL33flash_attn_stream_k_fixup_generalILi64ELi16ELi2EEvPfPK15HIP_vector_typeIfLj2EEiiiiS1_IjLj3EES5_S5_S5_,@function
_ZL33flash_attn_stream_k_fixup_generalILi64ELi16ELi2EEvPfPK15HIP_vector_typeIfLj2EEiiiiS1_IjLj3EES5_S5_S5_: ; @_ZL33flash_attn_stream_k_fixup_generalILi64ELi16ELi2EEvPfPK15HIP_vector_typeIfLj2EEiiiiS1_IjLj3EES5_S5_S5_
; %bb.0:
	s_clause 0x1
	s_load_b128 s[4:7], s[0:1], 0x10
	s_load_b32 s16, s[0:1], 0x50
	s_bfe_u32 s2, ttmp6, 0x4000c
	s_and_b32 s3, ttmp6, 15
	s_add_co_i32 s2, s2, 1
	s_getreg_b32 s15, hwreg(HW_REG_IB_STS2, 6, 4)
	s_mul_i32 s2, ttmp9, s2
	s_mov_b32 s17, 0
	s_add_co_i32 s3, s3, s2
	s_cmp_eq_u32 s15, 0
	s_cselect_b32 s2, ttmp9, s3
	s_delay_alu instid0(SALU_CYCLE_1) | instskip(SKIP_3) | instid1(SALU_CYCLE_1)
	s_ashr_i32 s3, s2, 31
	s_wait_kmcnt 0x0
	s_ashr_i32 s19, s7, 31
	s_mov_b32 s18, s7
	s_mul_u64 s[8:9], s[18:19], s[2:3]
	s_delay_alu instid0(SALU_CYCLE_1) | instskip(NEXT) | instid1(SALU_CYCLE_1)
	s_and_b64 s[10:11], s[8:9], 0xffffffff00000000
	s_cmp_lg_u64 s[10:11], 0
	s_cbranch_scc0 .LBB39_21
; %bb.1:
	s_add_nc_u64 s[10:11], s[16:17], 0
	s_mov_b32 s23, s17
	s_xor_b64 s[10:11], s[10:11], 0
	s_mov_b32 s27, s17
	s_cvt_f32_u32 s3, s10
	s_cvt_f32_u32 s7, s11
	s_sub_nc_u64 s[20:21], 0, s[10:11]
	s_delay_alu instid0(SALU_CYCLE_2) | instskip(NEXT) | instid1(SALU_CYCLE_3)
	s_fmamk_f32 s3, s7, 0x4f800000, s3
	v_s_rcp_f32 s3, s3
	s_delay_alu instid0(TRANS32_DEP_1) | instskip(NEXT) | instid1(SALU_CYCLE_3)
	s_mul_f32 s3, s3, 0x5f7ffffc
	s_mul_f32 s7, s3, 0x2f800000
	s_delay_alu instid0(SALU_CYCLE_3) | instskip(NEXT) | instid1(SALU_CYCLE_3)
	s_trunc_f32 s7, s7
	s_fmamk_f32 s3, s7, 0xcf800000, s3
	s_cvt_u32_f32 s13, s7
	s_delay_alu instid0(SALU_CYCLE_2) | instskip(NEXT) | instid1(SALU_CYCLE_3)
	s_cvt_u32_f32 s12, s3
	s_mul_u64 s[24:25], s[20:21], s[12:13]
	s_delay_alu instid0(SALU_CYCLE_1)
	s_mul_hi_u32 s29, s12, s25
	s_mul_i32 s28, s12, s25
	s_mul_hi_u32 s22, s12, s24
	s_mul_i32 s7, s13, s24
	s_add_nc_u64 s[22:23], s[22:23], s[28:29]
	s_mul_hi_u32 s3, s13, s24
	s_mul_hi_u32 s14, s13, s25
	s_add_co_u32 s7, s22, s7
	s_add_co_ci_u32 s26, s23, s3
	s_mul_i32 s24, s13, s25
	s_add_co_ci_u32 s25, s14, 0
	s_delay_alu instid0(SALU_CYCLE_1) | instskip(SKIP_3) | instid1(SALU_CYCLE_1)
	s_add_nc_u64 s[22:23], s[26:27], s[24:25]
	s_mov_b32 s25, s17
	s_add_co_u32 s12, s12, s22
	s_cselect_b32 s3, -1, 0
	s_cmp_lg_u32 s3, 0
	s_add_co_ci_u32 s13, s13, s23
	s_mov_b32 s23, s17
	s_mul_u64 s[20:21], s[20:21], s[12:13]
	s_delay_alu instid0(SALU_CYCLE_1)
	s_mul_hi_u32 s27, s12, s21
	s_mul_i32 s26, s12, s21
	s_mul_hi_u32 s22, s12, s20
	s_mul_i32 s7, s13, s20
	s_add_nc_u64 s[22:23], s[22:23], s[26:27]
	s_mul_hi_u32 s3, s13, s20
	s_mul_hi_u32 s14, s13, s21
	s_add_co_u32 s7, s22, s7
	s_add_co_ci_u32 s24, s23, s3
	s_mul_i32 s20, s13, s21
	s_add_co_ci_u32 s21, s14, 0
	s_mov_b32 s23, s17
	s_add_nc_u64 s[20:21], s[24:25], s[20:21]
	s_delay_alu instid0(SALU_CYCLE_1) | instskip(SKIP_1) | instid1(SALU_CYCLE_1)
	s_add_co_u32 s3, s12, s20
	s_cselect_b32 s7, -1, 0
	s_cmp_lg_u32 s7, 0
	s_add_co_ci_u32 s7, s13, s21
	s_ashr_i32 s12, s9, 31
	s_delay_alu instid0(SALU_CYCLE_1) | instskip(NEXT) | instid1(SALU_CYCLE_1)
	s_mov_b32 s13, s12
	s_add_nc_u64 s[20:21], s[8:9], s[12:13]
	s_delay_alu instid0(SALU_CYCLE_1) | instskip(NEXT) | instid1(SALU_CYCLE_1)
	s_xor_b64 s[20:21], s[20:21], s[12:13]
	s_mul_hi_u32 s27, s20, s7
	s_mul_i32 s26, s20, s7
	s_mul_hi_u32 s22, s20, s3
	s_mul_hi_u32 s14, s21, s3
	s_mul_i32 s3, s21, s3
	s_add_nc_u64 s[22:23], s[22:23], s[26:27]
	s_mul_hi_u32 s9, s21, s7
	s_add_co_u32 s3, s22, s3
	s_add_co_ci_u32 s24, s23, s14
	s_mul_i32 s26, s21, s7
	s_add_co_ci_u32 s27, s9, 0
	s_delay_alu instid0(SALU_CYCLE_1) | instskip(NEXT) | instid1(SALU_CYCLE_1)
	s_add_nc_u64 s[22:23], s[24:25], s[26:27]
	s_and_b64 s[24:25], s[22:23], 0xffffffff00000000
	s_delay_alu instid0(SALU_CYCLE_1) | instskip(NEXT) | instid1(SALU_CYCLE_1)
	s_or_b32 s24, s24, s22
	s_mul_u64 s[22:23], s[10:11], s[24:25]
	s_add_nc_u64 s[26:27], s[24:25], 1
	s_sub_co_u32 s3, s20, s22
	s_cselect_b32 s7, -1, 0
	s_sub_co_i32 s9, s21, s23
	s_cmp_lg_u32 s7, 0
	s_add_nc_u64 s[28:29], s[24:25], 2
	s_sub_co_ci_u32 s9, s9, s11
	s_sub_co_u32 s14, s3, s10
	s_cselect_b32 s20, -1, 0
	s_delay_alu instid0(SALU_CYCLE_1) | instskip(SKIP_1) | instid1(SALU_CYCLE_1)
	s_cmp_lg_u32 s20, 0
	s_sub_co_ci_u32 s9, s9, 0
	s_cmp_ge_u32 s9, s11
	s_cselect_b32 s20, -1, 0
	s_cmp_ge_u32 s14, s10
	s_cselect_b32 s14, -1, 0
	s_cmp_eq_u32 s9, s11
	s_cselect_b32 s9, s14, s20
	s_delay_alu instid0(SALU_CYCLE_1) | instskip(SKIP_4) | instid1(SALU_CYCLE_1)
	s_cmp_lg_u32 s9, 0
	s_cselect_b32 s9, s28, s26
	s_cselect_b32 s14, s29, s27
	s_cmp_lg_u32 s7, 0
	s_sub_co_ci_u32 s7, s21, s23
	s_cmp_ge_u32 s7, s11
	s_cselect_b32 s20, -1, 0
	s_cmp_ge_u32 s3, s10
	s_cselect_b32 s3, -1, 0
	s_cmp_eq_u32 s7, s11
	s_cselect_b32 s3, s3, s20
	s_delay_alu instid0(SALU_CYCLE_1) | instskip(SKIP_4) | instid1(SALU_CYCLE_1)
	s_cmp_lg_u32 s3, 0
	s_mov_b32 s3, s17
	s_cselect_b32 s11, s14, s25
	s_cselect_b32 s10, s9, s24
	s_xor_b64 s[12:13], s[12:13], 0
	s_xor_b64 s[10:11], s[10:11], s[12:13]
	s_delay_alu instid0(SALU_CYCLE_1)
	s_sub_nc_u64 s[20:21], s[10:11], s[12:13]
	s_and_not1_b32 vcc_lo, exec_lo, s3
	s_cbranch_vccnz .LBB39_3
.LBB39_2:
	v_cvt_f32_u32_e32 v1, s16
	s_sub_co_i32 s7, 0, s16
	s_mov_b32 s21, 0
	s_delay_alu instid0(VALU_DEP_1) | instskip(SKIP_1) | instid1(TRANS32_DEP_1)
	v_rcp_iflag_f32_e32 v1, v1
	v_nop
	v_mul_f32_e32 v1, 0x4f7ffffe, v1
	s_delay_alu instid0(VALU_DEP_1) | instskip(NEXT) | instid1(VALU_DEP_1)
	v_cvt_u32_f32_e32 v1, v1
	v_readfirstlane_b32 s3, v1
	s_mul_i32 s7, s7, s3
	s_delay_alu instid0(SALU_CYCLE_1) | instskip(NEXT) | instid1(SALU_CYCLE_1)
	s_mul_hi_u32 s7, s3, s7
	s_add_co_i32 s3, s3, s7
	s_delay_alu instid0(SALU_CYCLE_1) | instskip(NEXT) | instid1(SALU_CYCLE_1)
	s_mul_hi_u32 s3, s8, s3
	s_mul_i32 s7, s3, s16
	s_delay_alu instid0(SALU_CYCLE_1)
	s_sub_co_i32 s7, s8, s7
	s_add_co_i32 s8, s3, 1
	s_sub_co_i32 s9, s7, s16
	s_cmp_ge_u32 s7, s16
	s_cselect_b32 s3, s8, s3
	s_cselect_b32 s7, s9, s7
	s_add_co_i32 s8, s3, 1
	s_cmp_ge_u32 s7, s16
	s_cselect_b32 s20, s8, s3
.LBB39_3:
	s_add_co_i32 s8, s2, 1
	s_delay_alu instid0(SALU_CYCLE_1) | instskip(NEXT) | instid1(SALU_CYCLE_1)
	s_ashr_i32 s9, s8, 31
	s_mul_u64 s[8:9], s[18:19], s[8:9]
	s_delay_alu instid0(SALU_CYCLE_1) | instskip(NEXT) | instid1(SALU_CYCLE_1)
	s_and_b64 s[10:11], s[8:9], 0xffffffff00000000
	s_cmp_lg_u64 s[10:11], 0
	s_cbranch_scc0 .LBB39_22
; %bb.4:
	s_add_nc_u64 s[10:11], s[16:17], 0
	s_delay_alu instid0(SALU_CYCLE_1) | instskip(SKIP_4) | instid1(SALU_CYCLE_2)
	s_xor_b64 s[12:13], s[10:11], 0
	s_mov_b32 s11, 0
	s_cvt_f32_u32 s3, s12
	s_cvt_f32_u32 s7, s13
	s_sub_nc_u64 s[24:25], 0, s[12:13]
	s_fmamk_f32 s3, s7, 0x4f800000, s3
	s_delay_alu instid0(SALU_CYCLE_3) | instskip(NEXT) | instid1(TRANS32_DEP_1)
	v_s_rcp_f32 s3, s3
	s_mul_f32 s3, s3, 0x5f7ffffc
	s_delay_alu instid0(SALU_CYCLE_3) | instskip(NEXT) | instid1(SALU_CYCLE_3)
	s_mul_f32 s7, s3, 0x2f800000
	s_trunc_f32 s7, s7
	s_delay_alu instid0(SALU_CYCLE_3) | instskip(SKIP_1) | instid1(SALU_CYCLE_2)
	s_fmamk_f32 s3, s7, 0xcf800000, s3
	s_cvt_u32_f32 s23, s7
	s_cvt_u32_f32 s22, s3
	s_delay_alu instid0(SALU_CYCLE_3) | instskip(NEXT) | instid1(SALU_CYCLE_1)
	s_mul_u64 s[26:27], s[24:25], s[22:23]
	s_mul_hi_u32 s29, s22, s27
	s_mul_i32 s28, s22, s27
	s_mul_hi_u32 s10, s22, s26
	s_mul_i32 s7, s23, s26
	s_add_nc_u64 s[28:29], s[10:11], s[28:29]
	s_mul_hi_u32 s3, s23, s26
	s_mul_hi_u32 s14, s23, s27
	s_add_co_u32 s7, s28, s7
	s_add_co_ci_u32 s10, s29, s3
	s_mul_i32 s26, s23, s27
	s_add_co_ci_u32 s27, s14, 0
	s_delay_alu instid0(SALU_CYCLE_1) | instskip(NEXT) | instid1(SALU_CYCLE_1)
	s_add_nc_u64 s[26:27], s[10:11], s[26:27]
	s_add_co_u32 s22, s22, s26
	s_cselect_b32 s3, -1, 0
	s_delay_alu instid0(SALU_CYCLE_1) | instskip(SKIP_1) | instid1(SALU_CYCLE_1)
	s_cmp_lg_u32 s3, 0
	s_add_co_ci_u32 s23, s23, s27
	s_mul_u64 s[24:25], s[24:25], s[22:23]
	s_delay_alu instid0(SALU_CYCLE_1)
	s_mul_hi_u32 s27, s22, s25
	s_mul_i32 s26, s22, s25
	s_mul_hi_u32 s10, s22, s24
	s_mul_i32 s7, s23, s24
	s_add_nc_u64 s[26:27], s[10:11], s[26:27]
	s_mul_hi_u32 s3, s23, s24
	s_mul_hi_u32 s14, s23, s25
	s_add_co_u32 s7, s26, s7
	s_add_co_ci_u32 s10, s27, s3
	s_mul_i32 s24, s23, s25
	s_add_co_ci_u32 s25, s14, 0
	s_delay_alu instid0(SALU_CYCLE_1) | instskip(NEXT) | instid1(SALU_CYCLE_1)
	s_add_nc_u64 s[24:25], s[10:11], s[24:25]
	s_add_co_u32 s3, s22, s24
	s_cselect_b32 s7, -1, 0
	s_delay_alu instid0(SALU_CYCLE_1) | instskip(SKIP_2) | instid1(SALU_CYCLE_1)
	s_cmp_lg_u32 s7, 0
	s_add_co_ci_u32 s7, s23, s25
	s_ashr_i32 s22, s9, 31
	s_mov_b32 s23, s22
	s_delay_alu instid0(SALU_CYCLE_1) | instskip(NEXT) | instid1(SALU_CYCLE_1)
	s_add_nc_u64 s[24:25], s[8:9], s[22:23]
	s_xor_b64 s[24:25], s[24:25], s[22:23]
	s_delay_alu instid0(SALU_CYCLE_1)
	s_mul_hi_u32 s27, s24, s7
	s_mul_i32 s26, s24, s7
	s_mul_hi_u32 s10, s24, s3
	s_mul_hi_u32 s14, s25, s3
	s_mul_i32 s3, s25, s3
	s_add_nc_u64 s[26:27], s[10:11], s[26:27]
	s_mul_hi_u32 s9, s25, s7
	s_add_co_u32 s3, s26, s3
	s_add_co_ci_u32 s10, s27, s14
	s_mul_i32 s28, s25, s7
	s_add_co_ci_u32 s29, s9, 0
	s_delay_alu instid0(SALU_CYCLE_1) | instskip(NEXT) | instid1(SALU_CYCLE_1)
	s_add_nc_u64 s[26:27], s[10:11], s[28:29]
	s_and_b64 s[28:29], s[26:27], 0xffffffff00000000
	s_delay_alu instid0(SALU_CYCLE_1) | instskip(NEXT) | instid1(SALU_CYCLE_1)
	s_or_b32 s28, s28, s26
	s_mul_u64 s[26:27], s[12:13], s[28:29]
	s_add_nc_u64 s[30:31], s[28:29], 1
	s_sub_co_u32 s3, s24, s26
	s_cselect_b32 s7, -1, 0
	s_sub_co_i32 s9, s25, s27
	s_cmp_lg_u32 s7, 0
	s_add_nc_u64 s[34:35], s[28:29], 2
	s_sub_co_ci_u32 s9, s9, s13
	s_sub_co_u32 s10, s3, s12
	s_cselect_b32 s14, -1, 0
	s_delay_alu instid0(SALU_CYCLE_1) | instskip(SKIP_1) | instid1(SALU_CYCLE_1)
	s_cmp_lg_u32 s14, 0
	s_sub_co_ci_u32 s9, s9, 0
	s_cmp_ge_u32 s9, s13
	s_cselect_b32 s14, -1, 0
	s_cmp_ge_u32 s10, s12
	s_cselect_b32 s10, -1, 0
	s_cmp_eq_u32 s9, s13
	s_cselect_b32 s9, s10, s14
	s_delay_alu instid0(SALU_CYCLE_1) | instskip(SKIP_4) | instid1(SALU_CYCLE_1)
	s_cmp_lg_u32 s9, 0
	s_cselect_b32 s9, s34, s30
	s_cselect_b32 s10, s35, s31
	s_cmp_lg_u32 s7, 0
	s_sub_co_ci_u32 s7, s25, s27
	s_cmp_ge_u32 s7, s13
	s_cselect_b32 s14, -1, 0
	s_cmp_ge_u32 s3, s12
	s_cselect_b32 s3, -1, 0
	s_cmp_eq_u32 s7, s13
	s_cselect_b32 s3, s3, s14
	s_delay_alu instid0(SALU_CYCLE_1) | instskip(SKIP_3) | instid1(SALU_CYCLE_1)
	s_cmp_lg_u32 s3, 0
	s_cselect_b32 s13, s10, s29
	s_cselect_b32 s12, s9, s28
	s_xor_b64 s[22:23], s[22:23], 0
	s_xor_b64 s[12:13], s[12:13], s[22:23]
	s_delay_alu instid0(SALU_CYCLE_1)
	s_sub_nc_u64 s[24:25], s[12:13], s[22:23]
	s_load_b96 s[12:14], s[0:1], 0x44
	s_cbranch_execnz .LBB39_6
.LBB39_5:
	v_cvt_f32_u32_e32 v1, s16
	s_sub_co_i32 s7, 0, s16
	s_delay_alu instid0(VALU_DEP_1) | instskip(SKIP_1) | instid1(TRANS32_DEP_1)
	v_rcp_iflag_f32_e32 v1, v1
	v_nop
	v_mul_f32_e32 v1, 0x4f7ffffe, v1
	s_delay_alu instid0(VALU_DEP_1) | instskip(NEXT) | instid1(VALU_DEP_1)
	v_cvt_u32_f32_e32 v1, v1
	v_readfirstlane_b32 s3, v1
	s_mul_i32 s7, s7, s3
	s_delay_alu instid0(SALU_CYCLE_1) | instskip(NEXT) | instid1(SALU_CYCLE_1)
	s_mul_hi_u32 s7, s3, s7
	s_add_co_i32 s3, s3, s7
	s_delay_alu instid0(SALU_CYCLE_1) | instskip(NEXT) | instid1(SALU_CYCLE_1)
	s_mul_hi_u32 s3, s8, s3
	s_mul_i32 s7, s3, s16
	s_delay_alu instid0(SALU_CYCLE_1)
	s_sub_co_i32 s7, s8, s7
	s_add_co_i32 s8, s3, 1
	s_sub_co_i32 s9, s7, s16
	s_cmp_ge_u32 s7, s16
	s_cselect_b32 s3, s8, s3
	s_cselect_b32 s7, s9, s7
	s_add_co_i32 s8, s3, 1
	s_cmp_ge_u32 s7, s16
	s_cselect_b32 s24, s8, s3
.LBB39_6:
	s_delay_alu instid0(SALU_CYCLE_1)
	s_cmp_eq_u32 s20, s24
	s_mov_b64 s[8:9], 0xffffffff
	s_cselect_b32 s3, -1, 0
	s_and_b64 s[8:9], s[20:21], s[8:9]
	s_mov_b32 s23, 0
	s_wait_kmcnt 0x0
	s_mov_b32 s22, s12
	s_mov_b32 s25, s23
	s_mul_u64 s[10:11], s[8:9], s[22:23]
	s_delay_alu instid0(SALU_CYCLE_1) | instskip(SKIP_2) | instid1(SALU_CYCLE_1)
	s_add_co_i32 s7, s11, s20
	s_mul_u64 s[10:11], s[24:25], s[22:23]
	s_lshr_b32 s12, s7, s13
	s_mul_i32 s7, s12, s14
	s_delay_alu instid0(SALU_CYCLE_1) | instskip(SKIP_2) | instid1(SALU_CYCLE_1)
	s_cmp_eq_u32 s7, s20
	s_cselect_b32 s7, -1, 0
	s_add_co_i32 s10, s11, s24
	s_lshr_b32 s10, s10, s13
	s_delay_alu instid0(SALU_CYCLE_1)
	s_cmp_eq_u32 s12, s10
	s_mul_i32 s10, s10, s14
	s_cselect_b32 s11, -1, 0
	s_cmp_lg_u32 s10, s24
	s_cselect_b32 s10, -1, 0
	s_or_b32 s3, s3, s7
	s_and_b32 s10, s11, s10
	s_delay_alu instid0(SALU_CYCLE_1) | instskip(NEXT) | instid1(SALU_CYCLE_1)
	s_or_b32 s3, s3, s10
	s_and_b32 vcc_lo, exec_lo, s3
	s_cbranch_vccnz .LBB39_24
; %bb.7:
	s_load_b256 s[24:31], s[0:1], 0x20
	s_bfe_u32 s7, ttmp6, 0x40014
	s_bfe_u32 s33, ttmp6, 0x40010
	s_lshr_b32 s3, ttmp7, 16
	s_add_co_i32 s7, s7, 1
	s_and_b32 s21, ttmp7, 0xffff
	s_add_co_i32 s33, s33, 1
	s_bfe_u32 s10, ttmp6, 0x40008
	s_mul_i32 s7, s3, s7
	s_bfe_u32 s34, ttmp6, 0x40004
	s_mul_i32 s33, s21, s33
	s_mov_b32 s11, s23
	s_add_co_i32 s35, s10, s7
	s_add_co_i32 s34, s34, s33
	s_cmp_eq_u32 s15, 0
	s_cselect_b32 s7, s21, s34
	s_cselect_b32 s3, s3, s35
	s_wait_kmcnt 0x0
	s_mov_b32 s10, s24
	s_delay_alu instid0(SALU_CYCLE_1) | instskip(NEXT) | instid1(SALU_CYCLE_1)
	s_mul_u64 s[8:9], s[8:9], s[10:11]
	s_add_co_i32 s8, s9, s20
	s_load_b32 s9, s[0:1], 0x40
	s_lshr_b32 s8, s8, s25
	s_delay_alu instid0(SALU_CYCLE_1) | instskip(NEXT) | instid1(SALU_CYCLE_1)
	s_mul_i32 s10, s8, s26
	s_sub_co_i32 s10, s20, s10
	s_delay_alu instid0(SALU_CYCLE_1) | instskip(NEXT) | instid1(SALU_CYCLE_1)
	s_mul_hi_u32 s11, s10, s27
	s_add_co_i32 s11, s10, s11
	s_delay_alu instid0(SALU_CYCLE_1) | instskip(NEXT) | instid1(SALU_CYCLE_1)
	s_lshr_b32 s15, s11, s28
	s_mul_i32 s11, s15, s29
	s_delay_alu instid0(SALU_CYCLE_1) | instskip(NEXT) | instid1(SALU_CYCLE_1)
	s_sub_co_i32 s10, s10, s11
	s_mul_hi_u32 s11, s10, s30
	s_delay_alu instid0(SALU_CYCLE_1) | instskip(NEXT) | instid1(SALU_CYCLE_1)
	s_add_co_i32 s11, s10, s11
	s_lshr_b32 s26, s11, s31
	s_mov_b32 s11, s23
	s_wait_kmcnt 0x0
	s_mul_i32 s9, s26, s9
	s_delay_alu instid0(SALU_CYCLE_1) | instskip(NEXT) | instid1(SALU_CYCLE_1)
	s_sub_co_i32 s10, s10, s9
	s_mul_u64 s[24:25], s[10:11], s[22:23]
	s_lshl_b32 s24, s26, 1
	s_add_co_i32 s9, s10, s25
	s_delay_alu instid0(SALU_CYCLE_1) | instskip(NEXT) | instid1(SALU_CYCLE_1)
	s_lshr_b32 s21, s9, s13
	s_lshl_b32 s9, s21, 4
	s_delay_alu instid0(SALU_CYCLE_1) | instskip(NEXT) | instid1(SALU_CYCLE_1)
	s_add_co_i32 s9, s9, s7
	s_cmp_lt_i32 s9, s4
	s_cselect_b32 s9, -1, 0
	s_add_co_i32 s10, s24, s3
	s_delay_alu instid0(SALU_CYCLE_1) | instskip(SKIP_1) | instid1(SALU_CYCLE_1)
	s_cmp_lt_i32 s10, s6
	s_cselect_b32 s10, -1, 0
	s_and_b32 s9, s9, s10
	s_delay_alu instid0(SALU_CYCLE_1)
	s_and_not1_b32 vcc_lo, exec_lo, s9
	s_cbranch_vccnz .LBB39_24
; %bb.8:
	s_mul_i32 s4, s8, s4
	s_load_b128 s[8:11], s[0:1], 0x0
	s_wait_xcnt 0x0
	s_add_co_i32 s0, s4, s7
	s_mul_i32 s15, s15, s6
	s_mul_i32 s0, s0, s5
	;; [unrolled: 1-line block ×3, first 2 shown]
	s_add_co_i32 s0, s0, s3
	s_lshl_b32 s1, s1, 10
	s_add_co_i32 s0, s0, s15
	s_lshl_b32 s15, s7, 1
	s_add_co_i32 s0, s0, s24
	s_add_co_i32 s15, s15, s3
	s_lshl_b32 s0, s0, 6
	v_lshl_or_b32 v6, s15, 6, v0
	s_add_co_i32 s1, s1, s0
	v_cvt_f32_u32_e32 v4, s16
	v_or_b32_e32 v2, s1, v0
	s_add_nc_u64 s[0:1], s[16:17], 0
	s_lshl_b32 s24, s16, 7
	s_xor_b64 s[6:7], s[0:1], 0
	s_lshl_b32 s0, s2, 5
	s_cvt_f32_u32 s3, s6
	s_add_co_i32 s0, s15, s0
	s_cvt_f32_u32 s4, s7
	s_ashr_i32 s1, s0, 31
	v_rcp_iflag_f32_e32 v4, v4
	s_lshl_b64 s[0:1], s[0:1], 3
	s_fmamk_f32 s3, s4, 0x4f800000, s3
	s_wait_kmcnt 0x0
	s_add_nc_u64 s[0:1], s[10:11], s[0:1]
	s_mov_b32 s25, 0
	s_load_b64 s[28:29], s[0:1], 0x0
	v_s_rcp_f32 s3, s3
	s_wait_xcnt 0x0
	s_lshl_b64 s[0:1], s[24:25], 2
	s_add_co_i32 s36, s2, -1
	s_add_nc_u64 s[26:27], s[10:11], s[0:1]
	s_sub_nc_u64 s[34:35], 0, s[6:7]
	v_mul_f32_e32 v4, 0x4f7ffffe, v4
	s_delay_alu instid0(TRANS32_DEP_1) | instskip(NEXT) | instid1(VALU_DEP_1)
	s_mul_f32 s3, s3, 0x5f7ffffc
	v_cvt_u32_f32_e32 v7, v4
	s_delay_alu instid0(SALU_CYCLE_2) | instskip(NEXT) | instid1(SALU_CYCLE_3)
	s_mul_f32 s4, s3, 0x2f800000
	s_trunc_f32 s4, s4
	s_wait_kmcnt 0x0
	v_mov_b32_e32 v0, s29
	global_load_b32 v1, v2, s[8:9] scale_offset
	v_ashrrev_i32_e32 v3, 31, v2
	s_fmamk_f32 s0, s4, 0xcf800000, s3
	s_cvt_u32_f32 s31, s4
	s_wait_xcnt 0x0
	s_delay_alu instid0(VALU_DEP_1)
	v_lshl_add_u64 v[2:3], v[2:3], 2, s[8:9]
	s_cvt_u32_f32 s30, s0
	s_mov_b64 s[8:9], 0xffffffff
.LBB39_9:                               ; =>This Inner Loop Header: Depth=1
	s_ashr_i32 s37, s36, 31
                                        ; implicit-def: $sgpr40_sgpr41
	s_delay_alu instid0(SALU_CYCLE_1) | instskip(NEXT) | instid1(SALU_CYCLE_1)
	s_mul_u64 s[0:1], s[36:37], s[18:19]
	s_and_b64 s[2:3], s[0:1], 0xffffffff00000000
	s_delay_alu instid0(SALU_CYCLE_1)
	s_cmp_lg_u64 s[2:3], 0
	s_mov_b32 s2, -1
	s_cbranch_scc0 .LBB39_11
; %bb.10:                               ;   in Loop: Header=BB39_9 Depth=1
	s_mul_u64 s[2:3], s[34:35], s[30:31]
	s_delay_alu instid0(SALU_CYCLE_1)
	s_mul_hi_u32 s5, s30, s3
	s_mul_i32 s4, s30, s3
	s_mul_hi_u32 s24, s30, s2
	s_mul_hi_u32 s17, s31, s2
	s_add_nc_u64 s[4:5], s[24:25], s[4:5]
	s_mul_i32 s2, s31, s2
	s_mul_hi_u32 s21, s31, s3
	s_add_co_u32 s2, s4, s2
	s_add_co_ci_u32 s24, s5, s17
	s_add_co_ci_u32 s5, s21, 0
	s_mul_i32 s4, s31, s3
	s_delay_alu instid0(SALU_CYCLE_1) | instskip(NEXT) | instid1(SALU_CYCLE_1)
	s_add_nc_u64 s[2:3], s[24:25], s[4:5]
	s_add_co_u32 s2, s30, s2
	s_cselect_b32 s4, -1, 0
	s_delay_alu instid0(SALU_CYCLE_1) | instskip(SKIP_1) | instid1(SALU_CYCLE_1)
	s_cmp_lg_u32 s4, 0
	s_add_co_ci_u32 s3, s31, s3
	s_mul_u64 s[4:5], s[34:35], s[2:3]
	s_delay_alu instid0(SALU_CYCLE_1)
	s_mul_hi_u32 s39, s2, s5
	s_mul_i32 s38, s2, s5
	s_mul_hi_u32 s24, s2, s4
	s_mul_hi_u32 s17, s3, s4
	s_mul_i32 s4, s3, s4
	s_add_nc_u64 s[38:39], s[24:25], s[38:39]
	s_mul_hi_u32 s21, s3, s5
	s_add_co_u32 s4, s38, s4
	s_add_co_ci_u32 s24, s39, s17
	s_mul_i32 s4, s3, s5
	s_add_co_ci_u32 s5, s21, 0
	s_delay_alu instid0(SALU_CYCLE_1) | instskip(NEXT) | instid1(SALU_CYCLE_1)
	s_add_nc_u64 s[4:5], s[24:25], s[4:5]
	s_add_co_u32 s17, s2, s4
	s_cselect_b32 s2, -1, 0
	s_delay_alu instid0(SALU_CYCLE_1) | instskip(SKIP_2) | instid1(SALU_CYCLE_1)
	s_cmp_lg_u32 s2, 0
	s_add_co_ci_u32 s21, s3, s5
	s_ashr_i32 s2, s1, 31
	s_mov_b32 s3, s2
	s_delay_alu instid0(SALU_CYCLE_1) | instskip(NEXT) | instid1(SALU_CYCLE_1)
	s_add_nc_u64 s[4:5], s[0:1], s[2:3]
	s_xor_b64 s[4:5], s[4:5], s[2:3]
	s_delay_alu instid0(SALU_CYCLE_1)
	s_mul_hi_u32 s39, s4, s21
	s_mul_i32 s38, s4, s21
	s_mul_hi_u32 s24, s4, s17
	s_mul_hi_u32 s29, s5, s17
	s_mul_i32 s17, s5, s17
	s_add_nc_u64 s[38:39], s[24:25], s[38:39]
	s_mul_hi_u32 s1, s5, s21
	s_add_co_u32 s17, s38, s17
	s_add_co_ci_u32 s24, s39, s29
	s_mul_i32 s40, s5, s21
	s_add_co_ci_u32 s41, s1, 0
	s_delay_alu instid0(SALU_CYCLE_1) | instskip(NEXT) | instid1(SALU_CYCLE_1)
	s_add_nc_u64 s[38:39], s[24:25], s[40:41]
	s_and_b64 s[40:41], s[38:39], 0xffffffff00000000
	s_delay_alu instid0(SALU_CYCLE_1) | instskip(NEXT) | instid1(SALU_CYCLE_1)
	s_or_b32 s40, s40, s38
	s_mul_u64 s[38:39], s[6:7], s[40:41]
	s_add_nc_u64 s[42:43], s[40:41], 1
	s_sub_co_u32 s1, s4, s38
	s_cselect_b32 s4, -1, 0
	s_sub_co_i32 s17, s5, s39
	s_cmp_lg_u32 s4, 0
	s_add_nc_u64 s[44:45], s[40:41], 2
	s_sub_co_ci_u32 s17, s17, s7
	s_sub_co_u32 s21, s1, s6
	s_cselect_b32 s24, -1, 0
	s_delay_alu instid0(SALU_CYCLE_1) | instskip(SKIP_1) | instid1(SALU_CYCLE_1)
	s_cmp_lg_u32 s24, 0
	s_sub_co_ci_u32 s17, s17, 0
	s_cmp_ge_u32 s17, s7
	s_cselect_b32 s24, -1, 0
	s_cmp_ge_u32 s21, s6
	s_cselect_b32 s21, -1, 0
	s_cmp_eq_u32 s17, s7
	s_cselect_b32 s17, s21, s24
	s_delay_alu instid0(SALU_CYCLE_1) | instskip(SKIP_4) | instid1(SALU_CYCLE_1)
	s_cmp_lg_u32 s17, 0
	s_cselect_b32 s17, s44, s42
	s_cselect_b32 s21, s45, s43
	s_cmp_lg_u32 s4, 0
	s_sub_co_ci_u32 s4, s5, s39
	s_cmp_ge_u32 s4, s7
	s_cselect_b32 s5, -1, 0
	s_cmp_ge_u32 s1, s6
	s_cselect_b32 s1, -1, 0
	s_cmp_eq_u32 s4, s7
	s_cselect_b32 s1, s1, s5
	s_delay_alu instid0(SALU_CYCLE_1) | instskip(SKIP_3) | instid1(SALU_CYCLE_1)
	s_cmp_lg_u32 s1, 0
	s_cselect_b32 s5, s21, s41
	s_cselect_b32 s4, s17, s40
	s_xor_b64 s[2:3], s[2:3], 0
	s_xor_b64 s[4:5], s[4:5], s[2:3]
	s_delay_alu instid0(SALU_CYCLE_1)
	s_sub_nc_u64 s[40:41], s[4:5], s[2:3]
	s_mov_b32 s2, 0
.LBB39_11:                              ;   in Loop: Header=BB39_9 Depth=1
	s_delay_alu instid0(SALU_CYCLE_1)
	s_and_not1_b32 vcc_lo, exec_lo, s2
	s_cbranch_vccnz .LBB39_13
; %bb.12:                               ;   in Loop: Header=BB39_9 Depth=1
	v_readfirstlane_b32 s1, v7
	s_sub_co_i32 s2, 0, s16
	s_delay_alu instid0(SALU_CYCLE_1) | instskip(NEXT) | instid1(SALU_CYCLE_1)
	s_mul_i32 s2, s2, s1
	s_mul_hi_u32 s2, s1, s2
	s_delay_alu instid0(SALU_CYCLE_1) | instskip(NEXT) | instid1(SALU_CYCLE_1)
	s_add_co_i32 s1, s1, s2
	s_mul_hi_u32 s1, s0, s1
	s_delay_alu instid0(SALU_CYCLE_1) | instskip(NEXT) | instid1(SALU_CYCLE_1)
	s_mul_i32 s2, s1, s16
	s_sub_co_i32 s0, s0, s2
	s_add_co_i32 s2, s1, 1
	s_sub_co_i32 s3, s0, s16
	s_cmp_ge_u32 s0, s16
	s_cselect_b32 s1, s2, s1
	s_cselect_b32 s0, s3, s0
	s_add_co_i32 s2, s1, 1
	s_cmp_ge_u32 s0, s16
	s_cselect_b32 s24, s2, s1
	s_delay_alu instid0(SALU_CYCLE_1)
	s_mov_b64 s[40:41], s[24:25]
.LBB39_13:                              ;   in Loop: Header=BB39_9 Depth=1
	s_delay_alu instid0(SALU_CYCLE_1)
	s_cmp_lg_u32 s20, s40
	s_mov_b32 s0, -1
                                        ; implicit-def: $vgpr4_vgpr5
                                        ; implicit-def: $sgpr24
                                        ; implicit-def: $sgpr17
                                        ; implicit-def: $sgpr21
                                        ; implicit-def: $sgpr29
	s_cbranch_scc0 .LBB39_18
; %bb.14:                               ;   in Loop: Header=BB39_9 Depth=1
	s_add_co_i32 s0, s36, s16
	v_max_num_f32_e64 v4, s28, s28
	s_lshl_b32 s0, s0, 5
	s_mov_b32 s29, s20
	s_add_co_i32 s0, s0, s15
	s_load_b64 s[38:39], s[10:11], s0 offset:0x0 scale_offset
	s_wait_xcnt 0x0
	v_readfirstlane_b32 s0, v4
	s_wait_kmcnt 0x0
	v_max_num_f32_e64 v5, s38, s38
	s_delay_alu instid0(VALU_DEP_1) | instskip(SKIP_1) | instid1(SALU_CYCLE_3)
	v_readfirstlane_b32 s1, v5
	s_max_num_f32 s17, s0, s1
	s_sub_f32 s33, s28, s17
	s_sub_f32 s37, s38, s17
	s_delay_alu instid0(SALU_CYCLE_2)
	s_cmp_nlt_f32 s33, 0xc2ce8ed0
	s_cselect_b32 s1, -1, 0
	s_cmp_ngt_f32 s33, 0x42b17218
	s_cselect_b32 s2, -1, 0
	s_cmp_ge_f32 s33, 0xc1a00000
	s_cselect_b32 s0, -1, 0
	s_cmp_nlt_f32 s37, 0xc2ce8ed0
	s_cselect_b32 s3, -1, 0
	s_cmp_ngt_f32 s37, 0x42b17218
	s_cselect_b32 s4, -1, 0
	s_cmp_ge_f32 s37, 0xc1a00000
	s_cselect_b32 s5, -1, 0
	s_and_b64 s[42:43], s[40:41], s[8:9]
	s_delay_alu instid0(SALU_CYCLE_1) | instskip(NEXT) | instid1(SALU_CYCLE_1)
	s_mul_u64 s[42:43], s[42:43], s[22:23]
	s_add_co_i32 s21, s43, s40
	s_delay_alu instid0(SALU_CYCLE_1) | instskip(NEXT) | instid1(SALU_CYCLE_1)
	s_lshr_b32 s21, s21, s13
	s_mul_i32 s24, s21, s14
	s_delay_alu instid0(SALU_CYCLE_1) | instskip(SKIP_3) | instid1(SALU_CYCLE_1)
	s_cmp_eq_u32 s24, s40
	s_cselect_b32 s24, -1, 0
	s_cmp_lt_u32 s21, s12
	s_cselect_b32 s21, -1, 0
	s_or_b32 s21, s21, s24
	s_mov_b32 s24, -1
	s_and_b32 vcc_lo, exec_lo, s21
	s_mov_b32 s21, s36
	s_cbranch_vccnz .LBB39_16
; %bb.15:                               ;   in Loop: Header=BB39_9 Depth=1
	s_add_co_i32 s21, s36, -1
	s_mov_b32 s24, 0
	s_mov_b32 s29, s40
.LBB39_16:                              ;   in Loop: Header=BB39_9 Depth=1
	v_lshl_add_u32 v4, s36, 11, v6
	s_mul_f32 s40, s33, 0x3fb8aa3b
	s_mul_f32 s38, s37, 0x3fb8aa3b
	s_delay_alu instid0(SALU_CYCLE_2)
	s_xor_b32 s42, s40, 0x80000000
	global_load_b32 v5, v4, s[26:27] scale_offset
	s_fmamk_f32 s42, s33, 0x3fb8aa3b, s42
	s_rndne_f32 s44, s40
	s_xor_b32 s41, s38, 0x80000000
	s_rndne_f32 s43, s38
	s_fmamk_f32 s33, s33, 0x32a5705f, s42
	s_sub_f32 s40, s40, s44
	s_fmamk_f32 s41, s37, 0x3fb8aa3b, s41
	s_sub_f32 s38, s38, s43
	s_delay_alu instid0(SALU_CYCLE_1) | instskip(NEXT) | instid1(SALU_CYCLE_1)
	s_add_f32 s33, s40, s33
	s_fmamk_f32 s37, s37, 0x32a5705f, s41
	s_cvt_i32_f32 s40, s44
	s_delay_alu instid0(SALU_CYCLE_1) | instskip(NEXT) | instid1(SALU_CYCLE_1)
	v_s_exp_f32 s33, s33
	s_add_f32 s37, s38, s37
	s_cvt_i32_f32 s38, s43
	s_delay_alu instid0(SALU_CYCLE_2) | instskip(NEXT) | instid1(TRANS32_DEP_2)
	v_s_exp_f32 s37, s37
	v_ldexp_f32 v8, s33, s40
	s_wait_xcnt 0x0
	s_delay_alu instid0(TRANS32_DEP_1) | instskip(NEXT) | instid1(VALU_DEP_2)
	v_ldexp_f32 v4, s37, s38
	v_cndmask_b32_e64 v8, 0, v8, s1
	s_delay_alu instid0(VALU_DEP_1) | instskip(NEXT) | instid1(VALU_DEP_1)
	v_cndmask_b32_e64 v9, 0x7f800000, v8, s2
	v_dual_cndmask_b32 v4, 0, v4, s3 :: v_dual_cndmask_b32 v10, 0, v9, s0
	s_delay_alu instid0(VALU_DEP_1) | instskip(NEXT) | instid1(VALU_DEP_1)
	v_cndmask_b32_e64 v4, 0x7f800000, v4, s4
	v_dual_cndmask_b32 v8, 0, v4, s5 :: v_dual_mov_b32 v4, s39
	s_wait_loadcnt 0x0
	s_delay_alu instid0(VALU_DEP_1) | instskip(NEXT) | instid1(VALU_DEP_1)
	v_pk_mul_f32 v[4:5], v[4:5], v[8:9] op_sel_hi:[1,0]
	v_pk_fma_f32 v[4:5], v[0:1], v[10:11], v[4:5] op_sel_hi:[1,0,1]
	s_cbranch_execz .LBB39_19
.LBB39_17:                              ;   in Loop: Header=BB39_9 Depth=1
	s_and_not1_b32 vcc_lo, exec_lo, s24
	s_cbranch_vccnz .LBB39_20
	s_branch .LBB39_23
.LBB39_18:                              ;   in Loop: Header=BB39_9 Depth=1
	s_and_not1_b32 vcc_lo, exec_lo, s0
	s_cbranch_vccnz .LBB39_17
.LBB39_19:                              ;   in Loop: Header=BB39_9 Depth=1
	s_wait_loadcnt 0x0
	v_mov_b64_e32 v[4:5], v[0:1]
	s_add_co_i32 s21, s36, -1
	s_mov_b32 s29, s20
	s_mov_b32 s17, s28
	s_cbranch_execz .LBB39_23
.LBB39_20:                              ;   in Loop: Header=BB39_9 Depth=1
	s_wait_loadcnt 0x0
	s_delay_alu instid0(VALU_DEP_1)
	v_mov_b64_e32 v[0:1], v[4:5]
	s_mov_b32 s20, s29
	s_mov_b32 s36, s21
	;; [unrolled: 1-line block ×3, first 2 shown]
	s_branch .LBB39_9
.LBB39_21:
                                        ; implicit-def: $sgpr20_sgpr21
	s_branch .LBB39_2
.LBB39_22:
                                        ; implicit-def: $sgpr24_sgpr25
	s_load_b96 s[12:14], s[0:1], 0x44
	s_branch .LBB39_5
.LBB39_23:
	s_delay_alu instid0(VALU_DEP_1) | instskip(SKIP_1) | instid1(VALU_DEP_1)
	v_div_scale_f32 v0, null, v4, v4, v5
	s_wait_loadcnt 0x0
	v_rcp_f32_e32 v1, v0
	v_nop
	s_delay_alu instid0(TRANS32_DEP_1) | instskip(NEXT) | instid1(VALU_DEP_1)
	v_fma_f32 v6, -v0, v1, 1.0
	v_fmac_f32_e32 v1, v6, v1
	v_div_scale_f32 v6, vcc_lo, v5, v4, v5
	s_delay_alu instid0(VALU_DEP_1) | instskip(NEXT) | instid1(VALU_DEP_1)
	v_mul_f32_e32 v7, v6, v1
	v_fma_f32 v8, -v0, v7, v6
	s_delay_alu instid0(VALU_DEP_1) | instskip(NEXT) | instid1(VALU_DEP_1)
	v_fmac_f32_e32 v7, v8, v1
	v_fma_f32 v0, -v0, v7, v6
	s_delay_alu instid0(VALU_DEP_1) | instskip(NEXT) | instid1(VALU_DEP_1)
	v_div_fmas_f32 v0, v0, v1, v7
	v_div_fixup_f32 v0, v0, v4, v5
	global_store_b32 v[2:3], v0, off
.LBB39_24:
	s_endpgm
	.section	.rodata,"a",@progbits
	.p2align	6, 0x0
	.amdhsa_kernel _ZL33flash_attn_stream_k_fixup_generalILi64ELi16ELi2EEvPfPK15HIP_vector_typeIfLj2EEiiiiS1_IjLj3EES5_S5_S5_
		.amdhsa_group_segment_fixed_size 0
		.amdhsa_private_segment_fixed_size 0
		.amdhsa_kernarg_size 336
		.amdhsa_user_sgpr_count 2
		.amdhsa_user_sgpr_dispatch_ptr 0
		.amdhsa_user_sgpr_queue_ptr 0
		.amdhsa_user_sgpr_kernarg_segment_ptr 1
		.amdhsa_user_sgpr_dispatch_id 0
		.amdhsa_user_sgpr_kernarg_preload_length 0
		.amdhsa_user_sgpr_kernarg_preload_offset 0
		.amdhsa_user_sgpr_private_segment_size 0
		.amdhsa_wavefront_size32 1
		.amdhsa_uses_dynamic_stack 0
		.amdhsa_enable_private_segment 0
		.amdhsa_system_sgpr_workgroup_id_x 1
		.amdhsa_system_sgpr_workgroup_id_y 1
		.amdhsa_system_sgpr_workgroup_id_z 1
		.amdhsa_system_sgpr_workgroup_info 0
		.amdhsa_system_vgpr_workitem_id 0
		.amdhsa_next_free_vgpr 12
		.amdhsa_next_free_sgpr 46
		.amdhsa_named_barrier_count 0
		.amdhsa_reserve_vcc 1
		.amdhsa_float_round_mode_32 0
		.amdhsa_float_round_mode_16_64 0
		.amdhsa_float_denorm_mode_32 3
		.amdhsa_float_denorm_mode_16_64 3
		.amdhsa_fp16_overflow 0
		.amdhsa_memory_ordered 1
		.amdhsa_forward_progress 1
		.amdhsa_inst_pref_size 27
		.amdhsa_round_robin_scheduling 0
		.amdhsa_exception_fp_ieee_invalid_op 0
		.amdhsa_exception_fp_denorm_src 0
		.amdhsa_exception_fp_ieee_div_zero 0
		.amdhsa_exception_fp_ieee_overflow 0
		.amdhsa_exception_fp_ieee_underflow 0
		.amdhsa_exception_fp_ieee_inexact 0
		.amdhsa_exception_int_div_zero 0
	.end_amdhsa_kernel
	.section	.text._ZL33flash_attn_stream_k_fixup_generalILi64ELi16ELi2EEvPfPK15HIP_vector_typeIfLj2EEiiiiS1_IjLj3EES5_S5_S5_,"axG",@progbits,_ZL33flash_attn_stream_k_fixup_generalILi64ELi16ELi2EEvPfPK15HIP_vector_typeIfLj2EEiiiiS1_IjLj3EES5_S5_S5_,comdat
.Lfunc_end39:
	.size	_ZL33flash_attn_stream_k_fixup_generalILi64ELi16ELi2EEvPfPK15HIP_vector_typeIfLj2EEiiiiS1_IjLj3EES5_S5_S5_, .Lfunc_end39-_ZL33flash_attn_stream_k_fixup_generalILi64ELi16ELi2EEvPfPK15HIP_vector_typeIfLj2EEiiiiS1_IjLj3EES5_S5_S5_
                                        ; -- End function
	.set _ZL33flash_attn_stream_k_fixup_generalILi64ELi16ELi2EEvPfPK15HIP_vector_typeIfLj2EEiiiiS1_IjLj3EES5_S5_S5_.num_vgpr, 12
	.set _ZL33flash_attn_stream_k_fixup_generalILi64ELi16ELi2EEvPfPK15HIP_vector_typeIfLj2EEiiiiS1_IjLj3EES5_S5_S5_.num_agpr, 0
	.set _ZL33flash_attn_stream_k_fixup_generalILi64ELi16ELi2EEvPfPK15HIP_vector_typeIfLj2EEiiiiS1_IjLj3EES5_S5_S5_.numbered_sgpr, 46
	.set _ZL33flash_attn_stream_k_fixup_generalILi64ELi16ELi2EEvPfPK15HIP_vector_typeIfLj2EEiiiiS1_IjLj3EES5_S5_S5_.num_named_barrier, 0
	.set _ZL33flash_attn_stream_k_fixup_generalILi64ELi16ELi2EEvPfPK15HIP_vector_typeIfLj2EEiiiiS1_IjLj3EES5_S5_S5_.private_seg_size, 0
	.set _ZL33flash_attn_stream_k_fixup_generalILi64ELi16ELi2EEvPfPK15HIP_vector_typeIfLj2EEiiiiS1_IjLj3EES5_S5_S5_.uses_vcc, 1
	.set _ZL33flash_attn_stream_k_fixup_generalILi64ELi16ELi2EEvPfPK15HIP_vector_typeIfLj2EEiiiiS1_IjLj3EES5_S5_S5_.uses_flat_scratch, 0
	.set _ZL33flash_attn_stream_k_fixup_generalILi64ELi16ELi2EEvPfPK15HIP_vector_typeIfLj2EEiiiiS1_IjLj3EES5_S5_S5_.has_dyn_sized_stack, 0
	.set _ZL33flash_attn_stream_k_fixup_generalILi64ELi16ELi2EEvPfPK15HIP_vector_typeIfLj2EEiiiiS1_IjLj3EES5_S5_S5_.has_recursion, 0
	.set _ZL33flash_attn_stream_k_fixup_generalILi64ELi16ELi2EEvPfPK15HIP_vector_typeIfLj2EEiiiiS1_IjLj3EES5_S5_S5_.has_indirect_call, 0
	.section	.AMDGPU.csdata,"",@progbits
; Kernel info:
; codeLenInByte = 3360
; TotalNumSgprs: 48
; NumVgprs: 12
; ScratchSize: 0
; MemoryBound: 0
; FloatMode: 240
; IeeeMode: 1
; LDSByteSize: 0 bytes/workgroup (compile time only)
; SGPRBlocks: 0
; VGPRBlocks: 0
; NumSGPRsForWavesPerEU: 48
; NumVGPRsForWavesPerEU: 12
; NamedBarCnt: 0
; Occupancy: 16
; WaveLimiterHint : 0
; COMPUTE_PGM_RSRC2:SCRATCH_EN: 0
; COMPUTE_PGM_RSRC2:USER_SGPR: 2
; COMPUTE_PGM_RSRC2:TRAP_HANDLER: 0
; COMPUTE_PGM_RSRC2:TGID_X_EN: 1
; COMPUTE_PGM_RSRC2:TGID_Y_EN: 1
; COMPUTE_PGM_RSRC2:TGID_Z_EN: 1
; COMPUTE_PGM_RSRC2:TIDIG_COMP_CNT: 0
	.section	.text._ZL15flash_attn_tileILi64ELi64ELi8ELi2ELb0EEvPKcS1_S1_S1_S1_PKiPfP15HIP_vector_typeIfLj2EEffffjfiS5_IjLj3EEiiiiiiiiiiiliiliiiiil,"axG",@progbits,_ZL15flash_attn_tileILi64ELi64ELi8ELi2ELb0EEvPKcS1_S1_S1_S1_PKiPfP15HIP_vector_typeIfLj2EEffffjfiS5_IjLj3EEiiiiiiiiiiiliiliiiiil,comdat
	.globl	_ZL15flash_attn_tileILi64ELi64ELi8ELi2ELb0EEvPKcS1_S1_S1_S1_PKiPfP15HIP_vector_typeIfLj2EEffffjfiS5_IjLj3EEiiiiiiiiiiiliiliiiiil ; -- Begin function _ZL15flash_attn_tileILi64ELi64ELi8ELi2ELb0EEvPKcS1_S1_S1_S1_PKiPfP15HIP_vector_typeIfLj2EEffffjfiS5_IjLj3EEiiiiiiiiiiiliiliiiiil
	.p2align	8
	.type	_ZL15flash_attn_tileILi64ELi64ELi8ELi2ELb0EEvPKcS1_S1_S1_S1_PKiPfP15HIP_vector_typeIfLj2EEffffjfiS5_IjLj3EEiiiiiiiiiiiliiliiiiil,@function
_ZL15flash_attn_tileILi64ELi64ELi8ELi2ELb0EEvPKcS1_S1_S1_S1_PKiPfP15HIP_vector_typeIfLj2EEffffjfiS5_IjLj3EEiiiiiiiiiiiliiliiiiil: ; @_ZL15flash_attn_tileILi64ELi64ELi8ELi2ELb0EEvPKcS1_S1_S1_S1_PKiPfP15HIP_vector_typeIfLj2EEffffjfiS5_IjLj3EEiiiiiiiiiiiliiliiiiil
; %bb.0:
	s_clause 0x1
	s_load_b128 s[20:23], s[0:1], 0x5c
	s_load_b64 s[30:31], s[0:1], 0x80
	s_bfe_u32 s5, ttmp6, 0x40014
	s_lshr_b32 s4, ttmp7, 16
	s_add_co_i32 s5, s5, 1
	s_bfe_u32 s6, ttmp6, 0x40008
	s_mul_i32 s5, s4, s5
	s_getreg_b32 s24, hwreg(HW_REG_IB_STS2, 6, 4)
	s_add_co_i32 s6, s6, s5
	s_load_b64 s[38:39], s[0:1], 0xb8
	s_mov_b32 s37, 0
	s_mov_b64 s[34:35], 0
	s_wait_kmcnt 0x0
	s_lshr_b32 s2, s23, 31
	s_delay_alu instid0(SALU_CYCLE_1) | instskip(NEXT) | instid1(SALU_CYCLE_1)
	s_add_co_i32 s2, s23, s2
	s_ashr_i32 s2, s2, 1
	s_delay_alu instid0(SALU_CYCLE_1) | instskip(SKIP_1) | instid1(SALU_CYCLE_2)
	s_cvt_f32_u32 s3, s2
	s_sub_co_i32 s7, 0, s2
	v_rcp_iflag_f32_e32 v1, s3
	v_nop
	s_delay_alu instid0(TRANS32_DEP_1) | instskip(SKIP_1) | instid1(SALU_CYCLE_3)
	v_readfirstlane_b32 s3, v1
	s_mul_f32 s3, s3, 0x4f7ffffe
	s_cvt_u32_f32 s3, s3
	s_delay_alu instid0(SALU_CYCLE_3) | instskip(NEXT) | instid1(SALU_CYCLE_1)
	s_mul_i32 s7, s7, s3
	s_mul_hi_u32 s7, s3, s7
	s_delay_alu instid0(SALU_CYCLE_1) | instskip(SKIP_2) | instid1(SALU_CYCLE_1)
	s_add_co_i32 s3, s3, s7
	s_cmp_eq_u32 s24, 0
	s_cselect_b32 s4, s4, s6
	s_mul_hi_u32 s3, s4, s3
	s_delay_alu instid0(SALU_CYCLE_1) | instskip(SKIP_2) | instid1(SALU_CYCLE_1)
	s_mul_i32 s5, s3, s2
	s_add_co_i32 s6, s3, 1
	s_sub_co_i32 s5, s4, s5
	s_sub_co_i32 s7, s5, s2
	s_cmp_ge_u32 s5, s2
	s_cselect_b32 s3, s6, s3
	s_cselect_b32 s5, s7, s5
	s_add_co_i32 s6, s3, 1
	s_cmp_ge_u32 s5, s2
	s_cselect_b32 s28, s6, s3
	s_abs_i32 s3, s31
	s_lshl_b32 s4, s4, 1
	s_cvt_f32_u32 s2, s3
	s_sub_co_i32 s5, 0, s3
	s_mul_i32 s6, s28, s23
	s_abs_i32 s7, s23
	v_rcp_iflag_f32_e32 v1, s2
	v_nop
	s_delay_alu instid0(TRANS32_DEP_1) | instskip(SKIP_1) | instid1(SALU_CYCLE_3)
	v_readfirstlane_b32 s2, v1
	s_mul_f32 s2, s2, 0x4f7ffffe
	s_cvt_u32_f32 s2, s2
	s_delay_alu instid0(SALU_CYCLE_3) | instskip(NEXT) | instid1(SALU_CYCLE_1)
	s_mul_i32 s5, s5, s2
	s_mul_hi_u32 s5, s2, s5
	s_delay_alu instid0(SALU_CYCLE_1)
	s_add_co_i32 s5, s2, s5
	s_sub_co_i32 s2, s4, s6
	s_mul_hi_u32 s4, s7, s5
	s_xor_b32 s5, s23, s31
	s_mul_i32 s6, s4, s3
	s_ashr_i32 s25, s5, 31
	s_sub_co_i32 s5, s7, s6
	s_add_co_i32 s6, s4, 1
	s_sub_co_i32 s7, s5, s3
	s_cmp_ge_u32 s5, s3
	s_cselect_b32 s4, s6, s4
	s_cselect_b32 s5, s7, s5
	s_add_co_i32 s6, s4, 1
	s_cmp_ge_u32 s5, s3
	s_cselect_b32 s3, s6, s4
	s_load_b512 s[4:19], s[0:1], 0x0
	s_xor_b32 s3, s3, s25
	s_delay_alu instid0(SALU_CYCLE_1) | instskip(NEXT) | instid1(SALU_CYCLE_1)
	s_sub_co_i32 s29, s3, s25
	s_abs_i32 s3, s29
	s_delay_alu instid0(SALU_CYCLE_1) | instskip(NEXT) | instid1(SALU_CYCLE_3)
	s_cvt_f32_u32 s25, s3
	v_rcp_iflag_f32_e32 v1, s25
	v_nop
	s_delay_alu instid0(TRANS32_DEP_1)
	v_readfirstlane_b32 s36, v1
	s_wait_kmcnt 0x0
	s_cmp_eq_u64 s[10:11], 0
	s_cbranch_scc1 .LBB40_2
; %bb.1:
	s_abs_i32 s25, s38
	s_abs_i32 s31, s28
	s_cvt_f32_u32 s26, s25
	s_sub_co_i32 s27, 0, s25
	s_delay_alu instid0(SALU_CYCLE_2) | instskip(SKIP_1) | instid1(TRANS32_DEP_1)
	v_rcp_iflag_f32_e32 v1, s26
	v_nop
	v_readfirstlane_b32 s26, v1
	s_mul_f32 s26, s26, 0x4f7ffffe
	s_delay_alu instid0(SALU_CYCLE_3) | instskip(NEXT) | instid1(SALU_CYCLE_3)
	s_cvt_u32_f32 s26, s26
	s_mul_i32 s27, s27, s26
	s_delay_alu instid0(SALU_CYCLE_1) | instskip(NEXT) | instid1(SALU_CYCLE_1)
	s_mul_hi_u32 s27, s26, s27
	s_add_co_i32 s26, s26, s27
	s_delay_alu instid0(SALU_CYCLE_1) | instskip(SKIP_2) | instid1(SALU_CYCLE_1)
	s_mul_hi_u32 s33, s31, s26
	s_load_b64 s[26:27], s[0:1], 0xc8
	s_mul_i32 s33, s33, s25
	s_sub_co_i32 s31, s31, s33
	s_ashr_i32 s33, s28, 31
	s_sub_co_i32 s34, s31, s25
	s_cmp_ge_u32 s31, s25
	s_cselect_b32 s31, s34, s31
	s_delay_alu instid0(SALU_CYCLE_1) | instskip(SKIP_2) | instid1(SALU_CYCLE_1)
	s_sub_co_i32 s34, s31, s25
	s_cmp_ge_u32 s31, s25
	s_cselect_b32 s25, s34, s31
	s_xor_b32 s25, s25, s33
	s_delay_alu instid0(SALU_CYCLE_1) | instskip(NEXT) | instid1(SALU_CYCLE_1)
	s_sub_co_i32 s34, s25, s33
	s_ashr_i32 s35, s34, 31
	s_wait_kmcnt 0x0
	s_mul_u64 s[26:27], s[26:27], s[34:35]
	s_delay_alu instid0(SALU_CYCLE_1)
	s_add_nc_u64 s[34:35], s[10:11], s[26:27]
.LBB40_2:
	s_bfe_u32 s10, ttmp6, 0x4000c
	v_bfe_u32 v1, v0, 10, 10
	s_add_co_i32 s10, s10, 1
	s_and_b32 s11, ttmp6, 15
	s_mul_i32 s10, ttmp9, s10
	s_load_b96 s[40:42], s[0:1], 0x70
	s_add_co_i32 s11, s11, s10
	v_dual_lshlrev_b32 v74, 1, v1 :: v_dual_lshlrev_b32 v6, 2, v1
	s_cmp_eq_u32 s24, 0
	v_and_b32_e32 v76, 0x3ff, v0
	s_cselect_b32 s10, ttmp9, s11
	v_mov_b32_e32 v5, 0
	s_lshl_b32 s33, s10, 3
	v_or_b32_e32 v24, 3, v6
	v_dual_lshlrev_b32 v0, 9, v1 :: v_dual_bitop2_b32 v7, 2, v6 bitop3:0x54
	s_delay_alu instid0(VALU_DEP_3) | instskip(NEXT) | instid1(VALU_DEP_3)
	v_dual_mov_b32 v9, v5 :: v_dual_mov_b32 v11, v5
	v_dual_lshrrev_b32 v70, 1, v24 :: v_dual_add_nc_u32 v75, s33, v74
	s_delay_alu instid0(VALU_DEP_3) | instskip(NEXT) | instid1(VALU_DEP_2)
	v_lshrrev_b32_e32 v72, 1, v7
	v_mul_hi_u32 v2, v75, s20
	s_delay_alu instid0(VALU_DEP_2)
	v_add_nc_u32_e32 v73, s33, v72
	s_wait_kmcnt 0x0
	s_mul_i32 s26, s2, s41
	s_ashr_i32 s45, s41, 31
	s_mov_b32 s44, s41
	s_ashr_i32 s41, s40, 31
	v_mul_hi_u32 v3, v73, s20
	v_add_nc_u32_e32 v71, s33, v70
	s_lshr_b64 s[40:41], s[40:41], 2
	s_ashr_i32 s27, s26, 31
	s_delay_alu instid0(VALU_DEP_2) | instskip(NEXT) | instid1(VALU_DEP_2)
	v_dual_add_nc_u32 v2, v75, v2 :: v_dual_add_nc_u32 v3, v73, v3
	v_mul_hi_u32 v4, v71, s20
	s_delay_alu instid0(VALU_DEP_1) | instskip(NEXT) | instid1(VALU_DEP_1)
	v_dual_lshrrev_b32 v2, s21, v2 :: v_dual_add_nc_u32 v4, v71, v4
	v_mul_lo_u32 v2, v2, s22
	s_delay_alu instid0(VALU_DEP_2) | instskip(NEXT) | instid1(VALU_DEP_1)
	v_dual_lshrrev_b32 v3, s21, v3 :: v_dual_lshrrev_b32 v8, s21, v4
	v_mul_lo_u32 v10, v3, s22
	s_delay_alu instid0(VALU_DEP_2) | instskip(NEXT) | instid1(VALU_DEP_4)
	v_mul_lo_u32 v12, v8, s22
	v_sub_nc_u32_e32 v4, v75, v2
	s_delay_alu instid0(VALU_DEP_1) | instskip(NEXT) | instid1(VALU_DEP_3)
	v_mul_u64_e32 v[2:3], s[40:41], v[4:5]
	v_dual_sub_nc_u32 v8, v73, v10 :: v_dual_sub_nc_u32 v10, v71, v12
	s_delay_alu instid0(VALU_DEP_1) | instskip(NEXT) | instid1(VALU_DEP_3)
	v_mul_u64_e32 v[8:9], s[40:41], v[8:9]
	v_lshlrev_b64_e32 v[12:13], 2, v[2:3]
	v_lshlrev_b32_e32 v2, 3, v76
	s_delay_alu instid0(VALU_DEP_4) | instskip(SKIP_3) | instid1(SALU_CYCLE_1)
	v_mul_u64_e32 v[10:11], s[40:41], v[10:11]
	s_mul_i32 s40, s28, s42
	v_mov_b32_e32 v3, v5
	s_ashr_i32 s41, s40, 31
	s_add_nc_u64 s[4:5], s[4:5], s[40:41]
	s_and_b64 s[40:41], s[44:45], -4
	s_add_nc_u64 s[4:5], s[4:5], s[26:27]
	s_cmp_eq_u64 s[14:15], 0
	s_add_nc_u64 s[26:27], s[4:5], s[40:41]
	v_add_nc_u64_e32 v[14:15], s[4:5], v[12:13]
	v_add_nc_u64_e32 v[12:13], s[26:27], v[12:13]
	v_lshl_add_u64 v[8:9], v[8:9], 2, s[4:5]
	s_load_b32 s4, s[0:1], 0x40
	s_delay_alu instid0(VALU_DEP_3) | instskip(NEXT) | instid1(VALU_DEP_3)
	v_add_nc_u64_e32 v[14:15], v[14:15], v[2:3]
	v_add_nc_u64_e32 v[12:13], v[12:13], v[2:3]
	s_delay_alu instid0(VALU_DEP_3) | instskip(SKIP_1) | instid1(VALU_DEP_1)
	v_add_nc_u64_e32 v[8:9], v[8:9], v[2:3]
	v_lshl_add_u64 v[10:11], v[10:11], 2, s[26:27]
	v_add_nc_u64_e32 v[10:11], v[10:11], v[2:3]
	s_clause 0x3
	global_load_b64 v[16:17], v[14:15], off
	global_load_b64 v[18:19], v[12:13], off
	;; [unrolled: 1-line block ×4, first 2 shown]
	v_lshl_add_u32 v3, v76, 2, 0x5800
	s_delay_alu instid0(VALU_DEP_1)
	v_lshl_add_u32 v7, v7, 7, v3
	s_wait_loadcnt 0x3
	s_wait_kmcnt 0x0
	v_fma_mixlo_f16 v8, s4, v16, 0
	v_fma_mixlo_f16 v9, s4, v17, 0
	s_wait_loadcnt 0x2
	s_wait_xcnt 0x0
	v_fma_mixlo_f16 v10, s4, v18, 0
	v_fma_mixlo_f16 v11, s4, v19, 0
	s_wait_loadcnt 0x1
	v_fma_mixlo_f16 v12, s4, v20, 0
	v_fma_mixlo_f16 v13, s4, v21, 0
	s_wait_loadcnt 0x0
	v_fma_mixlo_f16 v14, s4, v22, 0
	v_fma_mixlo_f16 v15, s4, v23, 0
	v_dual_add_nc_u32 v5, v3, v0 :: v_dual_lshlrev_b32 v9, 16, v9
	v_and_b32_e32 v8, 0xffff, v8
	v_dual_lshlrev_b32 v11, 16, v11 :: v_dual_lshlrev_b32 v13, 16, v13
	v_and_b32_e32 v10, 0xffff, v10
	v_and_b32_e32 v12, 0xffff, v12
	s_delay_alu instid0(VALU_DEP_4) | instskip(SKIP_1) | instid1(VALU_DEP_4)
	v_dual_lshlrev_b32 v15, 16, v15 :: v_dual_bitop2_b32 v8, v9, v8 bitop3:0x54
	v_and_b32_e32 v14, 0xffff, v14
	v_or_b32_e32 v9, v11, v10
	s_delay_alu instid0(VALU_DEP_4) | instskip(SKIP_1) | instid1(VALU_DEP_4)
	v_or_b32_e32 v10, v13, v12
	v_lshl_add_u32 v3, v24, 7, v3
	v_or_b32_e32 v11, v15, v14
	ds_store_2addr_b32 v5, v8, v9 offset1:32
	ds_store_b32 v7, v10
	ds_store_b32 v3, v11
	s_wait_dscnt 0x0
	s_barrier_signal -1
	s_barrier_wait -1
	s_cbranch_scc1 .LBB40_4
; %bb.3:
	s_load_b32 s4, s[0:1], 0xd0
	s_wait_kmcnt 0x0
	s_mul_i32 s4, s4, s28
	s_delay_alu instid0(SALU_CYCLE_1)
	s_add_co_i32 s4, s4, s10
	s_load_b32 s30, s[14:15], s4 offset:0x0 scale_offset
.LBB40_4:
	s_wait_xcnt 0x0
	s_bfe_u32 s4, ttmp6, 0x40010
	s_and_b32 s5, ttmp7, 0xffff
	s_add_co_i32 s4, s4, 1
	s_bfe_u32 s10, ttmp6, 0x40004
	s_mul_i32 s4, s5, s4
	v_mbcnt_lo_u32_b32 v77, -1, 0
	s_add_co_i32 s10, s10, s4
	s_cmp_eq_u32 s24, 0
	s_cselect_b32 s31, s5, s10
	s_mov_b32 s5, 0
	s_lshl_b32 s4, s31, 7
	s_wait_kmcnt 0x0
	s_cmp_lt_i32 s4, s30
	s_cbranch_scc1 .LBB40_7
; %bb.5:
	v_mbcnt_lo_u32_b32 v5, -1, 0
	s_delay_alu instid0(VALU_DEP_1)
	v_dual_mov_b32 v78, 32 :: v_dual_bitop2_b32 v87, 16, v5 bitop3:0x14
	v_xor_b32_e32 v83, 8, v5
	v_xor_b32_e32 v82, 4, v5
	;; [unrolled: 1-line block ×4, first 2 shown]
	s_and_not1_b32 vcc_lo, exec_lo, s5
	s_cbranch_vccz .LBB40_8
; %bb.6:
	v_dual_mov_b32 v122, 0 :: v_dual_mov_b32 v43, 0
	v_dual_mov_b32 v3, 0xfeffffff :: v_dual_mov_b32 v2, 0xfeffffff
	;; [unrolled: 1-line block ×3, first 2 shown]
	s_delay_alu instid0(VALU_DEP_3)
	v_dual_mov_b32 v42, v43 :: v_dual_mov_b32 v47, v43
	v_dual_mov_b32 v46, v43 :: v_dual_mov_b32 v121, 0
	;; [unrolled: 1-line block ×3, first 2 shown]
	s_branch .LBB40_11
.LBB40_7:
                                        ; implicit-def: $vgpr5
                                        ; implicit-def: $vgpr78
                                        ; implicit-def: $vgpr87
                                        ; implicit-def: $vgpr83
                                        ; implicit-def: $vgpr82
                                        ; implicit-def: $vgpr81
                                        ; implicit-def: $vgpr79
.LBB40_8:
	s_clause 0x1
	s_load_b128 s[24:27], s[0:1], 0x98
	s_load_b64 s[14:15], s[0:1], 0x8c
	s_mul_f32 s5, s36, 0x4f7ffffe
	s_sub_co_i32 s10, 0, s3
	s_abs_i32 s36, s2
	s_mov_b32 s11, s37
	s_cvt_u32_f32 s42, s5
	v_dual_mov_b32 v33, 0 :: v_dual_lshrrev_b32 v3, 3, v76
	v_add3_u32 v32, s33, v74, 1
	s_delay_alu instid0(SALU_CYCLE_1)
	s_mul_i32 s10, s10, s42
	s_ashr_i32 s5, s39, 1
	s_mul_hi_u32 s10, s42, s10
	s_mov_b32 s38, s20
	s_add_co_i32 s10, s42, s10
	v_dual_add_nc_u32 v3, v3, v6 :: v_dual_lshlrev_b32 v80, 2, v76
	s_mul_u64 s[10:11], s[36:37], s[10:11]
	s_ashr_i32 s43, s2, 31
	s_mul_i32 s39, s11, s3
	s_wait_kmcnt 0x0
	s_ashr_i32 s10, s26, 2
	s_sub_co_i32 s26, s36, s39
	s_mov_b32 s39, s37
	s_ashr_i32 s14, s14, 2
	v_mul_u64_e32 v[8:9], s[38:39], v[32:33]
	s_ashr_i32 s44, s29, 31
	v_mul_lo_u32 v34, s14, v3
	s_ashr_i32 s29, s28, 31
	s_xor_b32 s20, s43, s44
	s_add_co_i32 s36, s11, 1
	s_sub_co_i32 s42, s26, s3
	s_cmp_ge_u32 s26, s3
	v_mul_lo_u32 v40, s10, v3
	s_cselect_b32 s11, s36, s11
	s_cselect_b32 s26, s42, s26
	s_add_co_i32 s36, s11, 1
	s_cmp_ge_u32 s26, s3
	s_mul_u64 s[24:25], s[24:25], s[28:29]
	s_cselect_b32 s3, s36, s11
	s_lshl_b32 s11, s14, 4
	s_delay_alu instid0(SALU_CYCLE_1) | instskip(SKIP_3) | instid1(VALU_DEP_1)
	v_dual_add_nc_u32 v36, s11, v34 :: v_dual_bitop2_b32 v6, 28, v80 bitop3:0x40
	s_xor_b32 s3, s3, s20
	s_add_nc_u64 s[6:7], s[6:7], s[24:25]
	s_sub_co_i32 s3, s3, s20
	v_dual_lshlrev_b32 v5, 2, v6 :: v_dual_add_nc_u32 v38, s11, v36
	s_mul_i32 s24, s3, s15
	s_mul_i32 s26, s3, s27
	s_lshl_b32 s3, s10, 4
	s_load_b64 s[40:41], s[0:1], 0xa8
	v_dual_add_nc_u32 v44, s11, v38 :: v_dual_ashrrev_i32 v39, 31, v38
	v_mul_lo_u32 v92, v4, s5
	v_mad_u32_u24 v84, 0x90, v3, v5
	v_lshl_add_u32 v94, v1, 10, 0x4800
	s_delay_alu instid0(VALU_DEP_4) | instskip(SKIP_3) | instid1(VALU_DEP_4)
	v_dual_add_nc_u32 v7, v32, v9 :: v_dual_add_nc_u32 v48, s11, v44
	v_add_nc_u32_e32 v50, s3, v40
	v_lshl_or_b32 v95, v3, 7, v5
	v_dual_ashrrev_i32 v35, 31, v34 :: v_dual_ashrrev_i32 v37, 31, v36
	v_dual_lshrrev_b32 v7, s21, v7 :: v_dual_ashrrev_i32 v45, 31, v44
	s_delay_alu instid0(VALU_DEP_4) | instskip(SKIP_1) | instid1(VALU_DEP_3)
	v_dual_add_nc_u32 v54, s3, v50 :: v_dual_add_nc_u32 v52, s11, v48
	v_ashrrev_i32_e32 v49, 31, v48
	v_mul_lo_u32 v7, v7, s22
	v_dual_mov_b32 v46, v33 :: v_dual_add_nc_u32 v85, 0x1b00, v84
	s_delay_alu instid0(VALU_DEP_4)
	v_dual_add_nc_u32 v56, s11, v52 :: v_dual_add_nc_u32 v58, s3, v54
	v_ashrrev_i32_e32 v53, 31, v52
	s_wait_kmcnt 0x0
	s_mul_u64 s[36:37], s[40:41], s[28:29]
	v_ashrrev_i32_e32 v41, 31, v40
	v_dual_add_nc_u32 v60, s11, v56 :: v_dual_ashrrev_i32 v57, 31, v56
	v_dual_add_nc_u32 v62, s3, v58 :: v_dual_sub_nc_u32 v7, v32, v7
	s_delay_alu instid0(VALU_DEP_2) | instskip(SKIP_1) | instid1(VALU_DEP_3)
	v_dual_ashrrev_i32 v51, 31, v50 :: v_dual_ashrrev_i32 v61, 31, v60
	v_dual_mov_b32 v47, v33 :: v_dual_add_nc_u32 v86, 0x2400, v84
	v_add_nc_u32_e32 v64, s3, v62
	s_delay_alu instid0(VALU_DEP_4) | instskip(SKIP_2) | instid1(VALU_DEP_4)
	v_mul_lo_u32 v93, v7, s5
	v_dual_mov_b32 v43, v33 :: v_dual_add_nc_u32 v88, 0x2d00, v84
	v_dual_mov_b32 v42, v33 :: v_dual_add_nc_u32 v89, 0x3600, v84
	v_add_nc_u32_e32 v66, s3, v64
	v_dual_mov_b32 v123, v33 :: v_dual_add_nc_u32 v90, 0x3f00, v84
	v_dual_mov_b32 v78, 32 :: v_dual_add_nc_u32 v91, 0x5800, v0
	s_delay_alu instid0(VALU_DEP_3) | instskip(SKIP_1) | instid1(VALU_DEP_2)
	v_dual_add_nc_u32 v68, s3, v66 :: v_dual_ashrrev_i32 v67, 31, v66
	v_dual_ashrrev_i32 v55, 31, v54 :: v_dual_ashrrev_i32 v65, 31, v64
	v_dual_ashrrev_i32 v59, 31, v58 :: v_dual_ashrrev_i32 v69, 31, v68
	v_dual_mov_b32 v0, 0xfeffffff :: v_dual_ashrrev_i32 v63, 31, v62
	v_dual_mov_b32 v1, 0xfeffffff :: v_dual_lshlrev_b32 v32, 2, v6
	v_dual_mov_b32 v3, 0xfeffffff :: v_dual_add_nc_u32 v96, v94, v2
	v_dual_mov_b32 v2, 0xfeffffff :: v_dual_mov_b32 v121, v33
	v_mul_u32_u24_e32 v97, 0x90, v76
	v_add_nc_u32_e32 v98, 0x800, v95
	v_dual_mov_b32 v120, v33 :: v_dual_add_nc_u32 v99, 0x1000, v95
	v_add_nc_u32_e32 v100, 0x1800, v95
	v_dual_mov_b32 v122, v33 :: v_dual_add_nc_u32 v101, 0x2000, v95
	v_add_nc_u32_e32 v102, 0x2800, v95
	v_add_nc_u32_e32 v103, 0x3000, v95
	;; [unrolled: 1-line block ×3, first 2 shown]
	v_xor_b32_e32 v87, 16, v77
	v_xor_b32_e32 v83, 8, v77
	;; [unrolled: 1-line block ×5, first 2 shown]
	v_add_nc_u32_e32 v105, 0x400, v80
	v_add_nc_u32_e32 v106, 0x800, v80
	v_add_nc_u32_e32 v107, 0xc00, v80
	v_add_nc_u32_e32 v108, 0x1000, v80
	v_add_nc_u32_e32 v109, 0x1400, v80
	v_add_nc_u32_e32 v110, 0x1800, v80
	v_add_nc_u32_e32 v111, 0x1c00, v80
	v_add_nc_u32_e32 v112, 0x2000, v80
	v_add_nc_u32_e32 v113, 0x2400, v80
	v_add_nc_u32_e32 v114, 0x2800, v80
	v_add_nc_u32_e32 v115, 0x2c00, v80
	v_add_nc_u32_e32 v116, 0x3000, v80
	v_add_nc_u32_e32 v117, 0x3400, v80
	v_add_nc_u32_e32 v118, 0x3800, v80
	v_add_nc_u32_e32 v119, 0x3c00, v80
	s_ashr_i32 s25, s24, 31
	s_add_nc_u64 s[8:9], s[8:9], s[36:37]
	s_ashr_i32 s27, s26, 31
	s_add_nc_u64 s[6:7], s[6:7], s[24:25]
	s_add_nc_u64 s[8:9], s[8:9], s[26:27]
	s_ashr_i32 s15, s14, 31
	s_ashr_i32 s11, s10, 31
	s_add_nc_u64 s[20:21], s[0:1], 0xd0
.LBB40_9:                               ; =>This Inner Loop Header: Depth=1
	s_ashr_i32 s5, s4, 31
	v_dual_mov_b32 v126, v1 :: v_dual_mov_b32 v127, v0
	s_mul_u64 s[24:25], s[4:5], s[14:15]
	v_dual_mov_b32 v124, v3 :: v_dual_mov_b32 v125, v2
	s_lshl_b64 s[24:25], s[24:25], 2
	v_dual_mov_b32 v131, 0 :: v_dual_add_nc_u32 v4, 0x900, v84
	s_add_nc_u64 s[24:25], s[6:7], s[24:25]
	v_dual_mov_b32 v130, 0 :: v_dual_mov_b32 v128, 0
	v_lshl_add_u64 v[0:1], v[34:35], 2, s[24:25]
	v_cmp_gt_i32_e32 vcc_lo, 32, v87
	v_mov_b32_e32 v129, 0
	s_delay_alu instid0(VALU_DEP_3) | instskip(SKIP_4) | instid1(VALU_DEP_1)
	v_add_nc_u64_e32 v[0:1], v[0:1], v[32:33]
	global_load_b128 v[0:3], v[0:1], off
	s_wait_loadcnt 0x0
	ds_store_b128 v84, v[0:3]
	v_lshl_add_u64 v[0:1], v[36:37], 2, s[24:25]
	v_add_nc_u64_e32 v[0:1], v[0:1], v[32:33]
	global_load_b128 v[0:3], v[0:1], off
	s_wait_loadcnt 0x0
	ds_store_b128 v4, v[0:3]
	v_lshl_add_u64 v[0:1], v[38:39], 2, s[24:25]
	v_add_nc_u32_e32 v4, 0x1200, v84
	s_delay_alu instid0(VALU_DEP_2) | instskip(SKIP_4) | instid1(VALU_DEP_1)
	v_add_nc_u64_e32 v[0:1], v[0:1], v[32:33]
	global_load_b128 v[0:3], v[0:1], off
	s_wait_loadcnt 0x0
	ds_store_b128 v4, v[0:3]
	v_lshl_add_u64 v[0:1], v[44:45], 2, s[24:25]
	v_add_nc_u64_e32 v[0:1], v[0:1], v[32:33]
	global_load_b128 v[0:3], v[0:1], off
	s_wait_loadcnt 0x0
	ds_store_b128 v85, v[0:3]
	v_lshl_add_u64 v[0:1], v[48:49], 2, s[24:25]
	s_delay_alu instid0(VALU_DEP_1) | instskip(SKIP_4) | instid1(VALU_DEP_1)
	v_add_nc_u64_e32 v[0:1], v[0:1], v[32:33]
	global_load_b128 v[0:3], v[0:1], off
	s_wait_loadcnt 0x0
	ds_store_b128 v86, v[0:3]
	v_lshl_add_u64 v[0:1], v[52:53], 2, s[24:25]
	v_add_nc_u64_e32 v[0:1], v[0:1], v[32:33]
	global_load_b128 v[0:3], v[0:1], off
	s_wait_loadcnt 0x0
	ds_store_b128 v88, v[0:3]
	v_lshl_add_u64 v[0:1], v[56:57], 2, s[24:25]
	s_delay_alu instid0(VALU_DEP_1)
	v_add_nc_u64_e32 v[0:1], v[0:1], v[32:33]
	global_load_b128 v[0:3], v[0:1], off
	s_wait_loadcnt 0x0
	ds_store_b128 v89, v[0:3]
	v_lshl_add_u64 v[0:1], v[60:61], 2, s[24:25]
	s_mul_u64 s[24:25], s[4:5], s[10:11]
	s_delay_alu instid0(SALU_CYCLE_1) | instskip(NEXT) | instid1(VALU_DEP_1)
	s_lshl_b64 s[24:25], s[24:25], 2
	v_add_nc_u64_e32 v[0:1], v[0:1], v[32:33]
	s_add_nc_u64 s[24:25], s[8:9], s[24:25]
	global_load_b128 v[0:3], v[0:1], off
	s_wait_loadcnt 0x0
	ds_store_b128 v90, v[0:3]
	s_wait_dscnt 0x0
	s_barrier_signal -1
	s_barrier_wait -1
	ds_load_b128 v[28:31], v97
	ds_load_b128 v[24:27], v97 offset:4608
	ds_load_b128 v[20:23], v97 offset:9216
	;; [unrolled: 1-line block ×3, first 2 shown]
	ds_load_b128 v[16:19], v91
	ds_load_b128 v[12:15], v91 offset:128
	ds_load_b128 v[8:11], v91 offset:256
	;; [unrolled: 1-line block ×3, first 2 shown]
	s_wait_dscnt 0x3
	;;#ASMSTART
	v_dot2_f32_f16 v130, v28, v16, v130
	;;#ASMEND
	;;#ASMSTART
	v_dot2_f32_f16 v130, v29, v17, v130
	;;#ASMEND
	;;#ASMSTART
	v_dot2_f32_f16 v130, v30, v18, v130
	;;#ASMEND
	;;#ASMSTART
	v_dot2_f32_f16 v130, v31, v19, v130
	;;#ASMEND
	s_wait_dscnt 0x2
	;;#ASMSTART
	v_dot2_f32_f16 v131, v28, v12, v131
	;;#ASMEND
	;;#ASMSTART
	v_dot2_f32_f16 v131, v29, v13, v131
	;;#ASMEND
	;;#ASMSTART
	v_dot2_f32_f16 v131, v30, v14, v131
	;;#ASMEND
	;;#ASMSTART
	v_dot2_f32_f16 v131, v31, v15, v131
	;;#ASMEND
	;; [unrolled: 13-line block ×4, first 2 shown]
	v_dual_mov_b32 v31, 0 :: v_dual_mov_b32 v30, 0
	;;#ASMSTART
	v_dot2_f32_f16 v31, v24, v16, v31
	;;#ASMEND
	;;#ASMSTART
	v_dot2_f32_f16 v31, v25, v17, v31
	;;#ASMEND
	;; [unrolled: 3-line block ×7, first 2 shown]
	v_dual_mov_b32 v29, 0 :: v_dual_mov_b32 v28, 0
	;;#ASMSTART
	v_dot2_f32_f16 v30, v27, v15, v30
	;;#ASMEND
	;;#ASMSTART
	v_dot2_f32_f16 v29, v24, v8, v29
	;;#ASMEND
	;; [unrolled: 3-line block ×8, first 2 shown]
	v_mov_b32_e32 v26, 0
	;;#ASMSTART
	v_dot2_f32_f16 v28, v27, v7, v28
	;;#ASMEND
	v_mov_b32_e32 v27, 0
	;;#ASMSTART
	v_dot2_f32_f16 v26, v20, v16, v26
	;;#ASMEND
	;;#ASMSTART
	v_dot2_f32_f16 v26, v21, v17, v26
	;;#ASMEND
	;; [unrolled: 3-line block ×7, first 2 shown]
	v_dual_mov_b32 v25, 0 :: v_dual_mov_b32 v24, 0
	;;#ASMSTART
	v_dot2_f32_f16 v27, v23, v15, v27
	;;#ASMEND
	;;#ASMSTART
	v_dot2_f32_f16 v25, v20, v8, v25
	;;#ASMEND
	;; [unrolled: 3-line block ×8, first 2 shown]
	v_mov_b32_e32 v20, 0
	;;#ASMSTART
	v_dot2_f32_f16 v24, v23, v7, v24
	;;#ASMEND
	;;#ASMSTART
	v_dot2_f32_f16 v20, v0, v16, v20
	;;#ASMEND
	;; [unrolled: 3-line block ×4, first 2 shown]
	v_mov_b32_e32 v16, 0
	;;#ASMSTART
	v_dot2_f32_f16 v20, v3, v19, v20
	;;#ASMEND
	;;#ASMSTART
	v_dot2_f32_f16 v16, v0, v12, v16
	;;#ASMEND
	;; [unrolled: 3-line block ×4, first 2 shown]
	v_dual_mov_b32 v13, 0 :: v_dual_mov_b32 v12, 0
	;;#ASMSTART
	v_dot2_f32_f16 v16, v3, v15, v16
	;;#ASMEND
	;;#ASMSTART
	v_dot2_f32_f16 v13, v0, v8, v13
	;;#ASMEND
	;; [unrolled: 3-line block ×9, first 2 shown]
	ds_load_b128 v[0:3], v97 offset:16
	ds_load_b128 v[4:7], v97 offset:4624
	;; [unrolled: 1-line block ×8, first 2 shown]
	s_wait_dscnt 0x3
	;;#ASMSTART
	v_dot2_f32_f16 v130, v0, v136, v130
	;;#ASMEND
	;;#ASMSTART
	v_dot2_f32_f16 v130, v1, v137, v130
	;;#ASMEND
	;;#ASMSTART
	v_dot2_f32_f16 v130, v2, v138, v130
	;;#ASMEND
	;;#ASMSTART
	v_dot2_f32_f16 v130, v3, v139, v130
	;;#ASMEND
	s_wait_dscnt 0x2
	;;#ASMSTART
	v_dot2_f32_f16 v131, v0, v140, v131
	;;#ASMEND
	;;#ASMSTART
	v_dot2_f32_f16 v131, v1, v141, v131
	;;#ASMEND
	;;#ASMSTART
	v_dot2_f32_f16 v131, v2, v142, v131
	;;#ASMEND
	;;#ASMSTART
	v_dot2_f32_f16 v131, v3, v143, v131
	;;#ASMEND
	;; [unrolled: 13-line block ×4, first 2 shown]
	;;#ASMSTART
	v_dot2_f32_f16 v31, v4, v136, v31
	;;#ASMEND
	;;#ASMSTART
	v_dot2_f32_f16 v31, v5, v137, v31
	;;#ASMEND
	;; [unrolled: 3-line block ×48, first 2 shown]
	ds_load_b128 v[0:3], v97 offset:32
	ds_load_b128 v[4:7], v97 offset:4640
	;; [unrolled: 1-line block ×8, first 2 shown]
	s_wait_dscnt 0x3
	;;#ASMSTART
	v_dot2_f32_f16 v130, v0, v136, v130
	;;#ASMEND
	;;#ASMSTART
	v_dot2_f32_f16 v130, v1, v137, v130
	;;#ASMEND
	;;#ASMSTART
	v_dot2_f32_f16 v130, v2, v138, v130
	;;#ASMEND
	;;#ASMSTART
	v_dot2_f32_f16 v130, v3, v139, v130
	;;#ASMEND
	s_wait_dscnt 0x2
	;;#ASMSTART
	v_dot2_f32_f16 v131, v0, v140, v131
	;;#ASMEND
	;;#ASMSTART
	v_dot2_f32_f16 v131, v1, v141, v131
	;;#ASMEND
	;;#ASMSTART
	v_dot2_f32_f16 v131, v2, v142, v131
	;;#ASMEND
	;;#ASMSTART
	v_dot2_f32_f16 v131, v3, v143, v131
	;;#ASMEND
	;; [unrolled: 13-line block ×4, first 2 shown]
	;;#ASMSTART
	v_dot2_f32_f16 v31, v4, v136, v31
	;;#ASMEND
	;;#ASMSTART
	v_dot2_f32_f16 v31, v5, v137, v31
	;;#ASMEND
	;; [unrolled: 3-line block ×48, first 2 shown]
	ds_load_b128 v[0:3], v97 offset:48
	ds_load_b128 v[4:7], v97 offset:4656
	;; [unrolled: 1-line block ×8, first 2 shown]
	s_wait_dscnt 0x3
	;;#ASMSTART
	v_dot2_f32_f16 v130, v0, v136, v130
	;;#ASMEND
	;;#ASMSTART
	v_dot2_f32_f16 v130, v1, v137, v130
	;;#ASMEND
	;;#ASMSTART
	v_dot2_f32_f16 v130, v2, v138, v130
	;;#ASMEND
	;;#ASMSTART
	v_dot2_f32_f16 v130, v3, v139, v130
	;;#ASMEND
	s_wait_dscnt 0x2
	;;#ASMSTART
	v_dot2_f32_f16 v131, v0, v140, v131
	;;#ASMEND
	;;#ASMSTART
	v_dot2_f32_f16 v131, v1, v141, v131
	;;#ASMEND
	;;#ASMSTART
	v_dot2_f32_f16 v131, v2, v142, v131
	;;#ASMEND
	;;#ASMSTART
	v_dot2_f32_f16 v131, v3, v143, v131
	;;#ASMEND
	;; [unrolled: 13-line block ×4, first 2 shown]
	;;#ASMSTART
	v_dot2_f32_f16 v31, v4, v136, v31
	;;#ASMEND
	;;#ASMSTART
	v_dot2_f32_f16 v31, v5, v137, v31
	;;#ASMEND
	;; [unrolled: 3-line block ×48, first 2 shown]
	ds_load_b128 v[0:3], v97 offset:64
	ds_load_b128 v[4:7], v97 offset:4672
	;; [unrolled: 1-line block ×8, first 2 shown]
	s_wait_dscnt 0x3
	;;#ASMSTART
	v_dot2_f32_f16 v130, v0, v136, v130
	;;#ASMEND
	;;#ASMSTART
	v_dot2_f32_f16 v130, v1, v137, v130
	;;#ASMEND
	;;#ASMSTART
	v_dot2_f32_f16 v130, v2, v138, v130
	;;#ASMEND
	;;#ASMSTART
	v_dot2_f32_f16 v130, v3, v139, v130
	;;#ASMEND
	s_wait_dscnt 0x2
	;;#ASMSTART
	v_dot2_f32_f16 v131, v0, v140, v131
	;;#ASMEND
	;;#ASMSTART
	v_dot2_f32_f16 v131, v1, v141, v131
	;;#ASMEND
	;;#ASMSTART
	v_dot2_f32_f16 v131, v2, v142, v131
	;;#ASMEND
	;;#ASMSTART
	v_dot2_f32_f16 v131, v3, v143, v131
	;;#ASMEND
	s_wait_dscnt 0x1
	;;#ASMSTART
	v_dot2_f32_f16 v129, v0, v144, v129
	;;#ASMEND
	;;#ASMSTART
	v_dot2_f32_f16 v129, v1, v145, v129
	;;#ASMEND
	;;#ASMSTART
	v_dot2_f32_f16 v129, v2, v146, v129
	;;#ASMEND
	;;#ASMSTART
	v_dot2_f32_f16 v129, v3, v147, v129
	;;#ASMEND
	s_wait_dscnt 0x0
	;;#ASMSTART
	v_dot2_f32_f16 v128, v0, v148, v128
	;;#ASMEND
	;;#ASMSTART
	v_dot2_f32_f16 v128, v1, v149, v128
	;;#ASMEND
	;;#ASMSTART
	v_dot2_f32_f16 v128, v2, v150, v128
	;;#ASMEND
	;;#ASMSTART
	v_dot2_f32_f16 v128, v3, v151, v128
	;;#ASMEND
	;;#ASMSTART
	v_dot2_f32_f16 v31, v4, v136, v31
	;;#ASMEND
	;;#ASMSTART
	v_dot2_f32_f16 v31, v5, v137, v31
	;;#ASMEND
	;; [unrolled: 3-line block ×48, first 2 shown]
	ds_load_b128 v[0:3], v97 offset:80
	ds_load_b128 v[4:7], v97 offset:4688
	;; [unrolled: 1-line block ×8, first 2 shown]
	s_wait_dscnt 0x3
	;;#ASMSTART
	v_dot2_f32_f16 v130, v0, v136, v130
	;;#ASMEND
	;;#ASMSTART
	v_dot2_f32_f16 v130, v1, v137, v130
	;;#ASMEND
	;;#ASMSTART
	v_dot2_f32_f16 v130, v2, v138, v130
	;;#ASMEND
	;;#ASMSTART
	v_dot2_f32_f16 v130, v3, v139, v130
	;;#ASMEND
	s_wait_dscnt 0x2
	;;#ASMSTART
	v_dot2_f32_f16 v131, v0, v140, v131
	;;#ASMEND
	;;#ASMSTART
	v_dot2_f32_f16 v131, v1, v141, v131
	;;#ASMEND
	;;#ASMSTART
	v_dot2_f32_f16 v131, v2, v142, v131
	;;#ASMEND
	;;#ASMSTART
	v_dot2_f32_f16 v131, v3, v143, v131
	;;#ASMEND
	;; [unrolled: 13-line block ×4, first 2 shown]
	;;#ASMSTART
	v_dot2_f32_f16 v31, v4, v136, v31
	;;#ASMEND
	;;#ASMSTART
	v_dot2_f32_f16 v31, v5, v137, v31
	;;#ASMEND
	;; [unrolled: 3-line block ×48, first 2 shown]
	ds_load_b128 v[0:3], v97 offset:96
	ds_load_b128 v[4:7], v97 offset:4704
	;; [unrolled: 1-line block ×8, first 2 shown]
	s_wait_dscnt 0x3
	;;#ASMSTART
	v_dot2_f32_f16 v130, v0, v136, v130
	;;#ASMEND
	;;#ASMSTART
	v_dot2_f32_f16 v130, v1, v137, v130
	;;#ASMEND
	;;#ASMSTART
	v_dot2_f32_f16 v130, v2, v138, v130
	;;#ASMEND
	;;#ASMSTART
	v_dot2_f32_f16 v130, v3, v139, v130
	;;#ASMEND
	s_wait_dscnt 0x2
	;;#ASMSTART
	v_dot2_f32_f16 v131, v0, v140, v131
	;;#ASMEND
	;;#ASMSTART
	v_dot2_f32_f16 v131, v1, v141, v131
	;;#ASMEND
	;;#ASMSTART
	v_dot2_f32_f16 v131, v2, v142, v131
	;;#ASMEND
	;;#ASMSTART
	v_dot2_f32_f16 v131, v3, v143, v131
	;;#ASMEND
	s_wait_dscnt 0x1
	;;#ASMSTART
	v_dot2_f32_f16 v129, v0, v144, v129
	;;#ASMEND
	;;#ASMSTART
	v_dot2_f32_f16 v129, v1, v145, v129
	;;#ASMEND
	;;#ASMSTART
	v_dot2_f32_f16 v129, v2, v146, v129
	;;#ASMEND
	;;#ASMSTART
	v_dot2_f32_f16 v129, v3, v147, v129
	;;#ASMEND
	s_wait_dscnt 0x0
	;;#ASMSTART
	v_dot2_f32_f16 v128, v0, v148, v128
	;;#ASMEND
	;;#ASMSTART
	v_dot2_f32_f16 v128, v1, v149, v128
	;;#ASMEND
	;;#ASMSTART
	v_dot2_f32_f16 v128, v2, v150, v128
	;;#ASMEND
	;;#ASMSTART
	v_dot2_f32_f16 v128, v3, v151, v128
	;;#ASMEND
	;;#ASMSTART
	v_dot2_f32_f16 v31, v4, v136, v31
	;;#ASMEND
	;;#ASMSTART
	v_dot2_f32_f16 v31, v5, v137, v31
	;;#ASMEND
	;; [unrolled: 3-line block ×48, first 2 shown]
	ds_load_b128 v[0:3], v97 offset:112
	ds_load_b128 v[4:7], v97 offset:4720
	;; [unrolled: 1-line block ×8, first 2 shown]
	s_wait_dscnt 0x3
	;;#ASMSTART
	v_dot2_f32_f16 v130, v0, v136, v130
	;;#ASMEND
	;;#ASMSTART
	v_dot2_f32_f16 v130, v1, v137, v130
	;;#ASMEND
	;;#ASMSTART
	v_dot2_f32_f16 v130, v2, v138, v130
	;;#ASMEND
	;;#ASMSTART
	v_dot2_f32_f16 v130, v3, v139, v130
	;;#ASMEND
	s_wait_dscnt 0x2
	;;#ASMSTART
	v_dot2_f32_f16 v131, v0, v140, v131
	;;#ASMEND
	;;#ASMSTART
	v_dot2_f32_f16 v131, v1, v141, v131
	;;#ASMEND
	;;#ASMSTART
	v_dot2_f32_f16 v131, v2, v142, v131
	;;#ASMEND
	;;#ASMSTART
	v_dot2_f32_f16 v131, v3, v143, v131
	;;#ASMEND
	;; [unrolled: 13-line block ×4, first 2 shown]
	;;#ASMSTART
	v_dot2_f32_f16 v31, v4, v136, v31
	;;#ASMEND
	;;#ASMSTART
	v_dot2_f32_f16 v31, v5, v137, v31
	;;#ASMEND
	;; [unrolled: 3-line block ×9, first 2 shown]
	v_dual_add_nc_u32 v2, s4, v76 :: v_dual_cndmask_b32 v0, v77, v87, vcc_lo
	v_cmp_gt_i32_e32 vcc_lo, 32, v83
	;;#ASMSTART
	v_dot2_f32_f16 v29, v5, v145, v29
	;;#ASMEND
	;;#ASMSTART
	v_dot2_f32_f16 v29, v6, v146, v29
	;;#ASMEND
	;; [unrolled: 3-line block ×6, first 2 shown]
	v_dual_lshlrev_b32 v4, 2, v0 :: v_dual_cndmask_b32 v0, v77, v83, vcc_lo
	v_cmp_gt_i32_e32 vcc_lo, 32, v82
	;;#ASMSTART
	v_dot2_f32_f16 v28, v7, v151, v28
	;;#ASMEND
	;;#ASMSTART
	v_dot2_f32_f16 v26, v8, v136, v26
	;;#ASMEND
	;;#ASMSTART
	v_dot2_f32_f16 v26, v9, v137, v26
	;;#ASMEND
	;;#ASMSTART
	v_dot2_f32_f16 v26, v10, v138, v26
	;;#ASMEND
	;;#ASMSTART
	v_dot2_f32_f16 v26, v11, v139, v26
	;;#ASMEND
	;;#ASMSTART
	v_dot2_f32_f16 v27, v8, v140, v27
	;;#ASMEND
	;;#ASMSTART
	v_dot2_f32_f16 v27, v9, v141, v27
	;;#ASMEND
	v_dual_cndmask_b32 v0, v77, v82 :: v_dual_lshlrev_b32 v3, 2, v0
	v_cmp_gt_i32_e32 vcc_lo, 32, v81
	;;#ASMSTART
	v_dot2_f32_f16 v27, v10, v142, v27
	;;#ASMEND
	;;#ASMSTART
	v_dot2_f32_f16 v27, v11, v143, v27
	;;#ASMEND
	;; [unrolled: 3-line block ×7, first 2 shown]
	v_dual_lshlrev_b32 v6, 2, v0 :: v_dual_cndmask_b32 v0, v77, v81, vcc_lo
	v_cmp_gt_i32_e32 vcc_lo, 32, v79
	;;#ASMSTART
	v_dot2_f32_f16 v24, v9, v149, v24
	;;#ASMEND
	;;#ASMSTART
	v_dot2_f32_f16 v24, v10, v150, v24
	;;#ASMEND
	;;#ASMSTART
	v_dot2_f32_f16 v24, v11, v151, v24
	;;#ASMEND
	;;#ASMSTART
	v_dot2_f32_f16 v20, v132, v136, v20
	;;#ASMEND
	;;#ASMSTART
	v_dot2_f32_f16 v20, v133, v137, v20
	;;#ASMEND
	;;#ASMSTART
	v_dot2_f32_f16 v20, v134, v138, v20
	;;#ASMEND
	v_dual_lshlrev_b32 v22, 2, v0 :: v_dual_cndmask_b32 v0, v77, v79, vcc_lo
	;;#ASMSTART
	v_dot2_f32_f16 v20, v135, v139, v20
	;;#ASMEND
	;;#ASMSTART
	v_dot2_f32_f16 v16, v132, v140, v16
	;;#ASMEND
	;; [unrolled: 3-line block ×7, first 2 shown]
	v_lshlrev_b32_e32 v23, 2, v0
	v_add_nc_u32_e32 v0, v2, v92
	;;#ASMSTART
	v_dot2_f32_f16 v13, v134, v146, v13
	;;#ASMEND
	;;#ASMSTART
	v_dot2_f32_f16 v13, v135, v147, v13
	;;#ASMEND
	;; [unrolled: 3-line block ×6, first 2 shown]
	s_clause 0x1
	global_load_u16 v1, v0, s[34:35] scale_offset
	global_load_u16 v7, v0, s[34:35] offset:64 scale_offset
	v_add_nc_u32_e32 v2, v2, v93
	s_wait_loadcnt 0x1
	v_cvt_f32_f16_e32 v1, v1
	s_wait_loadcnt 0x0
	v_cvt_f32_f16_e32 v7, v7
	s_delay_alu instid0(VALU_DEP_1) | instskip(SKIP_1) | instid1(VALU_DEP_2)
	v_dual_add_f32 v130, v130, v1 :: v_dual_add_f32 v31, v31, v7
	v_add_f32_e32 v7, v30, v7
	v_dual_add_f32 v5, 0x40051340, v130 :: v_dual_add_f32 v8, 0x40051340, v31
	s_delay_alu instid0(VALU_DEP_1)
	v_max3_num_f32 v5, v127, v5, v8
	s_clause 0x1
	global_load_u16 v8, v0, s[34:35] offset:128 scale_offset
	global_load_u16 v0, v0, s[34:35] offset:192 scale_offset
	s_wait_loadcnt 0x1
	v_cvt_f32_f16_e32 v9, v8
	s_wait_loadcnt 0x0
	v_cvt_f32_f16_e32 v14, v0
	s_delay_alu instid0(VALU_DEP_1) | instskip(NEXT) | instid1(VALU_DEP_1)
	v_dual_add_f32 v8, v26, v9 :: v_dual_add_f32 v10, v20, v14
	v_dual_add_f32 v11, 0x40051340, v8 :: v_dual_add_f32 v0, 0x40051340, v10
	s_delay_alu instid0(VALU_DEP_1) | instskip(SKIP_4) | instid1(VALU_DEP_1)
	v_max3_num_f32 v0, v5, v11, v0
	v_add_f32_e32 v11, 0x40051340, v7
	ds_bpermute_b32 v5, v4, v0
	s_wait_dscnt 0x0
	v_max_num_f32_e32 v5, v5, v5
	v_max_num_f32_e32 v0, v0, v5
	ds_bpermute_b32 v5, v3, v0
	s_wait_dscnt 0x0
	v_max_num_f32_e32 v5, v5, v5
	s_delay_alu instid0(VALU_DEP_1) | instskip(SKIP_3) | instid1(VALU_DEP_1)
	v_max_num_f32_e32 v0, v0, v5
	ds_bpermute_b32 v5, v6, v0
	s_wait_dscnt 0x0
	v_max_num_f32_e32 v5, v5, v5
	v_max_num_f32_e32 v0, v0, v5
	ds_bpermute_b32 v5, v22, v0
	s_wait_dscnt 0x0
	v_max_num_f32_e32 v5, v5, v5
	s_delay_alu instid0(VALU_DEP_1) | instskip(SKIP_3) | instid1(VALU_DEP_1)
	v_max_num_f32_e32 v0, v0, v5
	ds_bpermute_b32 v5, v23, v0
	s_wait_dscnt 0x0
	v_max_num_f32_e32 v5, v5, v5
	v_max_num_f32_e32 v0, v0, v5
	s_delay_alu instid0(VALU_DEP_1) | instskip(NEXT) | instid1(VALU_DEP_1)
	v_dual_add_f32 v5, v131, v1 :: v_dual_sub_f32 v10, v10, v0
	v_dual_add_f32 v1, 0x40051340, v5 :: v_dual_sub_f32 v8, v8, v0
	s_delay_alu instid0(VALU_DEP_1) | instskip(SKIP_3) | instid1(VALU_DEP_1)
	v_max3_num_f32 v1, v126, v1, v11
	v_dual_add_f32 v11, v16, v14 :: v_dual_add_f32 v9, v27, v9
	global_load_u16 v16, v2, s[34:35] offset:64 scale_offset
	v_dual_add_f32 v14, 0x40051340, v11 :: v_dual_add_f32 v15, 0x40051340, v9
	v_max3_num_f32 v1, v1, v15, v14
	ds_bpermute_b32 v14, v4, v1
	s_wait_dscnt 0x0
	v_max_num_f32_e32 v14, v14, v14
	s_delay_alu instid0(VALU_DEP_1) | instskip(SKIP_3) | instid1(VALU_DEP_1)
	v_max_num_f32_e32 v1, v1, v14
	ds_bpermute_b32 v14, v3, v1
	s_wait_dscnt 0x0
	v_max_num_f32_e32 v14, v14, v14
	v_max_num_f32_e32 v1, v1, v14
	ds_bpermute_b32 v14, v6, v1
	s_wait_dscnt 0x0
	v_max_num_f32_e32 v14, v14, v14
	s_delay_alu instid0(VALU_DEP_1) | instskip(SKIP_3) | instid1(VALU_DEP_1)
	v_max_num_f32_e32 v1, v1, v14
	ds_bpermute_b32 v14, v22, v1
	s_wait_dscnt 0x0
	v_max_num_f32_e32 v14, v14, v14
	v_max_num_f32_e32 v1, v1, v14
	ds_bpermute_b32 v14, v23, v1
	s_wait_dscnt 0x0
	v_max_num_f32_e32 v14, v14, v14
	s_delay_alu instid0(VALU_DEP_1) | instskip(SKIP_3) | instid1(VALU_DEP_1)
	v_max_num_f32_e32 v1, v1, v14
	global_load_u16 v14, v2, s[34:35] scale_offset
	s_wait_loadcnt 0x1
	v_cvt_f32_f16_e32 v19, v16
	v_add_f32_e32 v16, v29, v19
	s_delay_alu instid0(VALU_DEP_1) | instskip(SKIP_4) | instid1(VALU_DEP_1)
	v_dual_add_f32 v18, 0x40051340, v16 :: v_dual_sub_f32 v5, v5, v1
	v_dual_sub_f32 v7, v7, v1 :: v_dual_sub_f32 v9, v9, v1
	v_sub_f32_e32 v11, v11, v1
	s_wait_loadcnt 0x0
	v_cvt_f32_f16_e32 v15, v14
	v_dual_add_f32 v14, v129, v15 :: v_dual_add_f32 v15, v128, v15
	s_delay_alu instid0(VALU_DEP_1) | instskip(NEXT) | instid1(VALU_DEP_1)
	v_add_f32_e32 v17, 0x40051340, v14
	v_max3_num_f32 v17, v125, v17, v18
	s_clause 0x1
	global_load_u16 v18, v2, s[34:35] offset:128 scale_offset
	global_load_u16 v2, v2, s[34:35] offset:192 scale_offset
	s_wait_loadcnt 0x0
	s_barrier_signal -1
	s_barrier_wait -1
	v_cvt_f32_f16_e32 v21, v18
	v_cvt_f32_f16_e32 v26, v2
	s_delay_alu instid0(VALU_DEP_2) | instskip(NEXT) | instid1(VALU_DEP_2)
	v_add_f32_e32 v18, v25, v21
	v_add_f32_e32 v20, v13, v26
	s_wait_xcnt 0x0
	s_delay_alu instid0(VALU_DEP_1) | instskip(NEXT) | instid1(VALU_DEP_1)
	v_dual_add_f32 v25, 0x40051340, v18 :: v_dual_add_f32 v2, 0x40051340, v20
	v_max3_num_f32 v2, v17, v25, v2
	v_add_f32_e32 v17, v28, v19
	ds_bpermute_b32 v13, v4, v2
	v_add_f32_e32 v19, 0x40051340, v17
	s_wait_dscnt 0x0
	v_max_num_f32_e32 v13, v13, v13
	s_delay_alu instid0(VALU_DEP_1) | instskip(SKIP_3) | instid1(VALU_DEP_1)
	v_max_num_f32_e32 v2, v2, v13
	ds_bpermute_b32 v13, v3, v2
	s_wait_dscnt 0x0
	v_max_num_f32_e32 v13, v13, v13
	v_max_num_f32_e32 v2, v2, v13
	ds_bpermute_b32 v13, v6, v2
	s_wait_dscnt 0x0
	v_max_num_f32_e32 v13, v13, v13
	s_delay_alu instid0(VALU_DEP_1) | instskip(SKIP_3) | instid1(VALU_DEP_1)
	v_max_num_f32_e32 v2, v2, v13
	ds_bpermute_b32 v13, v22, v2
	s_wait_dscnt 0x0
	v_max_num_f32_e32 v13, v13, v13
	v_max_num_f32_e32 v2, v2, v13
	ds_bpermute_b32 v13, v23, v2
	s_wait_dscnt 0x0
	v_max_num_f32_e32 v13, v13, v13
	s_delay_alu instid0(VALU_DEP_1) | instskip(NEXT) | instid1(VALU_DEP_1)
	v_dual_max_num_f32 v2, v2, v13 :: v_dual_add_f32 v13, 0x40051340, v15
	v_sub_f32_e32 v14, v14, v2
	s_delay_alu instid0(VALU_DEP_2) | instskip(SKIP_4) | instid1(VALU_DEP_3)
	v_max3_num_f32 v13, v124, v13, v19
	v_add_f32_e32 v19, v24, v21
	v_add_f32_e32 v21, v12, v26
	v_dual_sub_f32 v18, v18, v2 :: v_dual_sub_f32 v20, v20, v2
	v_sub_f32_e32 v16, v16, v2
	v_add_f32_e32 v12, 0x40051340, v21
	v_add_f32_e32 v24, 0x40051340, v19
	s_delay_alu instid0(VALU_DEP_1) | instskip(SKIP_3) | instid1(VALU_DEP_1)
	v_max3_num_f32 v12, v13, v24, v12
	ds_bpermute_b32 v4, v4, v12
	s_wait_dscnt 0x0
	v_max_num_f32_e32 v4, v4, v4
	v_max_num_f32_e32 v4, v12, v4
	v_sub_f32_e32 v12, v127, v0
	ds_bpermute_b32 v3, v3, v4
	s_wait_dscnt 0x0
	v_max_num_f32_e32 v3, v3, v3
	s_delay_alu instid0(VALU_DEP_1) | instskip(SKIP_3) | instid1(VALU_DEP_1)
	v_max_num_f32_e32 v3, v4, v3
	ds_bpermute_b32 v4, v6, v3
	s_wait_dscnt 0x0
	v_max_num_f32_e32 v4, v4, v4
	v_max_num_f32_e32 v3, v3, v4
	ds_bpermute_b32 v4, v22, v3
	s_wait_dscnt 0x0
	v_max_num_f32_e32 v4, v4, v4
	s_delay_alu instid0(VALU_DEP_1) | instskip(SKIP_3) | instid1(VALU_DEP_1)
	v_max_num_f32_e32 v3, v3, v4
	ds_bpermute_b32 v4, v23, v3
	s_wait_dscnt 0x0
	v_max_num_f32_e32 v4, v4, v4
	v_max_num_f32_e32 v3, v3, v4
	v_sub_f32_e32 v4, v130, v0
	s_delay_alu instid0(VALU_DEP_1) | instskip(SKIP_1) | instid1(VALU_DEP_4)
	v_mul_f32_e32 v6, 0x3fb8aa3b, v4
	v_cmp_ngt_f32_e32 vcc_lo, 0xc2ce8ed0, v4
	v_sub_f32_e32 v15, v15, v3
	v_dual_sub_f32 v19, v19, v3 :: v_dual_sub_f32 v21, v21, v3
	s_delay_alu instid0(VALU_DEP_4) | instskip(SKIP_2) | instid1(VALU_DEP_2)
	v_fma_f32 v13, 0x3fb8aa3b, v4, -v6
	v_rndne_f32_e32 v22, v6
	v_sub_f32_e32 v17, v17, v3
	v_dual_fmac_f32 v13, 0x32a5705f, v4 :: v_dual_sub_f32 v6, v6, v22
	s_delay_alu instid0(VALU_DEP_1) | instskip(SKIP_1) | instid1(VALU_DEP_2)
	v_add_f32_e32 v6, v6, v13
	v_cvt_i32_f32_e32 v13, v22
	v_exp_f32_e32 v6, v6
	v_nop
	s_delay_alu instid0(TRANS32_DEP_1) | instskip(NEXT) | instid1(VALU_DEP_1)
	v_ldexp_f32 v6, v6, v13
	v_cndmask_b32_e32 v6, 0, v6, vcc_lo
	v_cmp_nlt_f32_e32 vcc_lo, 0x42b17218, v4
	s_delay_alu instid0(VALU_DEP_2) | instskip(SKIP_1) | instid1(VALU_DEP_1)
	v_cndmask_b32_e32 v4, 0x7f800000, v6, vcc_lo
	v_sub_f32_e32 v6, v31, v0
	v_mul_f32_e32 v13, 0x3fb8aa3b, v6
	s_delay_alu instid0(VALU_DEP_1) | instskip(SKIP_1) | instid1(VALU_DEP_1)
	v_fma_f32 v22, 0x3fb8aa3b, v6, -v13
	v_rndne_f32_e32 v23, v13
	v_dual_fmac_f32 v22, 0x32a5705f, v6 :: v_dual_sub_f32 v13, v13, v23
	s_delay_alu instid0(VALU_DEP_1) | instskip(SKIP_2) | instid1(VALU_DEP_3)
	v_add_f32_e32 v13, v13, v22
	v_cvt_i32_f32_e32 v22, v23
	v_cmp_ngt_f32_e32 vcc_lo, 0xc2ce8ed0, v6
	v_exp_f32_e32 v13, v13
	v_nop
	s_delay_alu instid0(TRANS32_DEP_1) | instskip(NEXT) | instid1(VALU_DEP_1)
	v_ldexp_f32 v13, v13, v22
	v_cndmask_b32_e32 v13, 0, v13, vcc_lo
	v_cmp_nlt_f32_e32 vcc_lo, 0x42b17218, v6
	s_delay_alu instid0(VALU_DEP_2) | instskip(SKIP_2) | instid1(VALU_DEP_2)
	v_cndmask_b32_e32 v6, 0x7f800000, v13, vcc_lo
	v_mul_f32_e32 v13, 0x3fb8aa3b, v8
	v_cmp_ngt_f32_e32 vcc_lo, 0xc2ce8ed0, v8
	v_fma_f32 v22, 0x3fb8aa3b, v8, -v13
	v_rndne_f32_e32 v23, v13
	s_delay_alu instid0(VALU_DEP_1) | instskip(NEXT) | instid1(VALU_DEP_1)
	v_dual_fmac_f32 v22, 0x32a5705f, v8 :: v_dual_sub_f32 v13, v13, v23
	v_add_f32_e32 v13, v13, v22
	v_cvt_i32_f32_e32 v22, v23
	s_delay_alu instid0(VALU_DEP_2) | instskip(SKIP_1) | instid1(TRANS32_DEP_1)
	v_exp_f32_e32 v13, v13
	v_nop
	v_ldexp_f32 v13, v13, v22
	s_delay_alu instid0(VALU_DEP_1) | instskip(SKIP_1) | instid1(VALU_DEP_2)
	v_cndmask_b32_e32 v13, 0, v13, vcc_lo
	v_cmp_nlt_f32_e32 vcc_lo, 0x42b17218, v8
	v_cndmask_b32_e32 v8, 0x7f800000, v13, vcc_lo
	v_mul_f32_e32 v13, 0x3fb8aa3b, v10
	v_cmp_ngt_f32_e32 vcc_lo, 0xc2ce8ed0, v10
	s_delay_alu instid0(VALU_DEP_2) | instskip(SKIP_1) | instid1(VALU_DEP_1)
	v_fma_f32 v22, 0x3fb8aa3b, v10, -v13
	v_rndne_f32_e32 v23, v13
	v_dual_fmac_f32 v22, 0x32a5705f, v10 :: v_dual_sub_f32 v13, v13, v23
	s_delay_alu instid0(VALU_DEP_1) | instskip(SKIP_1) | instid1(VALU_DEP_2)
	v_add_f32_e32 v13, v13, v22
	v_cvt_i32_f32_e32 v22, v23
	v_exp_f32_e32 v13, v13
	v_nop
	s_delay_alu instid0(TRANS32_DEP_1) | instskip(NEXT) | instid1(VALU_DEP_1)
	v_ldexp_f32 v13, v13, v22
	v_cndmask_b32_e32 v13, 0, v13, vcc_lo
	v_cmp_nlt_f32_e32 vcc_lo, 0x42b17218, v10
	s_delay_alu instid0(VALU_DEP_2) | instskip(SKIP_2) | instid1(VALU_DEP_2)
	v_cndmask_b32_e32 v10, 0x7f800000, v13, vcc_lo
	v_mul_f32_e32 v13, 0x3fb8aa3b, v12
	v_cmp_ngt_f32_e32 vcc_lo, 0xc2ce8ed0, v12
	v_fma_f32 v22, 0x3fb8aa3b, v12, -v13
	v_rndne_f32_e32 v23, v13
	s_delay_alu instid0(VALU_DEP_1) | instskip(NEXT) | instid1(VALU_DEP_1)
	v_dual_fmac_f32 v22, 0x32a5705f, v12 :: v_dual_sub_f32 v13, v13, v23
	v_add_f32_e32 v13, v13, v22
	v_cvt_i32_f32_e32 v22, v23
	s_delay_alu instid0(VALU_DEP_2) | instskip(SKIP_1) | instid1(TRANS32_DEP_1)
	v_exp_f32_e32 v13, v13
	v_nop
	v_ldexp_f32 v13, v13, v22
	v_mul_f32_e32 v22, 0x3fb8aa3b, v5
	s_delay_alu instid0(VALU_DEP_2) | instskip(NEXT) | instid1(VALU_DEP_2)
	v_cndmask_b32_e32 v13, 0, v13, vcc_lo
	v_fma_f32 v23, 0x3fb8aa3b, v5, -v22
	v_rndne_f32_e32 v25, v22
	v_cmp_nlt_f32_e32 vcc_lo, 0x42b17218, v12
	s_delay_alu instid0(VALU_DEP_3) | instskip(NEXT) | instid1(VALU_DEP_3)
	v_fmac_f32_e32 v23, 0x32a5705f, v5
	v_sub_f32_e32 v22, v22, v25
	v_cndmask_b32_e32 v12, 0x7f800000, v13, vcc_lo
	v_cmp_ngt_f32_e32 vcc_lo, 0xc2ce8ed0, v5
	s_delay_alu instid0(VALU_DEP_3) | instskip(NEXT) | instid1(VALU_DEP_3)
	v_add_f32_e32 v22, v22, v23
	v_cvt_f16_f32_e32 v13, v12
	v_cvt_i32_f32_e32 v23, v25
	s_delay_alu instid0(VALU_DEP_3) | instskip(NEXT) | instid1(VALU_DEP_2)
	v_exp_f32_e32 v22, v22
	v_and_b32_e32 v13, 0xffff, v13
	s_delay_alu instid0(VALU_DEP_1) | instskip(NEXT) | instid1(TRANS32_DEP_1)
	v_mul_u32_u24_e32 v24, 0x10001, v13
	v_ldexp_f32 v22, v22, v23
	s_delay_alu instid0(VALU_DEP_1) | instskip(SKIP_1) | instid1(VALU_DEP_2)
	v_dual_sub_f32 v13, v126, v1 :: v_dual_cndmask_b32 v22, 0, v22
	v_cmp_nlt_f32_e32 vcc_lo, 0x42b17218, v5
	v_cndmask_b32_e32 v5, 0x7f800000, v22, vcc_lo
	v_mul_f32_e32 v22, 0x3fb8aa3b, v7
	v_cmp_ngt_f32_e32 vcc_lo, 0xc2ce8ed0, v7
	s_delay_alu instid0(VALU_DEP_2) | instskip(SKIP_1) | instid1(VALU_DEP_1)
	v_fma_f32 v23, 0x3fb8aa3b, v7, -v22
	v_rndne_f32_e32 v25, v22
	v_dual_fmac_f32 v23, 0x32a5705f, v7 :: v_dual_sub_f32 v22, v22, v25
	s_delay_alu instid0(VALU_DEP_1) | instskip(SKIP_1) | instid1(VALU_DEP_2)
	v_add_f32_e32 v22, v22, v23
	v_cvt_i32_f32_e32 v23, v25
	v_exp_f32_e32 v22, v22
	v_nop
	s_delay_alu instid0(TRANS32_DEP_1) | instskip(NEXT) | instid1(VALU_DEP_1)
	v_ldexp_f32 v22, v22, v23
	v_cndmask_b32_e32 v22, 0, v22, vcc_lo
	v_cmp_nlt_f32_e32 vcc_lo, 0x42b17218, v7
	s_delay_alu instid0(VALU_DEP_2) | instskip(SKIP_2) | instid1(VALU_DEP_2)
	v_cndmask_b32_e32 v7, 0x7f800000, v22, vcc_lo
	v_mul_f32_e32 v22, 0x3fb8aa3b, v9
	v_cmp_ngt_f32_e32 vcc_lo, 0xc2ce8ed0, v9
	v_fma_f32 v23, 0x3fb8aa3b, v9, -v22
	v_rndne_f32_e32 v25, v22
	s_delay_alu instid0(VALU_DEP_2) | instskip(NEXT) | instid1(VALU_DEP_2)
	v_fmac_f32_e32 v23, 0x32a5705f, v9
	v_sub_f32_e32 v22, v22, v25
	s_delay_alu instid0(VALU_DEP_1) | instskip(SKIP_1) | instid1(VALU_DEP_2)
	v_add_f32_e32 v22, v22, v23
	v_cvt_i32_f32_e32 v23, v25
	v_exp_f32_e32 v22, v22
	v_nop
	s_delay_alu instid0(TRANS32_DEP_1) | instskip(NEXT) | instid1(VALU_DEP_1)
	v_ldexp_f32 v22, v22, v23
	v_cndmask_b32_e32 v22, 0, v22, vcc_lo
	v_cmp_nlt_f32_e32 vcc_lo, 0x42b17218, v9
	s_delay_alu instid0(VALU_DEP_2) | instskip(SKIP_2) | instid1(VALU_DEP_2)
	v_cndmask_b32_e32 v9, 0x7f800000, v22, vcc_lo
	v_mul_f32_e32 v22, 0x3fb8aa3b, v11
	v_cmp_ngt_f32_e32 vcc_lo, 0xc2ce8ed0, v11
	v_fma_f32 v23, 0x3fb8aa3b, v11, -v22
	v_rndne_f32_e32 v25, v22
	s_delay_alu instid0(VALU_DEP_1) | instskip(NEXT) | instid1(VALU_DEP_1)
	v_dual_fmac_f32 v23, 0x32a5705f, v11 :: v_dual_sub_f32 v22, v22, v25
	v_add_f32_e32 v22, v22, v23
	v_cvt_i32_f32_e32 v23, v25
	s_delay_alu instid0(VALU_DEP_2) | instskip(SKIP_1) | instid1(TRANS32_DEP_1)
	v_exp_f32_e32 v22, v22
	v_nop
	v_ldexp_f32 v22, v22, v23
	s_delay_alu instid0(VALU_DEP_1) | instskip(SKIP_1) | instid1(VALU_DEP_2)
	v_cndmask_b32_e32 v22, 0, v22, vcc_lo
	v_cmp_nlt_f32_e32 vcc_lo, 0x42b17218, v11
	v_cndmask_b32_e32 v11, 0x7f800000, v22, vcc_lo
	v_mul_f32_e32 v22, 0x3fb8aa3b, v13
	v_cmp_ngt_f32_e32 vcc_lo, 0xc2ce8ed0, v13
	s_delay_alu instid0(VALU_DEP_2) | instskip(SKIP_1) | instid1(VALU_DEP_2)
	v_fma_f32 v23, 0x3fb8aa3b, v13, -v22
	v_rndne_f32_e32 v25, v22
	v_fmac_f32_e32 v23, 0x32a5705f, v13
	s_delay_alu instid0(VALU_DEP_2) | instskip(NEXT) | instid1(VALU_DEP_1)
	v_sub_f32_e32 v22, v22, v25
	v_add_f32_e32 v22, v22, v23
	v_cvt_i32_f32_e32 v23, v25
	s_delay_alu instid0(VALU_DEP_2) | instskip(SKIP_1) | instid1(TRANS32_DEP_1)
	v_exp_f32_e32 v22, v22
	v_nop
	v_ldexp_f32 v22, v22, v23
	v_mul_f32_e32 v23, 0x3fb8aa3b, v14
	s_delay_alu instid0(VALU_DEP_2) | instskip(NEXT) | instid1(VALU_DEP_2)
	v_cndmask_b32_e32 v22, 0, v22, vcc_lo
	v_fma_f32 v26, 0x3fb8aa3b, v14, -v23
	v_rndne_f32_e32 v27, v23
	v_cmp_nlt_f32_e32 vcc_lo, 0x42b17218, v13
	s_delay_alu instid0(VALU_DEP_2) | instskip(SKIP_2) | instid1(VALU_DEP_3)
	v_dual_fmac_f32 v26, 0x32a5705f, v14 :: v_dual_sub_f32 v23, v23, v27
	v_cndmask_b32_e32 v13, 0x7f800000, v22, vcc_lo
	v_cmp_ngt_f32_e32 vcc_lo, 0xc2ce8ed0, v14
	v_add_f32_e32 v23, v23, v26
	v_cvt_i32_f32_e32 v26, v27
	s_delay_alu instid0(VALU_DEP_4) | instskip(NEXT) | instid1(VALU_DEP_3)
	v_cvt_f16_f32_e32 v22, v13
	v_exp_f32_e32 v23, v23
	s_delay_alu instid0(VALU_DEP_1) | instskip(NEXT) | instid1(TRANS32_DEP_1)
	v_and_b32_e32 v22, 0xffff, v22
	v_ldexp_f32 v23, v23, v26
	s_delay_alu instid0(VALU_DEP_2) | instskip(NEXT) | instid1(VALU_DEP_2)
	v_mul_u32_u24_e32 v25, 0x10001, v22
	v_cndmask_b32_e32 v23, 0, v23, vcc_lo
	v_cmp_nlt_f32_e32 vcc_lo, 0x42b17218, v14
	s_delay_alu instid0(VALU_DEP_2) | instskip(SKIP_2) | instid1(VALU_DEP_2)
	v_cndmask_b32_e32 v14, 0x7f800000, v23, vcc_lo
	v_mul_f32_e32 v23, 0x3fb8aa3b, v16
	v_cmp_ngt_f32_e32 vcc_lo, 0xc2ce8ed0, v16
	v_fma_f32 v26, 0x3fb8aa3b, v16, -v23
	v_rndne_f32_e32 v27, v23
	v_sub_f32_e32 v22, v125, v2
	s_delay_alu instid0(VALU_DEP_2) | instskip(NEXT) | instid1(VALU_DEP_1)
	v_dual_fmac_f32 v26, 0x32a5705f, v16 :: v_dual_sub_f32 v23, v23, v27
	v_add_f32_e32 v23, v23, v26
	v_cvt_i32_f32_e32 v26, v27
	s_delay_alu instid0(VALU_DEP_2) | instskip(SKIP_1) | instid1(TRANS32_DEP_1)
	v_exp_f32_e32 v23, v23
	v_nop
	v_ldexp_f32 v23, v23, v26
	s_delay_alu instid0(VALU_DEP_1) | instskip(SKIP_1) | instid1(VALU_DEP_2)
	v_cndmask_b32_e32 v23, 0, v23, vcc_lo
	v_cmp_nlt_f32_e32 vcc_lo, 0x42b17218, v16
	v_cndmask_b32_e32 v16, 0x7f800000, v23, vcc_lo
	v_mul_f32_e32 v23, 0x3fb8aa3b, v18
	v_cmp_ngt_f32_e32 vcc_lo, 0xc2ce8ed0, v18
	s_delay_alu instid0(VALU_DEP_2) | instskip(SKIP_1) | instid1(VALU_DEP_1)
	v_fma_f32 v26, 0x3fb8aa3b, v18, -v23
	v_rndne_f32_e32 v27, v23
	v_dual_fmac_f32 v26, 0x32a5705f, v18 :: v_dual_sub_f32 v23, v23, v27
	s_delay_alu instid0(VALU_DEP_1) | instskip(SKIP_1) | instid1(VALU_DEP_2)
	v_add_f32_e32 v23, v23, v26
	v_cvt_i32_f32_e32 v26, v27
	v_exp_f32_e32 v23, v23
	v_nop
	s_delay_alu instid0(TRANS32_DEP_1) | instskip(NEXT) | instid1(VALU_DEP_1)
	v_ldexp_f32 v23, v23, v26
	v_cndmask_b32_e32 v23, 0, v23, vcc_lo
	v_cmp_nlt_f32_e32 vcc_lo, 0x42b17218, v18
	s_delay_alu instid0(VALU_DEP_2) | instskip(SKIP_2) | instid1(VALU_DEP_2)
	v_cndmask_b32_e32 v18, 0x7f800000, v23, vcc_lo
	v_mul_f32_e32 v23, 0x3fb8aa3b, v20
	v_cmp_ngt_f32_e32 vcc_lo, 0xc2ce8ed0, v20
	v_fma_f32 v26, 0x3fb8aa3b, v20, -v23
	v_rndne_f32_e32 v27, v23
	s_delay_alu instid0(VALU_DEP_1) | instskip(NEXT) | instid1(VALU_DEP_1)
	v_dual_fmac_f32 v26, 0x32a5705f, v20 :: v_dual_sub_f32 v23, v23, v27
	v_add_f32_e32 v23, v23, v26
	v_cvt_i32_f32_e32 v26, v27
	s_delay_alu instid0(VALU_DEP_2) | instskip(SKIP_1) | instid1(TRANS32_DEP_1)
	v_exp_f32_e32 v23, v23
	v_nop
	v_ldexp_f32 v23, v23, v26
	s_delay_alu instid0(VALU_DEP_1) | instskip(SKIP_1) | instid1(VALU_DEP_2)
	v_cndmask_b32_e32 v23, 0, v23, vcc_lo
	v_cmp_nlt_f32_e32 vcc_lo, 0x42b17218, v20
	v_cndmask_b32_e32 v20, 0x7f800000, v23, vcc_lo
	v_mul_f32_e32 v23, 0x3fb8aa3b, v22
	v_cmp_ngt_f32_e32 vcc_lo, 0xc2ce8ed0, v22
	s_delay_alu instid0(VALU_DEP_2) | instskip(SKIP_1) | instid1(VALU_DEP_1)
	v_fma_f32 v26, 0x3fb8aa3b, v22, -v23
	v_rndne_f32_e32 v27, v23
	v_dual_fmac_f32 v26, 0x32a5705f, v22 :: v_dual_sub_f32 v23, v23, v27
	s_delay_alu instid0(VALU_DEP_1) | instskip(SKIP_2) | instid1(VALU_DEP_3)
	v_add_f32_e32 v23, v23, v26
	v_cvt_i32_f32_e32 v26, v27
	v_mul_f32_e32 v27, 0x3fb8aa3b, v15
	v_exp_f32_e32 v23, v23
	s_delay_alu instid0(VALU_DEP_1) | instskip(SKIP_1) | instid1(TRANS32_DEP_1)
	v_fma_f32 v28, 0x3fb8aa3b, v15, -v27
	v_rndne_f32_e32 v29, v27
	v_ldexp_f32 v23, v23, v26
	s_delay_alu instid0(VALU_DEP_2) | instskip(NEXT) | instid1(VALU_DEP_2)
	v_dual_fmac_f32 v28, 0x32a5705f, v15 :: v_dual_sub_f32 v27, v27, v29
	v_cndmask_b32_e32 v23, 0, v23, vcc_lo
	v_cmp_nlt_f32_e32 vcc_lo, 0x42b17218, v22
	s_delay_alu instid0(VALU_DEP_3) | instskip(SKIP_1) | instid1(VALU_DEP_4)
	v_add_f32_e32 v27, v27, v28
	v_cvt_i32_f32_e32 v28, v29
	v_cndmask_b32_e32 v22, 0x7f800000, v23, vcc_lo
	s_delay_alu instid0(VALU_DEP_3) | instskip(SKIP_1) | instid1(VALU_DEP_2)
	v_exp_f32_e32 v27, v27
	v_cmp_ngt_f32_e32 vcc_lo, 0xc2ce8ed0, v15
	v_cvt_f16_f32_e32 v23, v22
	s_delay_alu instid0(TRANS32_DEP_1) | instskip(NEXT) | instid1(VALU_DEP_2)
	v_ldexp_f32 v27, v27, v28
	v_and_b32_e32 v23, 0xffff, v23
	s_delay_alu instid0(VALU_DEP_2) | instskip(SKIP_1) | instid1(VALU_DEP_3)
	v_cndmask_b32_e32 v27, 0, v27, vcc_lo
	v_cmp_nlt_f32_e32 vcc_lo, 0x42b17218, v15
	v_mul_u32_u24_e32 v26, 0x10001, v23
	v_sub_f32_e32 v23, v124, v3
	s_delay_alu instid0(VALU_DEP_4) | instskip(SKIP_2) | instid1(VALU_DEP_2)
	v_cndmask_b32_e32 v15, 0x7f800000, v27, vcc_lo
	v_mul_f32_e32 v27, 0x3fb8aa3b, v17
	v_cmp_ngt_f32_e32 vcc_lo, 0xc2ce8ed0, v17
	v_fma_f32 v28, 0x3fb8aa3b, v17, -v27
	v_rndne_f32_e32 v29, v27
	s_delay_alu instid0(VALU_DEP_2) | instskip(NEXT) | instid1(VALU_DEP_2)
	v_fmac_f32_e32 v28, 0x32a5705f, v17
	v_sub_f32_e32 v27, v27, v29
	s_delay_alu instid0(VALU_DEP_1) | instskip(SKIP_1) | instid1(VALU_DEP_2)
	v_add_f32_e32 v27, v27, v28
	v_cvt_i32_f32_e32 v28, v29
	v_exp_f32_e32 v27, v27
	v_nop
	s_delay_alu instid0(TRANS32_DEP_1) | instskip(NEXT) | instid1(VALU_DEP_1)
	v_ldexp_f32 v27, v27, v28
	v_cndmask_b32_e32 v27, 0, v27, vcc_lo
	v_cmp_nlt_f32_e32 vcc_lo, 0x42b17218, v17
	s_delay_alu instid0(VALU_DEP_2) | instskip(SKIP_2) | instid1(VALU_DEP_3)
	v_cndmask_b32_e32 v17, 0x7f800000, v27, vcc_lo
	v_mul_f32_e32 v27, 0x3fb8aa3b, v19
	v_cmp_ngt_f32_e32 vcc_lo, 0xc2ce8ed0, v19
	v_pk_add_f32 v[30:31], v[14:15], v[16:17]
	s_delay_alu instid0(VALU_DEP_3) | instskip(SKIP_1) | instid1(VALU_DEP_1)
	v_fma_f32 v28, 0x3fb8aa3b, v19, -v27
	v_rndne_f32_e32 v29, v27
	v_dual_fmac_f32 v28, 0x32a5705f, v19 :: v_dual_sub_f32 v27, v27, v29
	s_delay_alu instid0(VALU_DEP_1) | instskip(SKIP_1) | instid1(VALU_DEP_2)
	v_add_f32_e32 v27, v27, v28
	v_cvt_i32_f32_e32 v28, v29
	v_exp_f32_e32 v27, v27
	v_nop
	s_delay_alu instid0(TRANS32_DEP_1) | instskip(NEXT) | instid1(VALU_DEP_1)
	v_ldexp_f32 v27, v27, v28
	v_cndmask_b32_e32 v27, 0, v27, vcc_lo
	v_cmp_nlt_f32_e32 vcc_lo, 0x42b17218, v19
	s_delay_alu instid0(VALU_DEP_2) | instskip(SKIP_2) | instid1(VALU_DEP_3)
	v_cndmask_b32_e32 v19, 0x7f800000, v27, vcc_lo
	v_mul_f32_e32 v27, 0x3fb8aa3b, v21
	v_cmp_ngt_f32_e32 vcc_lo, 0xc2ce8ed0, v21
	v_pk_add_f32 v[30:31], v[18:19], v[30:31]
	s_delay_alu instid0(VALU_DEP_3) | instskip(SKIP_1) | instid1(VALU_DEP_2)
	v_fma_f32 v28, 0x3fb8aa3b, v21, -v27
	v_rndne_f32_e32 v29, v27
	v_fmac_f32_e32 v28, 0x32a5705f, v21
	s_delay_alu instid0(VALU_DEP_2) | instskip(NEXT) | instid1(VALU_DEP_1)
	v_sub_f32_e32 v27, v27, v29
	v_add_f32_e32 v27, v27, v28
	v_cvt_i32_f32_e32 v28, v29
	s_delay_alu instid0(VALU_DEP_2) | instskip(SKIP_1) | instid1(TRANS32_DEP_1)
	v_exp_f32_e32 v27, v27
	v_nop
	v_ldexp_f32 v27, v27, v28
	s_delay_alu instid0(VALU_DEP_1) | instskip(SKIP_1) | instid1(VALU_DEP_2)
	v_cndmask_b32_e32 v27, 0, v27, vcc_lo
	v_cmp_nlt_f32_e32 vcc_lo, 0x42b17218, v21
	v_cndmask_b32_e32 v21, 0x7f800000, v27, vcc_lo
	v_mul_f32_e32 v27, 0x3fb8aa3b, v23
	v_cmp_ngt_f32_e32 vcc_lo, 0xc2ce8ed0, v23
	s_delay_alu instid0(VALU_DEP_3) | instskip(NEXT) | instid1(VALU_DEP_3)
	v_pk_add_f32 v[30:31], v[20:21], v[30:31]
	v_fma_f32 v28, 0x3fb8aa3b, v23, -v27
	v_rndne_f32_e32 v29, v27
	s_delay_alu instid0(VALU_DEP_1) | instskip(NEXT) | instid1(VALU_DEP_1)
	v_dual_fmac_f32 v28, 0x32a5705f, v23 :: v_dual_sub_f32 v27, v27, v29
	v_add_f32_e32 v27, v27, v28
	v_cvt_i32_f32_e32 v28, v29
	s_delay_alu instid0(VALU_DEP_2) | instskip(SKIP_1) | instid1(TRANS32_DEP_1)
	v_exp_f32_e32 v27, v27
	v_nop
	v_ldexp_f32 v27, v27, v28
	v_pk_add_f32 v[28:29], v[4:5], v[6:7]
	s_delay_alu instid0(VALU_DEP_2) | instskip(SKIP_1) | instid1(VALU_DEP_3)
	v_cndmask_b32_e32 v27, 0, v27, vcc_lo
	v_cmp_nlt_f32_e32 vcc_lo, 0x42b17218, v23
	v_pk_add_f32 v[28:29], v[8:9], v[28:29]
	s_delay_alu instid0(VALU_DEP_3) | instskip(NEXT) | instid1(VALU_DEP_2)
	v_cndmask_b32_e32 v23, 0x7f800000, v27, vcc_lo
	v_pk_add_f32 v[28:29], v[10:11], v[28:29]
	s_delay_alu instid0(VALU_DEP_2) | instskip(NEXT) | instid1(VALU_DEP_2)
	v_pk_fma_f32 v[42:43], v[42:43], v[22:23], v[30:31]
	v_pk_fma_f32 v[46:47], v[46:47], v[12:13], v[28:29]
	v_cvt_f16_f32_e32 v12, v23
	v_cvt_pk_f16_f32 v13, v14, v15
	v_lshl_add_u64 v[14:15], v[64:65], 2, s[24:25]
	s_delay_alu instid0(VALU_DEP_3) | instskip(NEXT) | instid1(VALU_DEP_2)
	v_and_b32_e32 v12, 0xffff, v12
	v_add_nc_u64_e32 v[14:15], v[14:15], v[32:33]
	s_delay_alu instid0(VALU_DEP_2) | instskip(NEXT) | instid1(VALU_DEP_1)
	v_mul_u32_u24_e32 v12, 0x10001, v12
	v_pk_mul_f16 v22, v123, v12
	v_cvt_pk_f16_f32 v12, v4, v5
	v_cvt_pk_f16_f32 v5, v16, v17
	;; [unrolled: 1-line block ×5, first 2 shown]
	v_lshl_add_u64 v[16:17], v[66:67], 2, s[24:25]
	ds_store_2addr_b64 v96, v[12:13], v[4:5] offset1:32
	v_cvt_pk_f16_f32 v5, v18, v19
	v_cvt_pk_f16_f32 v4, v8, v9
	v_lshl_add_u64 v[8:9], v[54:55], 2, s[24:25]
	v_add_nc_u64_e32 v[16:17], v[16:17], v[32:33]
	v_lshl_add_u64 v[18:19], v[68:69], 2, s[24:25]
	ds_store_2addr_b64 v96, v[4:5], v[6:7] offset0:64 offset1:96
	v_lshl_add_u64 v[4:5], v[40:41], 2, s[24:25]
	v_add_nc_u64_e32 v[12:13], v[8:9], v[32:33]
	v_lshl_add_u64 v[8:9], v[58:59], 2, s[24:25]
	v_add_nc_u64_e32 v[18:19], v[18:19], v[32:33]
	s_delay_alu instid0(VALU_DEP_4) | instskip(SKIP_1) | instid1(VALU_DEP_4)
	v_add_nc_u64_e32 v[6:7], v[4:5], v[32:33]
	v_lshl_add_u64 v[4:5], v[50:51], 2, s[24:25]
	v_add_nc_u64_e32 v[10:11], v[8:9], v[32:33]
	v_lshl_add_u64 v[8:9], v[62:63], 2, s[24:25]
	s_delay_alu instid0(VALU_DEP_3)
	v_add_nc_u64_e32 v[4:5], v[4:5], v[32:33]
	global_load_b128 v[28:31], v[6:7], off
	v_add_nc_u64_e32 v[8:9], v[8:9], v[32:33]
	global_load_b128 v[4:7], v[4:5], off
	s_wait_loadcnt 0x1
	ds_store_b128 v95, v[28:31]
	s_wait_loadcnt 0x0
	ds_store_b128 v98, v[4:7]
	global_load_b128 v[4:7], v[12:13], off
	s_wait_loadcnt 0x0
	ds_store_b128 v99, v[4:7]
	global_load_b128 v[4:7], v[10:11], off
	;; [unrolled: 3-line block ×6, first 2 shown]
	s_wait_loadcnt 0x0
	ds_store_b128 v104, v[4:7]
	s_wait_dscnt 0x0
	s_barrier_signal -1
	s_barrier_wait -1
	ds_load_2addr_b32 v[20:21], v80 offset1:32
	ds_load_b128 v[4:7], v94
	ds_load_b128 v[8:11], v94 offset:16
	ds_load_b128 v[12:15], v94 offset:32
	;; [unrolled: 1-line block ×3, first 2 shown]
	s_wait_dscnt 0x3
	v_lshrrev_b32_e32 v23, 16, v4
	v_and_b32_e32 v4, 0xffff, v4
	v_lshrrev_b32_e32 v27, 16, v5
	v_and_b32_e32 v5, 0xffff, v5
	s_delay_alu instid0(VALU_DEP_4) | instskip(NEXT) | instid1(VALU_DEP_4)
	v_mul_u32_u24_e32 v23, 0x10001, v23
	v_mul_u32_u24_e32 v4, 0x10001, v4
	s_delay_alu instid0(VALU_DEP_4) | instskip(NEXT) | instid1(VALU_DEP_4)
	v_mul_u32_u24_e32 v27, 0x10001, v27
	v_mul_u32_u24_e32 v5, 0x10001, v5
	s_delay_alu instid0(VALU_DEP_4) | instskip(NEXT) | instid1(VALU_DEP_4)
	v_pk_mul_f16 v23, v20, v23
	v_pk_mul_f16 v4, v20, v4
	s_delay_alu instid0(VALU_DEP_3) | instskip(SKIP_2) | instid1(VALU_DEP_4)
	v_pk_mul_f16 v5, v20, v5
	v_pk_fma_f16 v20, v20, v27, v22
	v_lshrrev_b32_e32 v22, 16, v6
	v_pk_fma_f16 v4, v122, v24, v4
	v_lshrrev_b32_e32 v24, 16, v7
	v_and_b32_e32 v6, 0xffff, v6
	v_and_b32_e32 v7, 0xffff, v7
	v_pk_fma_f16 v5, v120, v26, v5
	v_pk_fma_f16 v23, v121, v25, v23
	v_mul_u32_u24_e32 v22, 0x10001, v22
	v_mul_u32_u24_e32 v6, 0x10001, v6
	;; [unrolled: 1-line block ×4, first 2 shown]
	s_delay_alu instid0(VALU_DEP_4) | instskip(NEXT) | instid1(VALU_DEP_4)
	v_pk_fma_f16 v22, v21, v22, v23
	v_pk_fma_f16 v6, v21, v6, v4
	s_delay_alu instid0(VALU_DEP_4)
	v_pk_fma_f16 v7, v21, v7, v5
	ds_load_2addr_b32 v[4:5], v80 offset0:64 offset1:96
	v_pk_fma_f16 v20, v21, v24, v20
	s_wait_dscnt 0x3
	v_dual_lshrrev_b32 v21, 16, v8 :: v_dual_lshrrev_b32 v23, 16, v9
	v_and_b32_e32 v8, 0xffff, v8
	v_and_b32_e32 v9, 0xffff, v9
	s_delay_alu instid0(VALU_DEP_3) | instskip(NEXT) | instid1(VALU_DEP_4)
	v_mul_u32_u24_e32 v21, 0x10001, v21
	v_mul_u32_u24_e32 v23, 0x10001, v23
	s_delay_alu instid0(VALU_DEP_4) | instskip(NEXT) | instid1(VALU_DEP_4)
	v_mul_u32_u24_e32 v8, 0x10001, v8
	v_mul_u32_u24_e32 v9, 0x10001, v9
	s_wait_dscnt 0x0
	s_delay_alu instid0(VALU_DEP_2) | instskip(SKIP_1) | instid1(VALU_DEP_3)
	v_pk_fma_f16 v6, v4, v8, v6
	v_pk_fma_f16 v8, v4, v21, v22
	;; [unrolled: 1-line block ×4, first 2 shown]
	v_dual_lshrrev_b32 v9, 16, v10 :: v_dual_lshrrev_b32 v20, 16, v11
	v_and_b32_e32 v10, 0xffff, v10
	v_and_b32_e32 v11, 0xffff, v11
	s_delay_alu instid0(VALU_DEP_3) | instskip(NEXT) | instid1(VALU_DEP_4)
	v_mul_u32_u24_e32 v9, 0x10001, v9
	v_mul_u32_u24_e32 v20, 0x10001, v20
	s_delay_alu instid0(VALU_DEP_4) | instskip(NEXT) | instid1(VALU_DEP_4)
	v_mul_u32_u24_e32 v10, 0x10001, v10
	v_mul_u32_u24_e32 v11, 0x10001, v11
	s_delay_alu instid0(VALU_DEP_4) | instskip(NEXT) | instid1(VALU_DEP_4)
	v_pk_fma_f16 v8, v5, v9, v8
	v_pk_fma_f16 v9, v5, v20, v4
	s_delay_alu instid0(VALU_DEP_4) | instskip(NEXT) | instid1(VALU_DEP_4)
	v_pk_fma_f16 v6, v5, v10, v6
	v_pk_fma_f16 v7, v5, v11, v7
	ds_load_2addr_b32 v[4:5], v80 offset0:128 offset1:160
	v_dual_lshrrev_b32 v10, 16, v12 :: v_dual_lshrrev_b32 v11, 16, v13
	v_and_b32_e32 v12, 0xffff, v12
	v_and_b32_e32 v13, 0xffff, v13
	s_delay_alu instid0(VALU_DEP_3) | instskip(NEXT) | instid1(VALU_DEP_4)
	v_mul_u32_u24_e32 v10, 0x10001, v10
	v_mul_u32_u24_e32 v11, 0x10001, v11
	s_delay_alu instid0(VALU_DEP_4) | instskip(NEXT) | instid1(VALU_DEP_4)
	v_mul_u32_u24_e32 v12, 0x10001, v12
	v_mul_u32_u24_e32 v13, 0x10001, v13
	s_wait_dscnt 0x0
	s_delay_alu instid0(VALU_DEP_2) | instskip(SKIP_1) | instid1(VALU_DEP_3)
	v_pk_fma_f16 v6, v4, v12, v6
	v_pk_fma_f16 v8, v4, v10, v8
	;; [unrolled: 1-line block ×4, first 2 shown]
	v_dual_lshrrev_b32 v9, 16, v14 :: v_dual_lshrrev_b32 v10, 16, v15
	v_and_b32_e32 v11, 0xffff, v14
	v_and_b32_e32 v12, 0xffff, v15
	;; [unrolled: 1-line block ×3, first 2 shown]
	s_delay_alu instid0(VALU_DEP_4)
	v_mul_u32_u24_e32 v9, 0x10001, v9
	v_mul_u32_u24_e32 v10, 0x10001, v10
	;; [unrolled: 1-line block ×5, first 2 shown]
	v_pk_fma_f16 v8, v5, v9, v8
	v_pk_fma_f16 v9, v5, v10, v4
	;; [unrolled: 1-line block ×4, first 2 shown]
	ds_load_2addr_b32 v[4:5], v80 offset0:192 offset1:224
	v_dual_lshrrev_b32 v10, 16, v16 :: v_dual_lshrrev_b32 v11, 16, v17
	v_and_b32_e32 v12, 0xffff, v16
	s_delay_alu instid0(VALU_DEP_2) | instskip(NEXT) | instid1(VALU_DEP_3)
	v_mul_u32_u24_e32 v10, 0x10001, v10
	v_mul_u32_u24_e32 v11, 0x10001, v11
	s_delay_alu instid0(VALU_DEP_3) | instskip(SKIP_1) | instid1(VALU_DEP_1)
	v_mul_u32_u24_e32 v12, 0x10001, v12
	s_wait_dscnt 0x0
	v_pk_fma_f16 v6, v4, v12, v6
	v_pk_fma_f16 v8, v4, v10, v8
	v_pk_fma_f16 v7, v4, v13, v7
	v_pk_fma_f16 v4, v4, v11, v9
	v_dual_lshrrev_b32 v9, 16, v18 :: v_dual_lshrrev_b32 v10, 16, v19
	v_and_b32_e32 v11, 0xffff, v18
	v_and_b32_e32 v12, 0xffff, v19
	s_delay_alu instid0(VALU_DEP_3) | instskip(NEXT) | instid1(VALU_DEP_4)
	v_mul_u32_u24_e32 v9, 0x10001, v9
	v_mul_u32_u24_e32 v10, 0x10001, v10
	s_delay_alu instid0(VALU_DEP_4) | instskip(NEXT) | instid1(VALU_DEP_4)
	v_mul_u32_u24_e32 v11, 0x10001, v11
	v_mul_u32_u24_e32 v12, 0x10001, v12
	s_delay_alu instid0(VALU_DEP_4) | instskip(NEXT) | instid1(VALU_DEP_4)
	v_pk_fma_f16 v13, v5, v9, v8
	v_pk_fma_f16 v10, v5, v10, v4
	s_delay_alu instid0(VALU_DEP_4) | instskip(NEXT) | instid1(VALU_DEP_4)
	v_pk_fma_f16 v11, v5, v11, v6
	v_pk_fma_f16 v12, v5, v12, v7
	ds_load_2addr_b32 v[4:5], v105 offset1:32
	ds_load_b128 v[6:9], v94 offset:64
	s_wait_dscnt 0x0
	v_dual_lshrrev_b32 v14, 16, v6 :: v_dual_lshrrev_b32 v15, 16, v7
	v_and_b32_e32 v6, 0xffff, v6
	v_and_b32_e32 v7, 0xffff, v7
	s_delay_alu instid0(VALU_DEP_3) | instskip(NEXT) | instid1(VALU_DEP_4)
	v_mul_u32_u24_e32 v14, 0x10001, v14
	v_mul_u32_u24_e32 v15, 0x10001, v15
	s_delay_alu instid0(VALU_DEP_4) | instskip(NEXT) | instid1(VALU_DEP_4)
	v_mul_u32_u24_e32 v6, 0x10001, v6
	v_mul_u32_u24_e32 v7, 0x10001, v7
	s_delay_alu instid0(VALU_DEP_2) | instskip(SKIP_1) | instid1(VALU_DEP_3)
	v_pk_fma_f16 v6, v4, v6, v11
	v_pk_fma_f16 v11, v4, v14, v13
	v_pk_fma_f16 v7, v4, v7, v12
	v_pk_fma_f16 v4, v4, v15, v10
	v_dual_lshrrev_b32 v10, 16, v8 :: v_dual_lshrrev_b32 v12, 16, v9
	v_and_b32_e32 v8, 0xffff, v8
	v_and_b32_e32 v9, 0xffff, v9
	s_delay_alu instid0(VALU_DEP_3) | instskip(NEXT) | instid1(VALU_DEP_4)
	v_mul_u32_u24_e32 v10, 0x10001, v10
	v_mul_u32_u24_e32 v12, 0x10001, v12
	s_delay_alu instid0(VALU_DEP_4) | instskip(NEXT) | instid1(VALU_DEP_4)
	v_mul_u32_u24_e32 v8, 0x10001, v8
	v_mul_u32_u24_e32 v9, 0x10001, v9
	s_delay_alu instid0(VALU_DEP_4) | instskip(NEXT) | instid1(VALU_DEP_4)
	v_pk_fma_f16 v10, v5, v10, v11
	v_pk_fma_f16 v12, v5, v12, v4
	s_delay_alu instid0(VALU_DEP_4) | instskip(NEXT) | instid1(VALU_DEP_4)
	v_pk_fma_f16 v13, v5, v8, v6
	v_pk_fma_f16 v11, v5, v9, v7
	ds_load_2addr_b32 v[4:5], v105 offset0:64 offset1:96
	ds_load_b128 v[6:9], v94 offset:80
	s_wait_dscnt 0x0
	v_dual_lshrrev_b32 v14, 16, v6 :: v_dual_lshrrev_b32 v15, 16, v7
	v_and_b32_e32 v6, 0xffff, v6
	v_and_b32_e32 v7, 0xffff, v7
	s_delay_alu instid0(VALU_DEP_3) | instskip(NEXT) | instid1(VALU_DEP_4)
	v_mul_u32_u24_e32 v14, 0x10001, v14
	v_mul_u32_u24_e32 v15, 0x10001, v15
	s_delay_alu instid0(VALU_DEP_4) | instskip(NEXT) | instid1(VALU_DEP_4)
	v_mul_u32_u24_e32 v6, 0x10001, v6
	v_mul_u32_u24_e32 v7, 0x10001, v7
	s_delay_alu instid0(VALU_DEP_4) | instskip(NEXT) | instid1(VALU_DEP_3)
	v_pk_fma_f16 v10, v4, v14, v10
	v_pk_fma_f16 v6, v4, v6, v13
	s_delay_alu instid0(VALU_DEP_3) | instskip(SKIP_4) | instid1(VALU_DEP_3)
	v_pk_fma_f16 v7, v4, v7, v11
	v_pk_fma_f16 v4, v4, v15, v12
	v_dual_lshrrev_b32 v11, 16, v8 :: v_dual_lshrrev_b32 v12, 16, v9
	v_and_b32_e32 v8, 0xffff, v8
	v_and_b32_e32 v9, 0xffff, v9
	v_mul_u32_u24_e32 v11, 0x10001, v11
	s_delay_alu instid0(VALU_DEP_4) | instskip(NEXT) | instid1(VALU_DEP_4)
	v_mul_u32_u24_e32 v12, 0x10001, v12
	v_mul_u32_u24_e32 v8, 0x10001, v8
	s_delay_alu instid0(VALU_DEP_4) | instskip(NEXT) | instid1(VALU_DEP_4)
	v_mul_u32_u24_e32 v9, 0x10001, v9
	v_pk_fma_f16 v10, v5, v11, v10
	s_delay_alu instid0(VALU_DEP_4) | instskip(NEXT) | instid1(VALU_DEP_4)
	v_pk_fma_f16 v12, v5, v12, v4
	v_pk_fma_f16 v13, v5, v8, v6
	s_delay_alu instid0(VALU_DEP_4)
	v_pk_fma_f16 v11, v5, v9, v7
	ds_load_2addr_b32 v[8:9], v105 offset0:128 offset1:160
	ds_load_b128 v[4:7], v94 offset:96
	s_wait_dscnt 0x0
	v_dual_lshrrev_b32 v14, 16, v4 :: v_dual_lshrrev_b32 v15, 16, v5
	v_and_b32_e32 v4, 0xffff, v4
	v_and_b32_e32 v5, 0xffff, v5
	s_delay_alu instid0(VALU_DEP_3) | instskip(NEXT) | instid1(VALU_DEP_4)
	v_mul_u32_u24_e32 v14, 0x10001, v14
	v_mul_u32_u24_e32 v15, 0x10001, v15
	s_delay_alu instid0(VALU_DEP_4) | instskip(NEXT) | instid1(VALU_DEP_4)
	v_mul_u32_u24_e32 v4, 0x10001, v4
	v_mul_u32_u24_e32 v5, 0x10001, v5
	s_delay_alu instid0(VALU_DEP_4) | instskip(NEXT) | instid1(VALU_DEP_3)
	v_pk_fma_f16 v10, v8, v14, v10
	v_pk_fma_f16 v4, v8, v4, v13
	s_delay_alu instid0(VALU_DEP_3) | instskip(SKIP_4) | instid1(VALU_DEP_3)
	v_pk_fma_f16 v5, v8, v5, v11
	v_pk_fma_f16 v8, v8, v15, v12
	v_dual_lshrrev_b32 v11, 16, v6 :: v_dual_lshrrev_b32 v12, 16, v7
	v_and_b32_e32 v6, 0xffff, v6
	v_and_b32_e32 v7, 0xffff, v7
	v_mul_u32_u24_e32 v11, 0x10001, v11
	s_delay_alu instid0(VALU_DEP_4) | instskip(NEXT) | instid1(VALU_DEP_4)
	v_mul_u32_u24_e32 v12, 0x10001, v12
	v_mul_u32_u24_e32 v6, 0x10001, v6
	s_delay_alu instid0(VALU_DEP_4) | instskip(NEXT) | instid1(VALU_DEP_4)
	v_mul_u32_u24_e32 v7, 0x10001, v7
	v_pk_fma_f16 v10, v9, v11, v10
	s_delay_alu instid0(VALU_DEP_4) | instskip(NEXT) | instid1(VALU_DEP_4)
	v_pk_fma_f16 v12, v9, v12, v8
	v_pk_fma_f16 v13, v9, v6, v4
	s_delay_alu instid0(VALU_DEP_4)
	v_pk_fma_f16 v11, v9, v7, v5
	ds_load_2addr_b32 v[8:9], v105 offset0:192 offset1:224
	ds_load_b128 v[4:7], v94 offset:112
	s_wait_dscnt 0x0
	v_lshrrev_b32_e32 v15, 16, v5
	v_and_b32_e32 v5, 0xffff, v5
	v_lshrrev_b32_e32 v14, 16, v4
	v_and_b32_e32 v4, 0xffff, v4
	s_delay_alu instid0(VALU_DEP_3) | instskip(NEXT) | instid1(VALU_DEP_3)
	v_mul_u32_u24_e32 v5, 0x10001, v5
	v_mul_u32_u24_e32 v14, 0x10001, v14
	s_delay_alu instid0(VALU_DEP_3) | instskip(NEXT) | instid1(VALU_DEP_3)
	v_mul_u32_u24_e32 v4, 0x10001, v4
	v_pk_fma_f16 v5, v8, v5, v11
	v_lshrrev_b32_e32 v11, 16, v6
	v_mul_u32_u24_e32 v15, 0x10001, v15
	s_delay_alu instid0(VALU_DEP_4)
	v_pk_fma_f16 v4, v8, v4, v13
	v_pk_fma_f16 v10, v8, v14, v10
	v_and_b32_e32 v6, 0xffff, v6
	v_mul_u32_u24_e32 v11, 0x10001, v11
	v_pk_fma_f16 v8, v8, v15, v12
	v_lshrrev_b32_e32 v12, 16, v7
	v_and_b32_e32 v7, 0xffff, v7
	v_mul_u32_u24_e32 v6, 0x10001, v6
	v_pk_fma_f16 v10, v9, v11, v10
	s_delay_alu instid0(VALU_DEP_4) | instskip(NEXT) | instid1(VALU_DEP_4)
	v_mul_u32_u24_e32 v12, 0x10001, v12
	v_mul_u32_u24_e32 v7, 0x10001, v7
	s_delay_alu instid0(VALU_DEP_4) | instskip(NEXT) | instid1(VALU_DEP_3)
	v_pk_fma_f16 v13, v9, v6, v4
	v_pk_fma_f16 v12, v9, v12, v8
	s_delay_alu instid0(VALU_DEP_3)
	v_pk_fma_f16 v11, v9, v7, v5
	ds_load_2addr_b32 v[8:9], v106 offset1:32
	ds_load_b128 v[4:7], v94 offset:128
	s_wait_dscnt 0x0
	v_lshrrev_b32_e32 v15, 16, v5
	v_and_b32_e32 v5, 0xffff, v5
	v_lshrrev_b32_e32 v14, 16, v4
	v_and_b32_e32 v4, 0xffff, v4
	s_delay_alu instid0(VALU_DEP_3) | instskip(NEXT) | instid1(VALU_DEP_3)
	v_mul_u32_u24_e32 v5, 0x10001, v5
	v_mul_u32_u24_e32 v14, 0x10001, v14
	s_delay_alu instid0(VALU_DEP_3) | instskip(NEXT) | instid1(VALU_DEP_3)
	v_mul_u32_u24_e32 v4, 0x10001, v4
	v_pk_fma_f16 v5, v8, v5, v11
	v_lshrrev_b32_e32 v11, 16, v6
	v_mul_u32_u24_e32 v15, 0x10001, v15
	s_delay_alu instid0(VALU_DEP_4)
	v_pk_fma_f16 v4, v8, v4, v13
	v_pk_fma_f16 v10, v8, v14, v10
	v_and_b32_e32 v6, 0xffff, v6
	v_mul_u32_u24_e32 v11, 0x10001, v11
	v_pk_fma_f16 v8, v8, v15, v12
	v_lshrrev_b32_e32 v12, 16, v7
	v_and_b32_e32 v7, 0xffff, v7
	v_mul_u32_u24_e32 v6, 0x10001, v6
	v_pk_fma_f16 v10, v9, v11, v10
	s_delay_alu instid0(VALU_DEP_4) | instskip(NEXT) | instid1(VALU_DEP_4)
	v_mul_u32_u24_e32 v12, 0x10001, v12
	v_mul_u32_u24_e32 v7, 0x10001, v7
	s_delay_alu instid0(VALU_DEP_4) | instskip(NEXT) | instid1(VALU_DEP_3)
	v_pk_fma_f16 v13, v9, v6, v4
	v_pk_fma_f16 v12, v9, v12, v8
	s_delay_alu instid0(VALU_DEP_3)
	v_pk_fma_f16 v11, v9, v7, v5
	ds_load_2addr_b32 v[8:9], v106 offset0:64 offset1:96
	ds_load_b128 v[4:7], v94 offset:144
	s_wait_dscnt 0x0
	v_lshrrev_b32_e32 v15, 16, v5
	v_and_b32_e32 v5, 0xffff, v5
	v_lshrrev_b32_e32 v14, 16, v4
	v_and_b32_e32 v4, 0xffff, v4
	s_delay_alu instid0(VALU_DEP_3) | instskip(NEXT) | instid1(VALU_DEP_3)
	v_mul_u32_u24_e32 v5, 0x10001, v5
	v_mul_u32_u24_e32 v14, 0x10001, v14
	s_delay_alu instid0(VALU_DEP_3) | instskip(NEXT) | instid1(VALU_DEP_3)
	v_mul_u32_u24_e32 v4, 0x10001, v4
	v_pk_fma_f16 v5, v8, v5, v11
	v_lshrrev_b32_e32 v11, 16, v6
	v_mul_u32_u24_e32 v15, 0x10001, v15
	s_delay_alu instid0(VALU_DEP_4)
	v_pk_fma_f16 v4, v8, v4, v13
	v_pk_fma_f16 v10, v8, v14, v10
	v_and_b32_e32 v6, 0xffff, v6
	v_mul_u32_u24_e32 v11, 0x10001, v11
	v_pk_fma_f16 v8, v8, v15, v12
	v_lshrrev_b32_e32 v12, 16, v7
	v_and_b32_e32 v7, 0xffff, v7
	v_mul_u32_u24_e32 v6, 0x10001, v6
	v_pk_fma_f16 v10, v9, v11, v10
	s_delay_alu instid0(VALU_DEP_4) | instskip(NEXT) | instid1(VALU_DEP_4)
	v_mul_u32_u24_e32 v12, 0x10001, v12
	v_mul_u32_u24_e32 v7, 0x10001, v7
	s_delay_alu instid0(VALU_DEP_4) | instskip(NEXT) | instid1(VALU_DEP_3)
	v_pk_fma_f16 v13, v9, v6, v4
	v_pk_fma_f16 v12, v9, v12, v8
	s_delay_alu instid0(VALU_DEP_3)
	v_pk_fma_f16 v11, v9, v7, v5
	ds_load_2addr_b32 v[8:9], v106 offset0:128 offset1:160
	;; [unrolled: 33-line block ×3, first 2 shown]
	ds_load_b128 v[4:7], v94 offset:176
	s_wait_dscnt 0x0
	v_lshrrev_b32_e32 v15, 16, v5
	v_and_b32_e32 v5, 0xffff, v5
	v_lshrrev_b32_e32 v14, 16, v4
	v_and_b32_e32 v4, 0xffff, v4
	s_delay_alu instid0(VALU_DEP_3) | instskip(NEXT) | instid1(VALU_DEP_3)
	v_mul_u32_u24_e32 v5, 0x10001, v5
	v_mul_u32_u24_e32 v14, 0x10001, v14
	s_delay_alu instid0(VALU_DEP_3) | instskip(NEXT) | instid1(VALU_DEP_3)
	v_mul_u32_u24_e32 v4, 0x10001, v4
	v_pk_fma_f16 v5, v8, v5, v11
	v_lshrrev_b32_e32 v11, 16, v6
	v_mul_u32_u24_e32 v15, 0x10001, v15
	s_delay_alu instid0(VALU_DEP_4)
	v_pk_fma_f16 v4, v8, v4, v13
	v_pk_fma_f16 v10, v8, v14, v10
	v_and_b32_e32 v6, 0xffff, v6
	v_mul_u32_u24_e32 v11, 0x10001, v11
	v_pk_fma_f16 v8, v8, v15, v12
	v_lshrrev_b32_e32 v12, 16, v7
	v_and_b32_e32 v7, 0xffff, v7
	v_mul_u32_u24_e32 v6, 0x10001, v6
	v_pk_fma_f16 v10, v9, v11, v10
	s_delay_alu instid0(VALU_DEP_4) | instskip(NEXT) | instid1(VALU_DEP_4)
	v_mul_u32_u24_e32 v12, 0x10001, v12
	v_mul_u32_u24_e32 v7, 0x10001, v7
	s_delay_alu instid0(VALU_DEP_4) | instskip(NEXT) | instid1(VALU_DEP_3)
	v_pk_fma_f16 v13, v9, v6, v4
	v_pk_fma_f16 v12, v9, v12, v8
	s_delay_alu instid0(VALU_DEP_3)
	v_pk_fma_f16 v11, v9, v7, v5
	ds_load_2addr_b32 v[8:9], v107 offset1:32
	ds_load_b128 v[4:7], v94 offset:192
	s_wait_dscnt 0x0
	v_lshrrev_b32_e32 v15, 16, v5
	v_and_b32_e32 v5, 0xffff, v5
	v_lshrrev_b32_e32 v14, 16, v4
	v_and_b32_e32 v4, 0xffff, v4
	s_delay_alu instid0(VALU_DEP_3) | instskip(NEXT) | instid1(VALU_DEP_3)
	v_mul_u32_u24_e32 v5, 0x10001, v5
	v_mul_u32_u24_e32 v14, 0x10001, v14
	s_delay_alu instid0(VALU_DEP_3) | instskip(NEXT) | instid1(VALU_DEP_3)
	v_mul_u32_u24_e32 v4, 0x10001, v4
	v_pk_fma_f16 v5, v8, v5, v11
	v_lshrrev_b32_e32 v11, 16, v6
	v_mul_u32_u24_e32 v15, 0x10001, v15
	s_delay_alu instid0(VALU_DEP_4)
	v_pk_fma_f16 v4, v8, v4, v13
	v_pk_fma_f16 v10, v8, v14, v10
	v_and_b32_e32 v6, 0xffff, v6
	v_mul_u32_u24_e32 v11, 0x10001, v11
	v_pk_fma_f16 v8, v8, v15, v12
	v_lshrrev_b32_e32 v12, 16, v7
	v_and_b32_e32 v7, 0xffff, v7
	v_mul_u32_u24_e32 v6, 0x10001, v6
	v_pk_fma_f16 v10, v9, v11, v10
	s_delay_alu instid0(VALU_DEP_4) | instskip(NEXT) | instid1(VALU_DEP_4)
	v_mul_u32_u24_e32 v12, 0x10001, v12
	v_mul_u32_u24_e32 v7, 0x10001, v7
	s_delay_alu instid0(VALU_DEP_4) | instskip(NEXT) | instid1(VALU_DEP_3)
	v_pk_fma_f16 v13, v9, v6, v4
	v_pk_fma_f16 v12, v9, v12, v8
	s_delay_alu instid0(VALU_DEP_3)
	v_pk_fma_f16 v11, v9, v7, v5
	ds_load_2addr_b32 v[8:9], v107 offset0:64 offset1:96
	ds_load_b128 v[4:7], v94 offset:208
	s_wait_dscnt 0x0
	v_lshrrev_b32_e32 v15, 16, v5
	v_and_b32_e32 v5, 0xffff, v5
	v_lshrrev_b32_e32 v14, 16, v4
	v_and_b32_e32 v4, 0xffff, v4
	s_delay_alu instid0(VALU_DEP_3) | instskip(NEXT) | instid1(VALU_DEP_3)
	v_mul_u32_u24_e32 v5, 0x10001, v5
	v_mul_u32_u24_e32 v14, 0x10001, v14
	s_delay_alu instid0(VALU_DEP_3) | instskip(NEXT) | instid1(VALU_DEP_3)
	v_mul_u32_u24_e32 v4, 0x10001, v4
	v_pk_fma_f16 v5, v8, v5, v11
	v_lshrrev_b32_e32 v11, 16, v6
	v_mul_u32_u24_e32 v15, 0x10001, v15
	s_delay_alu instid0(VALU_DEP_4)
	v_pk_fma_f16 v4, v8, v4, v13
	v_pk_fma_f16 v10, v8, v14, v10
	v_and_b32_e32 v6, 0xffff, v6
	v_mul_u32_u24_e32 v11, 0x10001, v11
	v_pk_fma_f16 v8, v8, v15, v12
	v_lshrrev_b32_e32 v12, 16, v7
	v_and_b32_e32 v7, 0xffff, v7
	v_mul_u32_u24_e32 v6, 0x10001, v6
	v_pk_fma_f16 v10, v9, v11, v10
	s_delay_alu instid0(VALU_DEP_4) | instskip(NEXT) | instid1(VALU_DEP_4)
	v_mul_u32_u24_e32 v12, 0x10001, v12
	v_mul_u32_u24_e32 v7, 0x10001, v7
	s_delay_alu instid0(VALU_DEP_4) | instskip(NEXT) | instid1(VALU_DEP_3)
	v_pk_fma_f16 v13, v9, v6, v4
	v_pk_fma_f16 v12, v9, v12, v8
	s_delay_alu instid0(VALU_DEP_3)
	v_pk_fma_f16 v11, v9, v7, v5
	ds_load_2addr_b32 v[8:9], v107 offset0:128 offset1:160
	;; [unrolled: 33-line block ×3, first 2 shown]
	ds_load_b128 v[4:7], v94 offset:240
	s_wait_dscnt 0x0
	v_lshrrev_b32_e32 v15, 16, v5
	v_and_b32_e32 v5, 0xffff, v5
	v_lshrrev_b32_e32 v14, 16, v4
	v_and_b32_e32 v4, 0xffff, v4
	s_delay_alu instid0(VALU_DEP_3) | instskip(NEXT) | instid1(VALU_DEP_3)
	v_mul_u32_u24_e32 v5, 0x10001, v5
	v_mul_u32_u24_e32 v14, 0x10001, v14
	s_delay_alu instid0(VALU_DEP_3) | instskip(NEXT) | instid1(VALU_DEP_3)
	v_mul_u32_u24_e32 v4, 0x10001, v4
	v_pk_fma_f16 v5, v8, v5, v11
	v_lshrrev_b32_e32 v11, 16, v6
	v_mul_u32_u24_e32 v15, 0x10001, v15
	s_delay_alu instid0(VALU_DEP_4)
	v_pk_fma_f16 v4, v8, v4, v13
	v_pk_fma_f16 v10, v8, v14, v10
	v_and_b32_e32 v6, 0xffff, v6
	v_mul_u32_u24_e32 v11, 0x10001, v11
	v_pk_fma_f16 v8, v8, v15, v12
	v_lshrrev_b32_e32 v12, 16, v7
	v_and_b32_e32 v7, 0xffff, v7
	v_mul_u32_u24_e32 v6, 0x10001, v6
	v_pk_fma_f16 v10, v9, v11, v10
	s_delay_alu instid0(VALU_DEP_4) | instskip(NEXT) | instid1(VALU_DEP_4)
	v_mul_u32_u24_e32 v12, 0x10001, v12
	v_mul_u32_u24_e32 v7, 0x10001, v7
	s_delay_alu instid0(VALU_DEP_4) | instskip(NEXT) | instid1(VALU_DEP_3)
	v_pk_fma_f16 v13, v9, v6, v4
	v_pk_fma_f16 v12, v9, v12, v8
	s_delay_alu instid0(VALU_DEP_3)
	v_pk_fma_f16 v11, v9, v7, v5
	ds_load_2addr_b32 v[8:9], v108 offset1:32
	ds_load_b128 v[4:7], v94 offset:256
	s_wait_dscnt 0x0
	v_lshrrev_b32_e32 v15, 16, v5
	v_and_b32_e32 v5, 0xffff, v5
	v_lshrrev_b32_e32 v14, 16, v4
	v_and_b32_e32 v4, 0xffff, v4
	s_delay_alu instid0(VALU_DEP_3) | instskip(NEXT) | instid1(VALU_DEP_3)
	v_mul_u32_u24_e32 v5, 0x10001, v5
	v_mul_u32_u24_e32 v14, 0x10001, v14
	s_delay_alu instid0(VALU_DEP_3) | instskip(NEXT) | instid1(VALU_DEP_3)
	v_mul_u32_u24_e32 v4, 0x10001, v4
	v_pk_fma_f16 v5, v8, v5, v11
	v_lshrrev_b32_e32 v11, 16, v6
	v_mul_u32_u24_e32 v15, 0x10001, v15
	s_delay_alu instid0(VALU_DEP_4)
	v_pk_fma_f16 v4, v8, v4, v13
	v_pk_fma_f16 v10, v8, v14, v10
	v_and_b32_e32 v6, 0xffff, v6
	v_mul_u32_u24_e32 v11, 0x10001, v11
	v_pk_fma_f16 v8, v8, v15, v12
	v_lshrrev_b32_e32 v12, 16, v7
	v_and_b32_e32 v7, 0xffff, v7
	v_mul_u32_u24_e32 v6, 0x10001, v6
	v_pk_fma_f16 v10, v9, v11, v10
	s_delay_alu instid0(VALU_DEP_4) | instskip(NEXT) | instid1(VALU_DEP_4)
	v_mul_u32_u24_e32 v12, 0x10001, v12
	v_mul_u32_u24_e32 v7, 0x10001, v7
	s_delay_alu instid0(VALU_DEP_4) | instskip(NEXT) | instid1(VALU_DEP_3)
	v_pk_fma_f16 v13, v9, v6, v4
	v_pk_fma_f16 v12, v9, v12, v8
	s_delay_alu instid0(VALU_DEP_3)
	v_pk_fma_f16 v11, v9, v7, v5
	ds_load_2addr_b32 v[8:9], v108 offset0:64 offset1:96
	ds_load_b128 v[4:7], v94 offset:272
	s_wait_dscnt 0x0
	v_lshrrev_b32_e32 v15, 16, v5
	v_and_b32_e32 v5, 0xffff, v5
	v_lshrrev_b32_e32 v14, 16, v4
	v_and_b32_e32 v4, 0xffff, v4
	s_delay_alu instid0(VALU_DEP_3) | instskip(NEXT) | instid1(VALU_DEP_3)
	v_mul_u32_u24_e32 v5, 0x10001, v5
	v_mul_u32_u24_e32 v14, 0x10001, v14
	s_delay_alu instid0(VALU_DEP_3) | instskip(NEXT) | instid1(VALU_DEP_3)
	v_mul_u32_u24_e32 v4, 0x10001, v4
	v_pk_fma_f16 v5, v8, v5, v11
	v_lshrrev_b32_e32 v11, 16, v6
	v_mul_u32_u24_e32 v15, 0x10001, v15
	s_delay_alu instid0(VALU_DEP_4)
	v_pk_fma_f16 v4, v8, v4, v13
	v_pk_fma_f16 v10, v8, v14, v10
	v_and_b32_e32 v6, 0xffff, v6
	v_mul_u32_u24_e32 v11, 0x10001, v11
	v_pk_fma_f16 v8, v8, v15, v12
	v_lshrrev_b32_e32 v12, 16, v7
	v_and_b32_e32 v7, 0xffff, v7
	v_mul_u32_u24_e32 v6, 0x10001, v6
	v_pk_fma_f16 v10, v9, v11, v10
	s_delay_alu instid0(VALU_DEP_4) | instskip(NEXT) | instid1(VALU_DEP_4)
	v_mul_u32_u24_e32 v12, 0x10001, v12
	v_mul_u32_u24_e32 v7, 0x10001, v7
	s_delay_alu instid0(VALU_DEP_4) | instskip(NEXT) | instid1(VALU_DEP_3)
	v_pk_fma_f16 v13, v9, v6, v4
	v_pk_fma_f16 v12, v9, v12, v8
	s_delay_alu instid0(VALU_DEP_3)
	v_pk_fma_f16 v11, v9, v7, v5
	ds_load_2addr_b32 v[8:9], v108 offset0:128 offset1:160
	;; [unrolled: 33-line block ×3, first 2 shown]
	ds_load_b128 v[4:7], v94 offset:304
	s_wait_dscnt 0x0
	v_lshrrev_b32_e32 v15, 16, v5
	v_and_b32_e32 v5, 0xffff, v5
	v_lshrrev_b32_e32 v14, 16, v4
	v_and_b32_e32 v4, 0xffff, v4
	s_delay_alu instid0(VALU_DEP_3) | instskip(NEXT) | instid1(VALU_DEP_3)
	v_mul_u32_u24_e32 v5, 0x10001, v5
	v_mul_u32_u24_e32 v14, 0x10001, v14
	s_delay_alu instid0(VALU_DEP_3) | instskip(NEXT) | instid1(VALU_DEP_3)
	v_mul_u32_u24_e32 v4, 0x10001, v4
	v_pk_fma_f16 v5, v8, v5, v11
	v_lshrrev_b32_e32 v11, 16, v6
	v_mul_u32_u24_e32 v15, 0x10001, v15
	s_delay_alu instid0(VALU_DEP_4)
	v_pk_fma_f16 v4, v8, v4, v13
	v_pk_fma_f16 v10, v8, v14, v10
	v_and_b32_e32 v6, 0xffff, v6
	v_mul_u32_u24_e32 v11, 0x10001, v11
	v_pk_fma_f16 v8, v8, v15, v12
	v_lshrrev_b32_e32 v12, 16, v7
	v_and_b32_e32 v7, 0xffff, v7
	v_mul_u32_u24_e32 v6, 0x10001, v6
	v_pk_fma_f16 v10, v9, v11, v10
	s_delay_alu instid0(VALU_DEP_4) | instskip(NEXT) | instid1(VALU_DEP_4)
	v_mul_u32_u24_e32 v12, 0x10001, v12
	v_mul_u32_u24_e32 v7, 0x10001, v7
	s_delay_alu instid0(VALU_DEP_4) | instskip(NEXT) | instid1(VALU_DEP_3)
	v_pk_fma_f16 v13, v9, v6, v4
	v_pk_fma_f16 v12, v9, v12, v8
	s_delay_alu instid0(VALU_DEP_3)
	v_pk_fma_f16 v11, v9, v7, v5
	ds_load_2addr_b32 v[8:9], v109 offset1:32
	ds_load_b128 v[4:7], v94 offset:320
	s_wait_dscnt 0x0
	v_lshrrev_b32_e32 v15, 16, v5
	v_and_b32_e32 v5, 0xffff, v5
	v_lshrrev_b32_e32 v14, 16, v4
	v_and_b32_e32 v4, 0xffff, v4
	s_delay_alu instid0(VALU_DEP_3) | instskip(NEXT) | instid1(VALU_DEP_3)
	v_mul_u32_u24_e32 v5, 0x10001, v5
	v_mul_u32_u24_e32 v14, 0x10001, v14
	s_delay_alu instid0(VALU_DEP_3) | instskip(NEXT) | instid1(VALU_DEP_3)
	v_mul_u32_u24_e32 v4, 0x10001, v4
	v_pk_fma_f16 v5, v8, v5, v11
	v_lshrrev_b32_e32 v11, 16, v6
	v_mul_u32_u24_e32 v15, 0x10001, v15
	s_delay_alu instid0(VALU_DEP_4)
	v_pk_fma_f16 v4, v8, v4, v13
	v_pk_fma_f16 v10, v8, v14, v10
	v_and_b32_e32 v6, 0xffff, v6
	v_mul_u32_u24_e32 v11, 0x10001, v11
	v_pk_fma_f16 v8, v8, v15, v12
	v_lshrrev_b32_e32 v12, 16, v7
	v_and_b32_e32 v7, 0xffff, v7
	v_mul_u32_u24_e32 v6, 0x10001, v6
	v_pk_fma_f16 v10, v9, v11, v10
	s_delay_alu instid0(VALU_DEP_4) | instskip(NEXT) | instid1(VALU_DEP_4)
	v_mul_u32_u24_e32 v12, 0x10001, v12
	v_mul_u32_u24_e32 v7, 0x10001, v7
	s_delay_alu instid0(VALU_DEP_4) | instskip(NEXT) | instid1(VALU_DEP_3)
	v_pk_fma_f16 v13, v9, v6, v4
	v_pk_fma_f16 v12, v9, v12, v8
	s_delay_alu instid0(VALU_DEP_3)
	v_pk_fma_f16 v11, v9, v7, v5
	ds_load_2addr_b32 v[8:9], v109 offset0:64 offset1:96
	ds_load_b128 v[4:7], v94 offset:336
	s_wait_dscnt 0x0
	v_lshrrev_b32_e32 v15, 16, v5
	v_and_b32_e32 v5, 0xffff, v5
	v_lshrrev_b32_e32 v14, 16, v4
	v_and_b32_e32 v4, 0xffff, v4
	s_delay_alu instid0(VALU_DEP_3) | instskip(NEXT) | instid1(VALU_DEP_3)
	v_mul_u32_u24_e32 v5, 0x10001, v5
	v_mul_u32_u24_e32 v14, 0x10001, v14
	s_delay_alu instid0(VALU_DEP_3) | instskip(NEXT) | instid1(VALU_DEP_3)
	v_mul_u32_u24_e32 v4, 0x10001, v4
	v_pk_fma_f16 v5, v8, v5, v11
	v_lshrrev_b32_e32 v11, 16, v6
	v_mul_u32_u24_e32 v15, 0x10001, v15
	s_delay_alu instid0(VALU_DEP_4)
	v_pk_fma_f16 v4, v8, v4, v13
	v_pk_fma_f16 v10, v8, v14, v10
	v_and_b32_e32 v6, 0xffff, v6
	v_mul_u32_u24_e32 v11, 0x10001, v11
	v_pk_fma_f16 v8, v8, v15, v12
	v_lshrrev_b32_e32 v12, 16, v7
	v_and_b32_e32 v7, 0xffff, v7
	v_mul_u32_u24_e32 v6, 0x10001, v6
	v_pk_fma_f16 v10, v9, v11, v10
	s_delay_alu instid0(VALU_DEP_4) | instskip(NEXT) | instid1(VALU_DEP_4)
	v_mul_u32_u24_e32 v12, 0x10001, v12
	v_mul_u32_u24_e32 v7, 0x10001, v7
	s_delay_alu instid0(VALU_DEP_4) | instskip(NEXT) | instid1(VALU_DEP_3)
	v_pk_fma_f16 v13, v9, v6, v4
	v_pk_fma_f16 v12, v9, v12, v8
	s_delay_alu instid0(VALU_DEP_3)
	v_pk_fma_f16 v11, v9, v7, v5
	ds_load_2addr_b32 v[8:9], v109 offset0:128 offset1:160
	;; [unrolled: 33-line block ×3, first 2 shown]
	ds_load_b128 v[4:7], v94 offset:368
	s_wait_dscnt 0x0
	v_lshrrev_b32_e32 v15, 16, v5
	v_and_b32_e32 v5, 0xffff, v5
	v_lshrrev_b32_e32 v14, 16, v4
	v_and_b32_e32 v4, 0xffff, v4
	s_delay_alu instid0(VALU_DEP_3) | instskip(NEXT) | instid1(VALU_DEP_3)
	v_mul_u32_u24_e32 v5, 0x10001, v5
	v_mul_u32_u24_e32 v14, 0x10001, v14
	s_delay_alu instid0(VALU_DEP_3) | instskip(NEXT) | instid1(VALU_DEP_3)
	v_mul_u32_u24_e32 v4, 0x10001, v4
	v_pk_fma_f16 v5, v8, v5, v11
	v_lshrrev_b32_e32 v11, 16, v6
	v_mul_u32_u24_e32 v15, 0x10001, v15
	s_delay_alu instid0(VALU_DEP_4)
	v_pk_fma_f16 v4, v8, v4, v13
	v_pk_fma_f16 v10, v8, v14, v10
	v_and_b32_e32 v6, 0xffff, v6
	v_mul_u32_u24_e32 v11, 0x10001, v11
	v_pk_fma_f16 v8, v8, v15, v12
	v_lshrrev_b32_e32 v12, 16, v7
	v_and_b32_e32 v7, 0xffff, v7
	v_mul_u32_u24_e32 v6, 0x10001, v6
	v_pk_fma_f16 v10, v9, v11, v10
	s_delay_alu instid0(VALU_DEP_4) | instskip(NEXT) | instid1(VALU_DEP_4)
	v_mul_u32_u24_e32 v12, 0x10001, v12
	v_mul_u32_u24_e32 v7, 0x10001, v7
	s_delay_alu instid0(VALU_DEP_4) | instskip(NEXT) | instid1(VALU_DEP_3)
	v_pk_fma_f16 v13, v9, v6, v4
	v_pk_fma_f16 v12, v9, v12, v8
	s_delay_alu instid0(VALU_DEP_3)
	v_pk_fma_f16 v11, v9, v7, v5
	ds_load_2addr_b32 v[8:9], v110 offset1:32
	ds_load_b128 v[4:7], v94 offset:384
	s_wait_dscnt 0x0
	v_lshrrev_b32_e32 v15, 16, v5
	v_and_b32_e32 v5, 0xffff, v5
	v_lshrrev_b32_e32 v14, 16, v4
	v_and_b32_e32 v4, 0xffff, v4
	s_delay_alu instid0(VALU_DEP_3) | instskip(NEXT) | instid1(VALU_DEP_3)
	v_mul_u32_u24_e32 v5, 0x10001, v5
	v_mul_u32_u24_e32 v14, 0x10001, v14
	s_delay_alu instid0(VALU_DEP_3) | instskip(NEXT) | instid1(VALU_DEP_3)
	v_mul_u32_u24_e32 v4, 0x10001, v4
	v_pk_fma_f16 v5, v8, v5, v11
	v_lshrrev_b32_e32 v11, 16, v6
	v_mul_u32_u24_e32 v15, 0x10001, v15
	s_delay_alu instid0(VALU_DEP_4)
	v_pk_fma_f16 v4, v8, v4, v13
	v_pk_fma_f16 v10, v8, v14, v10
	v_and_b32_e32 v6, 0xffff, v6
	v_mul_u32_u24_e32 v11, 0x10001, v11
	v_pk_fma_f16 v8, v8, v15, v12
	v_lshrrev_b32_e32 v12, 16, v7
	v_and_b32_e32 v7, 0xffff, v7
	v_mul_u32_u24_e32 v6, 0x10001, v6
	v_pk_fma_f16 v10, v9, v11, v10
	s_delay_alu instid0(VALU_DEP_4) | instskip(NEXT) | instid1(VALU_DEP_4)
	v_mul_u32_u24_e32 v12, 0x10001, v12
	v_mul_u32_u24_e32 v7, 0x10001, v7
	s_delay_alu instid0(VALU_DEP_4) | instskip(NEXT) | instid1(VALU_DEP_3)
	v_pk_fma_f16 v13, v9, v6, v4
	v_pk_fma_f16 v12, v9, v12, v8
	s_delay_alu instid0(VALU_DEP_3)
	v_pk_fma_f16 v11, v9, v7, v5
	ds_load_2addr_b32 v[8:9], v110 offset0:64 offset1:96
	ds_load_b128 v[4:7], v94 offset:400
	s_wait_dscnt 0x0
	v_lshrrev_b32_e32 v15, 16, v5
	v_and_b32_e32 v5, 0xffff, v5
	v_lshrrev_b32_e32 v14, 16, v4
	v_and_b32_e32 v4, 0xffff, v4
	s_delay_alu instid0(VALU_DEP_3) | instskip(NEXT) | instid1(VALU_DEP_3)
	v_mul_u32_u24_e32 v5, 0x10001, v5
	v_mul_u32_u24_e32 v14, 0x10001, v14
	s_delay_alu instid0(VALU_DEP_3) | instskip(NEXT) | instid1(VALU_DEP_3)
	v_mul_u32_u24_e32 v4, 0x10001, v4
	v_pk_fma_f16 v5, v8, v5, v11
	v_lshrrev_b32_e32 v11, 16, v6
	v_mul_u32_u24_e32 v15, 0x10001, v15
	s_delay_alu instid0(VALU_DEP_4)
	v_pk_fma_f16 v4, v8, v4, v13
	v_pk_fma_f16 v10, v8, v14, v10
	v_and_b32_e32 v6, 0xffff, v6
	v_mul_u32_u24_e32 v11, 0x10001, v11
	v_pk_fma_f16 v8, v8, v15, v12
	v_lshrrev_b32_e32 v12, 16, v7
	v_and_b32_e32 v7, 0xffff, v7
	v_mul_u32_u24_e32 v6, 0x10001, v6
	v_pk_fma_f16 v10, v9, v11, v10
	s_delay_alu instid0(VALU_DEP_4) | instskip(NEXT) | instid1(VALU_DEP_4)
	v_mul_u32_u24_e32 v12, 0x10001, v12
	v_mul_u32_u24_e32 v7, 0x10001, v7
	s_delay_alu instid0(VALU_DEP_4) | instskip(NEXT) | instid1(VALU_DEP_3)
	v_pk_fma_f16 v13, v9, v6, v4
	v_pk_fma_f16 v12, v9, v12, v8
	s_delay_alu instid0(VALU_DEP_3)
	v_pk_fma_f16 v11, v9, v7, v5
	ds_load_2addr_b32 v[8:9], v110 offset0:128 offset1:160
	;; [unrolled: 33-line block ×3, first 2 shown]
	ds_load_b128 v[4:7], v94 offset:432
	s_wait_dscnt 0x0
	v_lshrrev_b32_e32 v15, 16, v5
	v_and_b32_e32 v5, 0xffff, v5
	v_lshrrev_b32_e32 v14, 16, v4
	v_and_b32_e32 v4, 0xffff, v4
	s_delay_alu instid0(VALU_DEP_3) | instskip(NEXT) | instid1(VALU_DEP_3)
	v_mul_u32_u24_e32 v5, 0x10001, v5
	v_mul_u32_u24_e32 v14, 0x10001, v14
	s_delay_alu instid0(VALU_DEP_3) | instskip(NEXT) | instid1(VALU_DEP_3)
	v_mul_u32_u24_e32 v4, 0x10001, v4
	v_pk_fma_f16 v5, v8, v5, v11
	v_lshrrev_b32_e32 v11, 16, v6
	v_mul_u32_u24_e32 v15, 0x10001, v15
	s_delay_alu instid0(VALU_DEP_4)
	v_pk_fma_f16 v4, v8, v4, v13
	v_pk_fma_f16 v10, v8, v14, v10
	v_and_b32_e32 v6, 0xffff, v6
	v_mul_u32_u24_e32 v11, 0x10001, v11
	v_pk_fma_f16 v8, v8, v15, v12
	v_lshrrev_b32_e32 v12, 16, v7
	v_and_b32_e32 v7, 0xffff, v7
	v_mul_u32_u24_e32 v6, 0x10001, v6
	v_pk_fma_f16 v10, v9, v11, v10
	s_delay_alu instid0(VALU_DEP_4) | instskip(NEXT) | instid1(VALU_DEP_4)
	v_mul_u32_u24_e32 v12, 0x10001, v12
	v_mul_u32_u24_e32 v7, 0x10001, v7
	s_delay_alu instid0(VALU_DEP_4) | instskip(NEXT) | instid1(VALU_DEP_3)
	v_pk_fma_f16 v13, v9, v6, v4
	v_pk_fma_f16 v12, v9, v12, v8
	s_delay_alu instid0(VALU_DEP_3)
	v_pk_fma_f16 v11, v9, v7, v5
	ds_load_2addr_b32 v[8:9], v111 offset1:32
	ds_load_b128 v[4:7], v94 offset:448
	s_wait_dscnt 0x0
	v_lshrrev_b32_e32 v15, 16, v5
	v_and_b32_e32 v5, 0xffff, v5
	v_lshrrev_b32_e32 v14, 16, v4
	v_and_b32_e32 v4, 0xffff, v4
	s_delay_alu instid0(VALU_DEP_3) | instskip(NEXT) | instid1(VALU_DEP_3)
	v_mul_u32_u24_e32 v5, 0x10001, v5
	v_mul_u32_u24_e32 v14, 0x10001, v14
	s_delay_alu instid0(VALU_DEP_3) | instskip(NEXT) | instid1(VALU_DEP_3)
	v_mul_u32_u24_e32 v4, 0x10001, v4
	v_pk_fma_f16 v5, v8, v5, v11
	v_lshrrev_b32_e32 v11, 16, v6
	v_mul_u32_u24_e32 v15, 0x10001, v15
	s_delay_alu instid0(VALU_DEP_4)
	v_pk_fma_f16 v4, v8, v4, v13
	v_pk_fma_f16 v10, v8, v14, v10
	v_and_b32_e32 v6, 0xffff, v6
	v_mul_u32_u24_e32 v11, 0x10001, v11
	v_pk_fma_f16 v8, v8, v15, v12
	v_lshrrev_b32_e32 v12, 16, v7
	v_and_b32_e32 v7, 0xffff, v7
	v_mul_u32_u24_e32 v6, 0x10001, v6
	v_pk_fma_f16 v10, v9, v11, v10
	s_delay_alu instid0(VALU_DEP_4) | instskip(NEXT) | instid1(VALU_DEP_4)
	v_mul_u32_u24_e32 v12, 0x10001, v12
	v_mul_u32_u24_e32 v7, 0x10001, v7
	s_delay_alu instid0(VALU_DEP_4) | instskip(NEXT) | instid1(VALU_DEP_3)
	v_pk_fma_f16 v13, v9, v6, v4
	v_pk_fma_f16 v12, v9, v12, v8
	s_delay_alu instid0(VALU_DEP_3)
	v_pk_fma_f16 v11, v9, v7, v5
	ds_load_2addr_b32 v[8:9], v111 offset0:64 offset1:96
	ds_load_b128 v[4:7], v94 offset:464
	s_wait_dscnt 0x0
	v_lshrrev_b32_e32 v15, 16, v5
	v_and_b32_e32 v5, 0xffff, v5
	v_lshrrev_b32_e32 v14, 16, v4
	v_and_b32_e32 v4, 0xffff, v4
	s_delay_alu instid0(VALU_DEP_3) | instskip(NEXT) | instid1(VALU_DEP_3)
	v_mul_u32_u24_e32 v5, 0x10001, v5
	v_mul_u32_u24_e32 v14, 0x10001, v14
	s_delay_alu instid0(VALU_DEP_3) | instskip(NEXT) | instid1(VALU_DEP_3)
	v_mul_u32_u24_e32 v4, 0x10001, v4
	v_pk_fma_f16 v5, v8, v5, v11
	v_lshrrev_b32_e32 v11, 16, v6
	v_mul_u32_u24_e32 v15, 0x10001, v15
	s_delay_alu instid0(VALU_DEP_4)
	v_pk_fma_f16 v4, v8, v4, v13
	v_pk_fma_f16 v10, v8, v14, v10
	v_and_b32_e32 v6, 0xffff, v6
	v_mul_u32_u24_e32 v11, 0x10001, v11
	v_pk_fma_f16 v8, v8, v15, v12
	v_lshrrev_b32_e32 v12, 16, v7
	v_and_b32_e32 v7, 0xffff, v7
	v_mul_u32_u24_e32 v6, 0x10001, v6
	v_pk_fma_f16 v10, v9, v11, v10
	s_delay_alu instid0(VALU_DEP_4) | instskip(NEXT) | instid1(VALU_DEP_4)
	v_mul_u32_u24_e32 v12, 0x10001, v12
	v_mul_u32_u24_e32 v7, 0x10001, v7
	s_delay_alu instid0(VALU_DEP_4) | instskip(NEXT) | instid1(VALU_DEP_3)
	v_pk_fma_f16 v13, v9, v6, v4
	v_pk_fma_f16 v12, v9, v12, v8
	s_delay_alu instid0(VALU_DEP_3)
	v_pk_fma_f16 v11, v9, v7, v5
	ds_load_2addr_b32 v[8:9], v111 offset0:128 offset1:160
	;; [unrolled: 33-line block ×3, first 2 shown]
	ds_load_b128 v[4:7], v94 offset:496
	s_wait_dscnt 0x0
	v_lshrrev_b32_e32 v15, 16, v5
	v_and_b32_e32 v5, 0xffff, v5
	v_lshrrev_b32_e32 v14, 16, v4
	v_and_b32_e32 v4, 0xffff, v4
	s_delay_alu instid0(VALU_DEP_3) | instskip(NEXT) | instid1(VALU_DEP_3)
	v_mul_u32_u24_e32 v5, 0x10001, v5
	v_mul_u32_u24_e32 v14, 0x10001, v14
	s_delay_alu instid0(VALU_DEP_3) | instskip(NEXT) | instid1(VALU_DEP_3)
	v_mul_u32_u24_e32 v4, 0x10001, v4
	v_pk_fma_f16 v5, v8, v5, v11
	v_lshrrev_b32_e32 v11, 16, v6
	v_mul_u32_u24_e32 v15, 0x10001, v15
	s_delay_alu instid0(VALU_DEP_4)
	v_pk_fma_f16 v4, v8, v4, v13
	v_pk_fma_f16 v10, v8, v14, v10
	v_and_b32_e32 v6, 0xffff, v6
	v_mul_u32_u24_e32 v11, 0x10001, v11
	v_pk_fma_f16 v8, v8, v15, v12
	v_lshrrev_b32_e32 v12, 16, v7
	v_and_b32_e32 v7, 0xffff, v7
	v_mul_u32_u24_e32 v6, 0x10001, v6
	v_pk_fma_f16 v10, v9, v11, v10
	s_delay_alu instid0(VALU_DEP_4) | instskip(NEXT) | instid1(VALU_DEP_4)
	v_mul_u32_u24_e32 v12, 0x10001, v12
	v_mul_u32_u24_e32 v7, 0x10001, v7
	s_delay_alu instid0(VALU_DEP_4) | instskip(NEXT) | instid1(VALU_DEP_3)
	v_pk_fma_f16 v13, v9, v6, v4
	v_pk_fma_f16 v12, v9, v12, v8
	s_delay_alu instid0(VALU_DEP_3)
	v_pk_fma_f16 v11, v9, v7, v5
	ds_load_2addr_b32 v[8:9], v112 offset1:32
	ds_load_b128 v[4:7], v94 offset:512
	s_wait_dscnt 0x0
	v_lshrrev_b32_e32 v15, 16, v5
	v_and_b32_e32 v5, 0xffff, v5
	v_lshrrev_b32_e32 v14, 16, v4
	v_and_b32_e32 v4, 0xffff, v4
	s_delay_alu instid0(VALU_DEP_3) | instskip(NEXT) | instid1(VALU_DEP_3)
	v_mul_u32_u24_e32 v5, 0x10001, v5
	v_mul_u32_u24_e32 v14, 0x10001, v14
	s_delay_alu instid0(VALU_DEP_3) | instskip(NEXT) | instid1(VALU_DEP_3)
	v_mul_u32_u24_e32 v4, 0x10001, v4
	v_pk_fma_f16 v5, v8, v5, v11
	v_lshrrev_b32_e32 v11, 16, v6
	v_mul_u32_u24_e32 v15, 0x10001, v15
	s_delay_alu instid0(VALU_DEP_4)
	v_pk_fma_f16 v4, v8, v4, v13
	v_pk_fma_f16 v10, v8, v14, v10
	v_and_b32_e32 v6, 0xffff, v6
	v_mul_u32_u24_e32 v11, 0x10001, v11
	v_pk_fma_f16 v8, v8, v15, v12
	v_lshrrev_b32_e32 v12, 16, v7
	v_and_b32_e32 v7, 0xffff, v7
	v_mul_u32_u24_e32 v6, 0x10001, v6
	v_pk_fma_f16 v10, v9, v11, v10
	s_delay_alu instid0(VALU_DEP_4) | instskip(NEXT) | instid1(VALU_DEP_4)
	v_mul_u32_u24_e32 v12, 0x10001, v12
	v_mul_u32_u24_e32 v7, 0x10001, v7
	s_delay_alu instid0(VALU_DEP_4) | instskip(NEXT) | instid1(VALU_DEP_3)
	v_pk_fma_f16 v13, v9, v6, v4
	v_pk_fma_f16 v12, v9, v12, v8
	s_delay_alu instid0(VALU_DEP_3)
	v_pk_fma_f16 v11, v9, v7, v5
	ds_load_2addr_b32 v[4:5], v112 offset0:64 offset1:96
	ds_load_b128 v[6:9], v94 offset:528
	s_wait_dscnt 0x0
	v_lshrrev_b32_e32 v15, 16, v7
	v_and_b32_e32 v7, 0xffff, v7
	v_lshrrev_b32_e32 v14, 16, v6
	v_and_b32_e32 v6, 0xffff, v6
	s_delay_alu instid0(VALU_DEP_3) | instskip(NEXT) | instid1(VALU_DEP_3)
	v_mul_u32_u24_e32 v7, 0x10001, v7
	v_mul_u32_u24_e32 v14, 0x10001, v14
	s_delay_alu instid0(VALU_DEP_3) | instskip(NEXT) | instid1(VALU_DEP_3)
	v_mul_u32_u24_e32 v6, 0x10001, v6
	v_pk_fma_f16 v7, v4, v7, v11
	v_lshrrev_b32_e32 v11, 16, v8
	v_mul_u32_u24_e32 v15, 0x10001, v15
	s_delay_alu instid0(VALU_DEP_4)
	v_pk_fma_f16 v6, v4, v6, v13
	v_pk_fma_f16 v10, v4, v14, v10
	v_and_b32_e32 v8, 0xffff, v8
	v_mul_u32_u24_e32 v11, 0x10001, v11
	v_pk_fma_f16 v4, v4, v15, v12
	v_lshrrev_b32_e32 v12, 16, v9
	v_and_b32_e32 v9, 0xffff, v9
	v_mul_u32_u24_e32 v8, 0x10001, v8
	v_pk_fma_f16 v10, v5, v11, v10
	s_delay_alu instid0(VALU_DEP_4) | instskip(NEXT) | instid1(VALU_DEP_4)
	v_mul_u32_u24_e32 v12, 0x10001, v12
	v_mul_u32_u24_e32 v9, 0x10001, v9
	s_delay_alu instid0(VALU_DEP_4) | instskip(NEXT) | instid1(VALU_DEP_3)
	v_pk_fma_f16 v13, v5, v8, v6
	v_pk_fma_f16 v12, v5, v12, v4
	s_delay_alu instid0(VALU_DEP_3)
	v_pk_fma_f16 v11, v5, v9, v7
	ds_load_2addr_b32 v[8:9], v112 offset0:128 offset1:160
	;; [unrolled: 33-line block ×3, first 2 shown]
	ds_load_b128 v[6:9], v94 offset:560
	s_wait_dscnt 0x0
	v_lshrrev_b32_e32 v15, 16, v7
	v_and_b32_e32 v7, 0xffff, v7
	v_lshrrev_b32_e32 v14, 16, v6
	v_and_b32_e32 v6, 0xffff, v6
	s_delay_alu instid0(VALU_DEP_3) | instskip(NEXT) | instid1(VALU_DEP_3)
	v_mul_u32_u24_e32 v7, 0x10001, v7
	v_mul_u32_u24_e32 v14, 0x10001, v14
	s_delay_alu instid0(VALU_DEP_3) | instskip(NEXT) | instid1(VALU_DEP_3)
	v_mul_u32_u24_e32 v6, 0x10001, v6
	v_pk_fma_f16 v7, v4, v7, v11
	v_lshrrev_b32_e32 v11, 16, v8
	v_mul_u32_u24_e32 v15, 0x10001, v15
	s_delay_alu instid0(VALU_DEP_4)
	v_pk_fma_f16 v6, v4, v6, v13
	v_pk_fma_f16 v10, v4, v14, v10
	v_and_b32_e32 v8, 0xffff, v8
	v_mul_u32_u24_e32 v11, 0x10001, v11
	v_pk_fma_f16 v4, v4, v15, v12
	v_lshrrev_b32_e32 v12, 16, v9
	v_and_b32_e32 v9, 0xffff, v9
	v_mul_u32_u24_e32 v8, 0x10001, v8
	v_pk_fma_f16 v10, v5, v11, v10
	s_delay_alu instid0(VALU_DEP_4) | instskip(NEXT) | instid1(VALU_DEP_4)
	v_mul_u32_u24_e32 v12, 0x10001, v12
	v_mul_u32_u24_e32 v9, 0x10001, v9
	s_delay_alu instid0(VALU_DEP_4) | instskip(NEXT) | instid1(VALU_DEP_3)
	v_pk_fma_f16 v13, v5, v8, v6
	v_pk_fma_f16 v12, v5, v12, v4
	s_delay_alu instid0(VALU_DEP_3)
	v_pk_fma_f16 v11, v5, v9, v7
	ds_load_2addr_b32 v[8:9], v113 offset1:32
	ds_load_b128 v[4:7], v94 offset:576
	s_wait_dscnt 0x0
	v_lshrrev_b32_e32 v15, 16, v5
	v_and_b32_e32 v5, 0xffff, v5
	v_lshrrev_b32_e32 v14, 16, v4
	v_and_b32_e32 v4, 0xffff, v4
	s_delay_alu instid0(VALU_DEP_3) | instskip(NEXT) | instid1(VALU_DEP_3)
	v_mul_u32_u24_e32 v5, 0x10001, v5
	v_mul_u32_u24_e32 v14, 0x10001, v14
	s_delay_alu instid0(VALU_DEP_3) | instskip(NEXT) | instid1(VALU_DEP_3)
	v_mul_u32_u24_e32 v4, 0x10001, v4
	v_pk_fma_f16 v5, v8, v5, v11
	v_lshrrev_b32_e32 v11, 16, v6
	v_mul_u32_u24_e32 v15, 0x10001, v15
	s_delay_alu instid0(VALU_DEP_4)
	v_pk_fma_f16 v4, v8, v4, v13
	v_pk_fma_f16 v10, v8, v14, v10
	v_and_b32_e32 v6, 0xffff, v6
	v_mul_u32_u24_e32 v11, 0x10001, v11
	v_pk_fma_f16 v8, v8, v15, v12
	v_lshrrev_b32_e32 v12, 16, v7
	v_and_b32_e32 v7, 0xffff, v7
	v_mul_u32_u24_e32 v6, 0x10001, v6
	v_pk_fma_f16 v10, v9, v11, v10
	s_delay_alu instid0(VALU_DEP_4) | instskip(NEXT) | instid1(VALU_DEP_4)
	v_mul_u32_u24_e32 v12, 0x10001, v12
	v_mul_u32_u24_e32 v7, 0x10001, v7
	s_delay_alu instid0(VALU_DEP_4) | instskip(NEXT) | instid1(VALU_DEP_3)
	v_pk_fma_f16 v13, v9, v6, v4
	v_pk_fma_f16 v12, v9, v12, v8
	s_delay_alu instid0(VALU_DEP_3)
	v_pk_fma_f16 v11, v9, v7, v5
	ds_load_2addr_b32 v[4:5], v113 offset0:64 offset1:96
	ds_load_b128 v[6:9], v94 offset:592
	s_wait_dscnt 0x0
	v_lshrrev_b32_e32 v15, 16, v7
	v_and_b32_e32 v7, 0xffff, v7
	v_lshrrev_b32_e32 v14, 16, v6
	v_and_b32_e32 v6, 0xffff, v6
	s_delay_alu instid0(VALU_DEP_3) | instskip(NEXT) | instid1(VALU_DEP_3)
	v_mul_u32_u24_e32 v7, 0x10001, v7
	v_mul_u32_u24_e32 v14, 0x10001, v14
	s_delay_alu instid0(VALU_DEP_3) | instskip(NEXT) | instid1(VALU_DEP_3)
	v_mul_u32_u24_e32 v6, 0x10001, v6
	v_pk_fma_f16 v7, v4, v7, v11
	v_lshrrev_b32_e32 v11, 16, v8
	v_mul_u32_u24_e32 v15, 0x10001, v15
	s_delay_alu instid0(VALU_DEP_4)
	v_pk_fma_f16 v6, v4, v6, v13
	v_pk_fma_f16 v10, v4, v14, v10
	v_and_b32_e32 v8, 0xffff, v8
	v_mul_u32_u24_e32 v11, 0x10001, v11
	v_pk_fma_f16 v4, v4, v15, v12
	v_lshrrev_b32_e32 v12, 16, v9
	v_and_b32_e32 v9, 0xffff, v9
	v_mul_u32_u24_e32 v8, 0x10001, v8
	v_pk_fma_f16 v10, v5, v11, v10
	s_delay_alu instid0(VALU_DEP_4) | instskip(NEXT) | instid1(VALU_DEP_4)
	v_mul_u32_u24_e32 v12, 0x10001, v12
	v_mul_u32_u24_e32 v9, 0x10001, v9
	s_delay_alu instid0(VALU_DEP_4) | instskip(NEXT) | instid1(VALU_DEP_3)
	v_pk_fma_f16 v13, v5, v8, v6
	v_pk_fma_f16 v12, v5, v12, v4
	s_delay_alu instid0(VALU_DEP_3)
	v_pk_fma_f16 v11, v5, v9, v7
	ds_load_2addr_b32 v[8:9], v113 offset0:128 offset1:160
	;; [unrolled: 33-line block ×3, first 2 shown]
	ds_load_b128 v[6:9], v94 offset:624
	s_wait_dscnt 0x0
	v_lshrrev_b32_e32 v15, 16, v7
	v_and_b32_e32 v7, 0xffff, v7
	v_lshrrev_b32_e32 v14, 16, v6
	v_and_b32_e32 v6, 0xffff, v6
	s_delay_alu instid0(VALU_DEP_3) | instskip(NEXT) | instid1(VALU_DEP_3)
	v_mul_u32_u24_e32 v7, 0x10001, v7
	v_mul_u32_u24_e32 v14, 0x10001, v14
	s_delay_alu instid0(VALU_DEP_3) | instskip(NEXT) | instid1(VALU_DEP_3)
	v_mul_u32_u24_e32 v6, 0x10001, v6
	v_pk_fma_f16 v7, v4, v7, v11
	v_lshrrev_b32_e32 v11, 16, v8
	v_mul_u32_u24_e32 v15, 0x10001, v15
	s_delay_alu instid0(VALU_DEP_4)
	v_pk_fma_f16 v6, v4, v6, v13
	v_pk_fma_f16 v10, v4, v14, v10
	v_and_b32_e32 v8, 0xffff, v8
	v_mul_u32_u24_e32 v11, 0x10001, v11
	v_pk_fma_f16 v4, v4, v15, v12
	v_lshrrev_b32_e32 v12, 16, v9
	v_and_b32_e32 v9, 0xffff, v9
	v_mul_u32_u24_e32 v8, 0x10001, v8
	v_pk_fma_f16 v10, v5, v11, v10
	s_delay_alu instid0(VALU_DEP_4) | instskip(NEXT) | instid1(VALU_DEP_4)
	v_mul_u32_u24_e32 v12, 0x10001, v12
	v_mul_u32_u24_e32 v9, 0x10001, v9
	s_delay_alu instid0(VALU_DEP_4) | instskip(NEXT) | instid1(VALU_DEP_3)
	v_pk_fma_f16 v13, v5, v8, v6
	v_pk_fma_f16 v12, v5, v12, v4
	s_delay_alu instid0(VALU_DEP_3)
	v_pk_fma_f16 v11, v5, v9, v7
	ds_load_2addr_b32 v[8:9], v114 offset1:32
	ds_load_b128 v[4:7], v94 offset:640
	s_wait_dscnt 0x0
	v_lshrrev_b32_e32 v15, 16, v5
	v_and_b32_e32 v5, 0xffff, v5
	v_lshrrev_b32_e32 v14, 16, v4
	v_and_b32_e32 v4, 0xffff, v4
	s_delay_alu instid0(VALU_DEP_3) | instskip(NEXT) | instid1(VALU_DEP_3)
	v_mul_u32_u24_e32 v5, 0x10001, v5
	v_mul_u32_u24_e32 v14, 0x10001, v14
	s_delay_alu instid0(VALU_DEP_3) | instskip(NEXT) | instid1(VALU_DEP_3)
	v_mul_u32_u24_e32 v4, 0x10001, v4
	v_pk_fma_f16 v5, v8, v5, v11
	v_lshrrev_b32_e32 v11, 16, v6
	v_mul_u32_u24_e32 v15, 0x10001, v15
	s_delay_alu instid0(VALU_DEP_4)
	v_pk_fma_f16 v4, v8, v4, v13
	v_pk_fma_f16 v10, v8, v14, v10
	v_and_b32_e32 v6, 0xffff, v6
	v_mul_u32_u24_e32 v11, 0x10001, v11
	v_pk_fma_f16 v8, v8, v15, v12
	v_lshrrev_b32_e32 v12, 16, v7
	v_and_b32_e32 v7, 0xffff, v7
	v_mul_u32_u24_e32 v6, 0x10001, v6
	v_pk_fma_f16 v10, v9, v11, v10
	s_delay_alu instid0(VALU_DEP_4) | instskip(NEXT) | instid1(VALU_DEP_4)
	v_mul_u32_u24_e32 v12, 0x10001, v12
	v_mul_u32_u24_e32 v7, 0x10001, v7
	s_delay_alu instid0(VALU_DEP_4) | instskip(NEXT) | instid1(VALU_DEP_3)
	v_pk_fma_f16 v13, v9, v6, v4
	v_pk_fma_f16 v12, v9, v12, v8
	s_delay_alu instid0(VALU_DEP_3)
	v_pk_fma_f16 v11, v9, v7, v5
	ds_load_2addr_b32 v[4:5], v114 offset0:64 offset1:96
	ds_load_b128 v[6:9], v94 offset:656
	s_wait_dscnt 0x0
	v_lshrrev_b32_e32 v15, 16, v7
	v_and_b32_e32 v7, 0xffff, v7
	v_lshrrev_b32_e32 v14, 16, v6
	v_and_b32_e32 v6, 0xffff, v6
	s_delay_alu instid0(VALU_DEP_3) | instskip(NEXT) | instid1(VALU_DEP_3)
	v_mul_u32_u24_e32 v7, 0x10001, v7
	v_mul_u32_u24_e32 v14, 0x10001, v14
	s_delay_alu instid0(VALU_DEP_3) | instskip(NEXT) | instid1(VALU_DEP_3)
	v_mul_u32_u24_e32 v6, 0x10001, v6
	v_pk_fma_f16 v7, v4, v7, v11
	v_lshrrev_b32_e32 v11, 16, v8
	v_mul_u32_u24_e32 v15, 0x10001, v15
	s_delay_alu instid0(VALU_DEP_4)
	v_pk_fma_f16 v6, v4, v6, v13
	v_pk_fma_f16 v10, v4, v14, v10
	v_and_b32_e32 v8, 0xffff, v8
	v_mul_u32_u24_e32 v11, 0x10001, v11
	v_pk_fma_f16 v4, v4, v15, v12
	v_lshrrev_b32_e32 v12, 16, v9
	v_and_b32_e32 v9, 0xffff, v9
	v_mul_u32_u24_e32 v8, 0x10001, v8
	v_pk_fma_f16 v10, v5, v11, v10
	s_delay_alu instid0(VALU_DEP_4) | instskip(NEXT) | instid1(VALU_DEP_4)
	v_mul_u32_u24_e32 v12, 0x10001, v12
	v_mul_u32_u24_e32 v9, 0x10001, v9
	s_delay_alu instid0(VALU_DEP_4) | instskip(NEXT) | instid1(VALU_DEP_3)
	v_pk_fma_f16 v13, v5, v8, v6
	v_pk_fma_f16 v12, v5, v12, v4
	s_delay_alu instid0(VALU_DEP_3)
	v_pk_fma_f16 v11, v5, v9, v7
	ds_load_2addr_b32 v[8:9], v114 offset0:128 offset1:160
	ds_load_b128 v[4:7], v94 offset:672
	s_wait_dscnt 0x0
	v_lshrrev_b32_e32 v15, 16, v5
	v_and_b32_e32 v5, 0xffff, v5
	v_lshrrev_b32_e32 v14, 16, v4
	v_and_b32_e32 v4, 0xffff, v4
	s_delay_alu instid0(VALU_DEP_3) | instskip(NEXT) | instid1(VALU_DEP_3)
	v_mul_u32_u24_e32 v5, 0x10001, v5
	v_mul_u32_u24_e32 v14, 0x10001, v14
	s_delay_alu instid0(VALU_DEP_3) | instskip(NEXT) | instid1(VALU_DEP_3)
	v_mul_u32_u24_e32 v4, 0x10001, v4
	v_pk_fma_f16 v5, v8, v5, v11
	v_lshrrev_b32_e32 v11, 16, v6
	v_mul_u32_u24_e32 v15, 0x10001, v15
	s_delay_alu instid0(VALU_DEP_4)
	v_pk_fma_f16 v4, v8, v4, v13
	v_pk_fma_f16 v10, v8, v14, v10
	v_and_b32_e32 v6, 0xffff, v6
	v_mul_u32_u24_e32 v11, 0x10001, v11
	v_pk_fma_f16 v8, v8, v15, v12
	v_lshrrev_b32_e32 v12, 16, v7
	v_and_b32_e32 v7, 0xffff, v7
	v_mul_u32_u24_e32 v6, 0x10001, v6
	v_pk_fma_f16 v10, v9, v11, v10
	s_delay_alu instid0(VALU_DEP_4) | instskip(NEXT) | instid1(VALU_DEP_4)
	v_mul_u32_u24_e32 v12, 0x10001, v12
	v_mul_u32_u24_e32 v7, 0x10001, v7
	s_delay_alu instid0(VALU_DEP_4) | instskip(NEXT) | instid1(VALU_DEP_3)
	v_pk_fma_f16 v13, v9, v6, v4
	v_pk_fma_f16 v12, v9, v12, v8
	s_delay_alu instid0(VALU_DEP_3)
	v_pk_fma_f16 v11, v9, v7, v5
	ds_load_2addr_b32 v[4:5], v114 offset0:192 offset1:224
	ds_load_b128 v[6:9], v94 offset:688
	s_wait_dscnt 0x0
	v_lshrrev_b32_e32 v15, 16, v7
	v_and_b32_e32 v7, 0xffff, v7
	v_lshrrev_b32_e32 v14, 16, v6
	v_and_b32_e32 v6, 0xffff, v6
	s_delay_alu instid0(VALU_DEP_3) | instskip(NEXT) | instid1(VALU_DEP_3)
	v_mul_u32_u24_e32 v7, 0x10001, v7
	v_mul_u32_u24_e32 v14, 0x10001, v14
	s_delay_alu instid0(VALU_DEP_3) | instskip(NEXT) | instid1(VALU_DEP_3)
	v_mul_u32_u24_e32 v6, 0x10001, v6
	v_pk_fma_f16 v7, v4, v7, v11
	v_lshrrev_b32_e32 v11, 16, v8
	v_mul_u32_u24_e32 v15, 0x10001, v15
	s_delay_alu instid0(VALU_DEP_4)
	v_pk_fma_f16 v6, v4, v6, v13
	v_pk_fma_f16 v10, v4, v14, v10
	v_and_b32_e32 v8, 0xffff, v8
	v_mul_u32_u24_e32 v11, 0x10001, v11
	v_pk_fma_f16 v4, v4, v15, v12
	v_lshrrev_b32_e32 v12, 16, v9
	v_and_b32_e32 v9, 0xffff, v9
	v_mul_u32_u24_e32 v8, 0x10001, v8
	v_pk_fma_f16 v10, v5, v11, v10
	s_delay_alu instid0(VALU_DEP_4) | instskip(NEXT) | instid1(VALU_DEP_4)
	v_mul_u32_u24_e32 v12, 0x10001, v12
	v_mul_u32_u24_e32 v9, 0x10001, v9
	s_delay_alu instid0(VALU_DEP_4) | instskip(NEXT) | instid1(VALU_DEP_3)
	v_pk_fma_f16 v13, v5, v8, v6
	v_pk_fma_f16 v12, v5, v12, v4
	s_delay_alu instid0(VALU_DEP_3)
	v_pk_fma_f16 v11, v5, v9, v7
	ds_load_2addr_b32 v[8:9], v115 offset1:32
	ds_load_b128 v[4:7], v94 offset:704
	s_wait_dscnt 0x0
	v_lshrrev_b32_e32 v15, 16, v5
	v_and_b32_e32 v5, 0xffff, v5
	v_lshrrev_b32_e32 v14, 16, v4
	v_and_b32_e32 v4, 0xffff, v4
	s_delay_alu instid0(VALU_DEP_3) | instskip(NEXT) | instid1(VALU_DEP_3)
	v_mul_u32_u24_e32 v5, 0x10001, v5
	v_mul_u32_u24_e32 v14, 0x10001, v14
	s_delay_alu instid0(VALU_DEP_3) | instskip(NEXT) | instid1(VALU_DEP_3)
	v_mul_u32_u24_e32 v4, 0x10001, v4
	v_pk_fma_f16 v5, v8, v5, v11
	v_lshrrev_b32_e32 v11, 16, v6
	v_mul_u32_u24_e32 v15, 0x10001, v15
	s_delay_alu instid0(VALU_DEP_4)
	v_pk_fma_f16 v4, v8, v4, v13
	v_pk_fma_f16 v10, v8, v14, v10
	v_and_b32_e32 v6, 0xffff, v6
	v_mul_u32_u24_e32 v11, 0x10001, v11
	v_pk_fma_f16 v8, v8, v15, v12
	v_lshrrev_b32_e32 v12, 16, v7
	v_and_b32_e32 v7, 0xffff, v7
	v_mul_u32_u24_e32 v6, 0x10001, v6
	v_pk_fma_f16 v10, v9, v11, v10
	s_delay_alu instid0(VALU_DEP_4) | instskip(NEXT) | instid1(VALU_DEP_4)
	v_mul_u32_u24_e32 v12, 0x10001, v12
	v_mul_u32_u24_e32 v7, 0x10001, v7
	s_delay_alu instid0(VALU_DEP_4) | instskip(NEXT) | instid1(VALU_DEP_3)
	v_pk_fma_f16 v13, v9, v6, v4
	v_pk_fma_f16 v12, v9, v12, v8
	s_delay_alu instid0(VALU_DEP_3)
	v_pk_fma_f16 v11, v9, v7, v5
	ds_load_2addr_b32 v[4:5], v115 offset0:64 offset1:96
	ds_load_b128 v[6:9], v94 offset:720
	s_wait_dscnt 0x0
	v_lshrrev_b32_e32 v15, 16, v7
	v_and_b32_e32 v7, 0xffff, v7
	v_lshrrev_b32_e32 v14, 16, v6
	v_and_b32_e32 v6, 0xffff, v6
	s_delay_alu instid0(VALU_DEP_3) | instskip(NEXT) | instid1(VALU_DEP_3)
	v_mul_u32_u24_e32 v7, 0x10001, v7
	v_mul_u32_u24_e32 v14, 0x10001, v14
	s_delay_alu instid0(VALU_DEP_3) | instskip(NEXT) | instid1(VALU_DEP_3)
	v_mul_u32_u24_e32 v6, 0x10001, v6
	v_pk_fma_f16 v7, v4, v7, v11
	v_lshrrev_b32_e32 v11, 16, v8
	v_mul_u32_u24_e32 v15, 0x10001, v15
	s_delay_alu instid0(VALU_DEP_4)
	v_pk_fma_f16 v6, v4, v6, v13
	v_pk_fma_f16 v10, v4, v14, v10
	v_and_b32_e32 v8, 0xffff, v8
	v_mul_u32_u24_e32 v11, 0x10001, v11
	v_pk_fma_f16 v4, v4, v15, v12
	v_lshrrev_b32_e32 v12, 16, v9
	v_and_b32_e32 v9, 0xffff, v9
	v_mul_u32_u24_e32 v8, 0x10001, v8
	v_pk_fma_f16 v10, v5, v11, v10
	s_delay_alu instid0(VALU_DEP_4) | instskip(NEXT) | instid1(VALU_DEP_4)
	v_mul_u32_u24_e32 v12, 0x10001, v12
	v_mul_u32_u24_e32 v9, 0x10001, v9
	s_delay_alu instid0(VALU_DEP_4) | instskip(NEXT) | instid1(VALU_DEP_3)
	v_pk_fma_f16 v13, v5, v8, v6
	v_pk_fma_f16 v12, v5, v12, v4
	s_delay_alu instid0(VALU_DEP_3)
	v_pk_fma_f16 v11, v5, v9, v7
	ds_load_2addr_b32 v[8:9], v115 offset0:128 offset1:160
	;; [unrolled: 33-line block ×3, first 2 shown]
	ds_load_b128 v[6:9], v94 offset:752
	s_wait_dscnt 0x0
	v_lshrrev_b32_e32 v15, 16, v7
	v_and_b32_e32 v7, 0xffff, v7
	v_lshrrev_b32_e32 v14, 16, v6
	v_and_b32_e32 v6, 0xffff, v6
	s_delay_alu instid0(VALU_DEP_3) | instskip(NEXT) | instid1(VALU_DEP_3)
	v_mul_u32_u24_e32 v7, 0x10001, v7
	v_mul_u32_u24_e32 v14, 0x10001, v14
	s_delay_alu instid0(VALU_DEP_3) | instskip(NEXT) | instid1(VALU_DEP_3)
	v_mul_u32_u24_e32 v6, 0x10001, v6
	v_pk_fma_f16 v7, v4, v7, v11
	v_lshrrev_b32_e32 v11, 16, v8
	v_mul_u32_u24_e32 v15, 0x10001, v15
	s_delay_alu instid0(VALU_DEP_4)
	v_pk_fma_f16 v6, v4, v6, v13
	v_pk_fma_f16 v10, v4, v14, v10
	v_and_b32_e32 v8, 0xffff, v8
	v_mul_u32_u24_e32 v11, 0x10001, v11
	v_pk_fma_f16 v4, v4, v15, v12
	v_lshrrev_b32_e32 v12, 16, v9
	v_and_b32_e32 v9, 0xffff, v9
	v_mul_u32_u24_e32 v8, 0x10001, v8
	v_pk_fma_f16 v10, v5, v11, v10
	s_delay_alu instid0(VALU_DEP_4) | instskip(NEXT) | instid1(VALU_DEP_4)
	v_mul_u32_u24_e32 v12, 0x10001, v12
	v_mul_u32_u24_e32 v9, 0x10001, v9
	s_delay_alu instid0(VALU_DEP_4) | instskip(NEXT) | instid1(VALU_DEP_3)
	v_pk_fma_f16 v13, v5, v8, v6
	v_pk_fma_f16 v12, v5, v12, v4
	s_delay_alu instid0(VALU_DEP_3)
	v_pk_fma_f16 v11, v5, v9, v7
	ds_load_2addr_b32 v[8:9], v116 offset1:32
	ds_load_b128 v[4:7], v94 offset:768
	s_wait_dscnt 0x0
	v_lshrrev_b32_e32 v15, 16, v5
	v_and_b32_e32 v5, 0xffff, v5
	v_lshrrev_b32_e32 v14, 16, v4
	v_and_b32_e32 v4, 0xffff, v4
	s_delay_alu instid0(VALU_DEP_3) | instskip(NEXT) | instid1(VALU_DEP_3)
	v_mul_u32_u24_e32 v5, 0x10001, v5
	v_mul_u32_u24_e32 v14, 0x10001, v14
	s_delay_alu instid0(VALU_DEP_3) | instskip(NEXT) | instid1(VALU_DEP_3)
	v_mul_u32_u24_e32 v4, 0x10001, v4
	v_pk_fma_f16 v5, v8, v5, v11
	v_lshrrev_b32_e32 v11, 16, v6
	v_mul_u32_u24_e32 v15, 0x10001, v15
	s_delay_alu instid0(VALU_DEP_4)
	v_pk_fma_f16 v4, v8, v4, v13
	v_pk_fma_f16 v10, v8, v14, v10
	v_and_b32_e32 v6, 0xffff, v6
	v_mul_u32_u24_e32 v11, 0x10001, v11
	v_pk_fma_f16 v8, v8, v15, v12
	v_lshrrev_b32_e32 v12, 16, v7
	v_and_b32_e32 v7, 0xffff, v7
	v_mul_u32_u24_e32 v6, 0x10001, v6
	v_pk_fma_f16 v10, v9, v11, v10
	s_delay_alu instid0(VALU_DEP_4) | instskip(NEXT) | instid1(VALU_DEP_4)
	v_mul_u32_u24_e32 v12, 0x10001, v12
	v_mul_u32_u24_e32 v7, 0x10001, v7
	s_delay_alu instid0(VALU_DEP_4) | instskip(NEXT) | instid1(VALU_DEP_3)
	v_pk_fma_f16 v13, v9, v6, v4
	v_pk_fma_f16 v12, v9, v12, v8
	s_delay_alu instid0(VALU_DEP_3)
	v_pk_fma_f16 v11, v9, v7, v5
	ds_load_2addr_b32 v[4:5], v116 offset0:64 offset1:96
	ds_load_b128 v[6:9], v94 offset:784
	s_wait_dscnt 0x0
	v_lshrrev_b32_e32 v15, 16, v7
	v_and_b32_e32 v7, 0xffff, v7
	v_lshrrev_b32_e32 v14, 16, v6
	v_and_b32_e32 v6, 0xffff, v6
	s_delay_alu instid0(VALU_DEP_3) | instskip(NEXT) | instid1(VALU_DEP_3)
	v_mul_u32_u24_e32 v7, 0x10001, v7
	v_mul_u32_u24_e32 v14, 0x10001, v14
	s_delay_alu instid0(VALU_DEP_3) | instskip(NEXT) | instid1(VALU_DEP_3)
	v_mul_u32_u24_e32 v6, 0x10001, v6
	v_pk_fma_f16 v7, v4, v7, v11
	v_lshrrev_b32_e32 v11, 16, v8
	v_mul_u32_u24_e32 v15, 0x10001, v15
	s_delay_alu instid0(VALU_DEP_4)
	v_pk_fma_f16 v6, v4, v6, v13
	v_pk_fma_f16 v10, v4, v14, v10
	v_and_b32_e32 v8, 0xffff, v8
	v_mul_u32_u24_e32 v11, 0x10001, v11
	v_pk_fma_f16 v4, v4, v15, v12
	v_lshrrev_b32_e32 v12, 16, v9
	v_and_b32_e32 v9, 0xffff, v9
	v_mul_u32_u24_e32 v8, 0x10001, v8
	v_pk_fma_f16 v10, v5, v11, v10
	s_delay_alu instid0(VALU_DEP_4) | instskip(NEXT) | instid1(VALU_DEP_4)
	v_mul_u32_u24_e32 v12, 0x10001, v12
	v_mul_u32_u24_e32 v9, 0x10001, v9
	s_delay_alu instid0(VALU_DEP_4) | instskip(NEXT) | instid1(VALU_DEP_3)
	v_pk_fma_f16 v13, v5, v8, v6
	v_pk_fma_f16 v12, v5, v12, v4
	s_delay_alu instid0(VALU_DEP_3)
	v_pk_fma_f16 v11, v5, v9, v7
	ds_load_2addr_b32 v[8:9], v116 offset0:128 offset1:160
	ds_load_b128 v[4:7], v94 offset:800
	s_wait_dscnt 0x0
	v_lshrrev_b32_e32 v15, 16, v5
	v_and_b32_e32 v5, 0xffff, v5
	v_lshrrev_b32_e32 v14, 16, v4
	v_and_b32_e32 v4, 0xffff, v4
	s_delay_alu instid0(VALU_DEP_3) | instskip(NEXT) | instid1(VALU_DEP_3)
	v_mul_u32_u24_e32 v5, 0x10001, v5
	v_mul_u32_u24_e32 v14, 0x10001, v14
	s_delay_alu instid0(VALU_DEP_3) | instskip(NEXT) | instid1(VALU_DEP_3)
	v_mul_u32_u24_e32 v4, 0x10001, v4
	v_pk_fma_f16 v5, v8, v5, v11
	v_lshrrev_b32_e32 v11, 16, v6
	v_mul_u32_u24_e32 v15, 0x10001, v15
	s_delay_alu instid0(VALU_DEP_4)
	v_pk_fma_f16 v4, v8, v4, v13
	v_pk_fma_f16 v10, v8, v14, v10
	v_and_b32_e32 v6, 0xffff, v6
	v_mul_u32_u24_e32 v11, 0x10001, v11
	v_pk_fma_f16 v8, v8, v15, v12
	v_lshrrev_b32_e32 v12, 16, v7
	v_and_b32_e32 v7, 0xffff, v7
	v_mul_u32_u24_e32 v6, 0x10001, v6
	v_pk_fma_f16 v10, v9, v11, v10
	s_delay_alu instid0(VALU_DEP_4) | instskip(NEXT) | instid1(VALU_DEP_4)
	v_mul_u32_u24_e32 v12, 0x10001, v12
	v_mul_u32_u24_e32 v7, 0x10001, v7
	s_delay_alu instid0(VALU_DEP_4) | instskip(NEXT) | instid1(VALU_DEP_3)
	v_pk_fma_f16 v13, v9, v6, v4
	v_pk_fma_f16 v12, v9, v12, v8
	s_delay_alu instid0(VALU_DEP_3)
	v_pk_fma_f16 v11, v9, v7, v5
	ds_load_2addr_b32 v[4:5], v116 offset0:192 offset1:224
	ds_load_b128 v[6:9], v94 offset:816
	s_wait_dscnt 0x0
	v_lshrrev_b32_e32 v15, 16, v7
	v_and_b32_e32 v7, 0xffff, v7
	v_lshrrev_b32_e32 v14, 16, v6
	v_and_b32_e32 v6, 0xffff, v6
	s_delay_alu instid0(VALU_DEP_3) | instskip(NEXT) | instid1(VALU_DEP_3)
	v_mul_u32_u24_e32 v7, 0x10001, v7
	v_mul_u32_u24_e32 v14, 0x10001, v14
	s_delay_alu instid0(VALU_DEP_3) | instskip(NEXT) | instid1(VALU_DEP_3)
	v_mul_u32_u24_e32 v6, 0x10001, v6
	v_pk_fma_f16 v7, v4, v7, v11
	v_lshrrev_b32_e32 v11, 16, v8
	v_mul_u32_u24_e32 v15, 0x10001, v15
	s_delay_alu instid0(VALU_DEP_4)
	v_pk_fma_f16 v6, v4, v6, v13
	v_pk_fma_f16 v10, v4, v14, v10
	v_and_b32_e32 v8, 0xffff, v8
	v_mul_u32_u24_e32 v11, 0x10001, v11
	v_pk_fma_f16 v4, v4, v15, v12
	v_lshrrev_b32_e32 v12, 16, v9
	v_and_b32_e32 v9, 0xffff, v9
	v_mul_u32_u24_e32 v8, 0x10001, v8
	v_pk_fma_f16 v10, v5, v11, v10
	s_delay_alu instid0(VALU_DEP_4) | instskip(NEXT) | instid1(VALU_DEP_4)
	v_mul_u32_u24_e32 v12, 0x10001, v12
	v_mul_u32_u24_e32 v9, 0x10001, v9
	s_delay_alu instid0(VALU_DEP_4) | instskip(NEXT) | instid1(VALU_DEP_3)
	v_pk_fma_f16 v13, v5, v8, v6
	v_pk_fma_f16 v12, v5, v12, v4
	s_delay_alu instid0(VALU_DEP_3)
	v_pk_fma_f16 v11, v5, v9, v7
	ds_load_2addr_b32 v[8:9], v117 offset1:32
	ds_load_b128 v[4:7], v94 offset:832
	s_wait_dscnt 0x0
	v_lshrrev_b32_e32 v15, 16, v5
	v_and_b32_e32 v5, 0xffff, v5
	v_lshrrev_b32_e32 v14, 16, v4
	v_and_b32_e32 v4, 0xffff, v4
	s_delay_alu instid0(VALU_DEP_3) | instskip(NEXT) | instid1(VALU_DEP_3)
	v_mul_u32_u24_e32 v5, 0x10001, v5
	v_mul_u32_u24_e32 v14, 0x10001, v14
	s_delay_alu instid0(VALU_DEP_3) | instskip(NEXT) | instid1(VALU_DEP_3)
	v_mul_u32_u24_e32 v4, 0x10001, v4
	v_pk_fma_f16 v5, v8, v5, v11
	v_lshrrev_b32_e32 v11, 16, v6
	v_mul_u32_u24_e32 v15, 0x10001, v15
	s_delay_alu instid0(VALU_DEP_4)
	v_pk_fma_f16 v4, v8, v4, v13
	v_pk_fma_f16 v10, v8, v14, v10
	v_and_b32_e32 v6, 0xffff, v6
	v_mul_u32_u24_e32 v11, 0x10001, v11
	v_pk_fma_f16 v8, v8, v15, v12
	v_lshrrev_b32_e32 v12, 16, v7
	v_and_b32_e32 v7, 0xffff, v7
	v_mul_u32_u24_e32 v6, 0x10001, v6
	v_pk_fma_f16 v10, v9, v11, v10
	s_delay_alu instid0(VALU_DEP_4) | instskip(NEXT) | instid1(VALU_DEP_4)
	v_mul_u32_u24_e32 v12, 0x10001, v12
	v_mul_u32_u24_e32 v7, 0x10001, v7
	s_delay_alu instid0(VALU_DEP_4) | instskip(NEXT) | instid1(VALU_DEP_3)
	v_pk_fma_f16 v13, v9, v6, v4
	v_pk_fma_f16 v12, v9, v12, v8
	s_delay_alu instid0(VALU_DEP_3)
	v_pk_fma_f16 v11, v9, v7, v5
	ds_load_2addr_b32 v[4:5], v117 offset0:64 offset1:96
	ds_load_b128 v[6:9], v94 offset:848
	s_wait_dscnt 0x0
	v_lshrrev_b32_e32 v15, 16, v7
	v_and_b32_e32 v7, 0xffff, v7
	v_lshrrev_b32_e32 v14, 16, v6
	v_and_b32_e32 v6, 0xffff, v6
	s_delay_alu instid0(VALU_DEP_3) | instskip(NEXT) | instid1(VALU_DEP_3)
	v_mul_u32_u24_e32 v7, 0x10001, v7
	v_mul_u32_u24_e32 v14, 0x10001, v14
	s_delay_alu instid0(VALU_DEP_3) | instskip(NEXT) | instid1(VALU_DEP_3)
	v_mul_u32_u24_e32 v6, 0x10001, v6
	v_pk_fma_f16 v7, v4, v7, v11
	v_lshrrev_b32_e32 v11, 16, v8
	v_mul_u32_u24_e32 v15, 0x10001, v15
	s_delay_alu instid0(VALU_DEP_4)
	v_pk_fma_f16 v6, v4, v6, v13
	v_pk_fma_f16 v10, v4, v14, v10
	v_and_b32_e32 v8, 0xffff, v8
	v_mul_u32_u24_e32 v11, 0x10001, v11
	v_pk_fma_f16 v4, v4, v15, v12
	v_lshrrev_b32_e32 v12, 16, v9
	v_and_b32_e32 v9, 0xffff, v9
	v_mul_u32_u24_e32 v8, 0x10001, v8
	v_pk_fma_f16 v10, v5, v11, v10
	s_delay_alu instid0(VALU_DEP_4) | instskip(NEXT) | instid1(VALU_DEP_4)
	v_mul_u32_u24_e32 v12, 0x10001, v12
	v_mul_u32_u24_e32 v9, 0x10001, v9
	s_delay_alu instid0(VALU_DEP_4) | instskip(NEXT) | instid1(VALU_DEP_3)
	v_pk_fma_f16 v13, v5, v8, v6
	v_pk_fma_f16 v12, v5, v12, v4
	s_delay_alu instid0(VALU_DEP_3)
	v_pk_fma_f16 v11, v5, v9, v7
	ds_load_2addr_b32 v[8:9], v117 offset0:128 offset1:160
	;; [unrolled: 33-line block ×3, first 2 shown]
	ds_load_b128 v[6:9], v94 offset:880
	s_wait_dscnt 0x0
	v_lshrrev_b32_e32 v15, 16, v7
	v_and_b32_e32 v7, 0xffff, v7
	v_lshrrev_b32_e32 v14, 16, v6
	v_and_b32_e32 v6, 0xffff, v6
	s_delay_alu instid0(VALU_DEP_3) | instskip(NEXT) | instid1(VALU_DEP_3)
	v_mul_u32_u24_e32 v7, 0x10001, v7
	v_mul_u32_u24_e32 v14, 0x10001, v14
	s_delay_alu instid0(VALU_DEP_3) | instskip(NEXT) | instid1(VALU_DEP_3)
	v_mul_u32_u24_e32 v6, 0x10001, v6
	v_pk_fma_f16 v7, v4, v7, v11
	v_lshrrev_b32_e32 v11, 16, v8
	v_mul_u32_u24_e32 v15, 0x10001, v15
	s_delay_alu instid0(VALU_DEP_4)
	v_pk_fma_f16 v6, v4, v6, v13
	v_pk_fma_f16 v10, v4, v14, v10
	v_and_b32_e32 v8, 0xffff, v8
	v_mul_u32_u24_e32 v11, 0x10001, v11
	v_pk_fma_f16 v4, v4, v15, v12
	v_lshrrev_b32_e32 v12, 16, v9
	v_and_b32_e32 v9, 0xffff, v9
	v_mul_u32_u24_e32 v8, 0x10001, v8
	v_pk_fma_f16 v10, v5, v11, v10
	s_delay_alu instid0(VALU_DEP_4) | instskip(NEXT) | instid1(VALU_DEP_4)
	v_mul_u32_u24_e32 v12, 0x10001, v12
	v_mul_u32_u24_e32 v9, 0x10001, v9
	s_delay_alu instid0(VALU_DEP_4) | instskip(NEXT) | instid1(VALU_DEP_3)
	v_pk_fma_f16 v13, v5, v8, v6
	v_pk_fma_f16 v12, v5, v12, v4
	s_delay_alu instid0(VALU_DEP_3)
	v_pk_fma_f16 v11, v5, v9, v7
	ds_load_2addr_b32 v[8:9], v118 offset1:32
	ds_load_b128 v[4:7], v94 offset:896
	s_wait_dscnt 0x0
	v_lshrrev_b32_e32 v15, 16, v5
	v_and_b32_e32 v5, 0xffff, v5
	v_lshrrev_b32_e32 v14, 16, v4
	v_and_b32_e32 v4, 0xffff, v4
	s_delay_alu instid0(VALU_DEP_3) | instskip(NEXT) | instid1(VALU_DEP_3)
	v_mul_u32_u24_e32 v5, 0x10001, v5
	v_mul_u32_u24_e32 v14, 0x10001, v14
	s_delay_alu instid0(VALU_DEP_3) | instskip(NEXT) | instid1(VALU_DEP_3)
	v_mul_u32_u24_e32 v4, 0x10001, v4
	v_pk_fma_f16 v5, v8, v5, v11
	v_lshrrev_b32_e32 v11, 16, v6
	v_mul_u32_u24_e32 v15, 0x10001, v15
	s_delay_alu instid0(VALU_DEP_4)
	v_pk_fma_f16 v4, v8, v4, v13
	v_pk_fma_f16 v10, v8, v14, v10
	v_and_b32_e32 v6, 0xffff, v6
	v_mul_u32_u24_e32 v11, 0x10001, v11
	v_pk_fma_f16 v8, v8, v15, v12
	v_lshrrev_b32_e32 v12, 16, v7
	v_and_b32_e32 v7, 0xffff, v7
	v_mul_u32_u24_e32 v6, 0x10001, v6
	v_pk_fma_f16 v10, v9, v11, v10
	s_delay_alu instid0(VALU_DEP_4) | instskip(NEXT) | instid1(VALU_DEP_4)
	v_mul_u32_u24_e32 v12, 0x10001, v12
	v_mul_u32_u24_e32 v7, 0x10001, v7
	s_delay_alu instid0(VALU_DEP_4) | instskip(NEXT) | instid1(VALU_DEP_3)
	v_pk_fma_f16 v13, v9, v6, v4
	v_pk_fma_f16 v12, v9, v12, v8
	s_delay_alu instid0(VALU_DEP_3)
	v_pk_fma_f16 v11, v9, v7, v5
	ds_load_2addr_b32 v[4:5], v118 offset0:64 offset1:96
	ds_load_b128 v[6:9], v94 offset:912
	s_wait_dscnt 0x0
	v_lshrrev_b32_e32 v15, 16, v7
	v_and_b32_e32 v7, 0xffff, v7
	v_lshrrev_b32_e32 v14, 16, v6
	v_and_b32_e32 v6, 0xffff, v6
	s_delay_alu instid0(VALU_DEP_3) | instskip(NEXT) | instid1(VALU_DEP_3)
	v_mul_u32_u24_e32 v7, 0x10001, v7
	v_mul_u32_u24_e32 v14, 0x10001, v14
	s_delay_alu instid0(VALU_DEP_3) | instskip(NEXT) | instid1(VALU_DEP_3)
	v_mul_u32_u24_e32 v6, 0x10001, v6
	v_pk_fma_f16 v7, v4, v7, v11
	v_lshrrev_b32_e32 v11, 16, v8
	v_mul_u32_u24_e32 v15, 0x10001, v15
	s_delay_alu instid0(VALU_DEP_4)
	v_pk_fma_f16 v6, v4, v6, v13
	v_pk_fma_f16 v10, v4, v14, v10
	v_and_b32_e32 v8, 0xffff, v8
	v_mul_u32_u24_e32 v11, 0x10001, v11
	v_pk_fma_f16 v4, v4, v15, v12
	v_lshrrev_b32_e32 v12, 16, v9
	v_and_b32_e32 v9, 0xffff, v9
	v_mul_u32_u24_e32 v8, 0x10001, v8
	v_pk_fma_f16 v10, v5, v11, v10
	s_delay_alu instid0(VALU_DEP_4) | instskip(NEXT) | instid1(VALU_DEP_4)
	v_mul_u32_u24_e32 v12, 0x10001, v12
	v_mul_u32_u24_e32 v9, 0x10001, v9
	s_delay_alu instid0(VALU_DEP_4) | instskip(NEXT) | instid1(VALU_DEP_3)
	v_pk_fma_f16 v13, v5, v8, v6
	v_pk_fma_f16 v12, v5, v12, v4
	s_delay_alu instid0(VALU_DEP_3)
	v_pk_fma_f16 v11, v5, v9, v7
	ds_load_2addr_b32 v[8:9], v118 offset0:128 offset1:160
	;; [unrolled: 33-line block ×3, first 2 shown]
	ds_load_b128 v[6:9], v94 offset:944
	s_wait_dscnt 0x0
	v_lshrrev_b32_e32 v15, 16, v7
	v_and_b32_e32 v7, 0xffff, v7
	v_lshrrev_b32_e32 v14, 16, v6
	v_and_b32_e32 v6, 0xffff, v6
	s_delay_alu instid0(VALU_DEP_3) | instskip(NEXT) | instid1(VALU_DEP_3)
	v_mul_u32_u24_e32 v7, 0x10001, v7
	v_mul_u32_u24_e32 v14, 0x10001, v14
	s_delay_alu instid0(VALU_DEP_3) | instskip(NEXT) | instid1(VALU_DEP_3)
	v_mul_u32_u24_e32 v6, 0x10001, v6
	v_pk_fma_f16 v7, v4, v7, v11
	v_lshrrev_b32_e32 v11, 16, v8
	v_mul_u32_u24_e32 v15, 0x10001, v15
	s_delay_alu instid0(VALU_DEP_4)
	v_pk_fma_f16 v6, v4, v6, v13
	v_pk_fma_f16 v10, v4, v14, v10
	v_and_b32_e32 v8, 0xffff, v8
	v_mul_u32_u24_e32 v11, 0x10001, v11
	v_pk_fma_f16 v4, v4, v15, v12
	v_lshrrev_b32_e32 v12, 16, v9
	v_and_b32_e32 v9, 0xffff, v9
	v_mul_u32_u24_e32 v8, 0x10001, v8
	v_pk_fma_f16 v10, v5, v11, v10
	s_delay_alu instid0(VALU_DEP_4) | instskip(NEXT) | instid1(VALU_DEP_4)
	v_mul_u32_u24_e32 v12, 0x10001, v12
	v_mul_u32_u24_e32 v9, 0x10001, v9
	s_delay_alu instid0(VALU_DEP_4) | instskip(NEXT) | instid1(VALU_DEP_3)
	v_pk_fma_f16 v13, v5, v8, v6
	v_pk_fma_f16 v12, v5, v12, v4
	s_delay_alu instid0(VALU_DEP_3)
	v_pk_fma_f16 v11, v5, v9, v7
	ds_load_2addr_b32 v[8:9], v119 offset1:32
	ds_load_b128 v[4:7], v94 offset:960
	s_wait_dscnt 0x0
	v_lshrrev_b32_e32 v15, 16, v5
	v_and_b32_e32 v5, 0xffff, v5
	v_lshrrev_b32_e32 v14, 16, v4
	v_and_b32_e32 v4, 0xffff, v4
	s_delay_alu instid0(VALU_DEP_3) | instskip(NEXT) | instid1(VALU_DEP_3)
	v_mul_u32_u24_e32 v5, 0x10001, v5
	v_mul_u32_u24_e32 v14, 0x10001, v14
	s_delay_alu instid0(VALU_DEP_3) | instskip(NEXT) | instid1(VALU_DEP_3)
	v_mul_u32_u24_e32 v4, 0x10001, v4
	v_pk_fma_f16 v5, v8, v5, v11
	v_lshrrev_b32_e32 v11, 16, v6
	v_mul_u32_u24_e32 v15, 0x10001, v15
	s_delay_alu instid0(VALU_DEP_4)
	v_pk_fma_f16 v4, v8, v4, v13
	v_pk_fma_f16 v10, v8, v14, v10
	v_and_b32_e32 v6, 0xffff, v6
	v_mul_u32_u24_e32 v11, 0x10001, v11
	v_pk_fma_f16 v8, v8, v15, v12
	v_lshrrev_b32_e32 v12, 16, v7
	v_and_b32_e32 v7, 0xffff, v7
	v_mul_u32_u24_e32 v6, 0x10001, v6
	v_pk_fma_f16 v10, v9, v11, v10
	s_delay_alu instid0(VALU_DEP_4) | instskip(NEXT) | instid1(VALU_DEP_4)
	v_mul_u32_u24_e32 v12, 0x10001, v12
	v_mul_u32_u24_e32 v7, 0x10001, v7
	s_delay_alu instid0(VALU_DEP_4) | instskip(NEXT) | instid1(VALU_DEP_3)
	v_pk_fma_f16 v13, v9, v6, v4
	v_pk_fma_f16 v12, v9, v12, v8
	s_delay_alu instid0(VALU_DEP_3)
	v_pk_fma_f16 v11, v9, v7, v5
	ds_load_2addr_b32 v[4:5], v119 offset0:64 offset1:96
	ds_load_b128 v[6:9], v94 offset:976
	s_wait_dscnt 0x0
	v_lshrrev_b32_e32 v15, 16, v7
	v_and_b32_e32 v7, 0xffff, v7
	v_lshrrev_b32_e32 v14, 16, v6
	v_and_b32_e32 v6, 0xffff, v6
	s_delay_alu instid0(VALU_DEP_3) | instskip(NEXT) | instid1(VALU_DEP_3)
	v_mul_u32_u24_e32 v7, 0x10001, v7
	v_mul_u32_u24_e32 v14, 0x10001, v14
	s_delay_alu instid0(VALU_DEP_3) | instskip(NEXT) | instid1(VALU_DEP_3)
	v_mul_u32_u24_e32 v6, 0x10001, v6
	v_pk_fma_f16 v7, v4, v7, v11
	v_lshrrev_b32_e32 v11, 16, v8
	v_mul_u32_u24_e32 v15, 0x10001, v15
	s_delay_alu instid0(VALU_DEP_4)
	v_pk_fma_f16 v6, v4, v6, v13
	v_pk_fma_f16 v10, v4, v14, v10
	v_and_b32_e32 v8, 0xffff, v8
	v_mul_u32_u24_e32 v11, 0x10001, v11
	v_pk_fma_f16 v4, v4, v15, v12
	v_lshrrev_b32_e32 v12, 16, v9
	v_and_b32_e32 v9, 0xffff, v9
	v_mul_u32_u24_e32 v8, 0x10001, v8
	v_pk_fma_f16 v10, v5, v11, v10
	s_delay_alu instid0(VALU_DEP_4) | instskip(NEXT) | instid1(VALU_DEP_4)
	v_mul_u32_u24_e32 v12, 0x10001, v12
	v_mul_u32_u24_e32 v9, 0x10001, v9
	s_delay_alu instid0(VALU_DEP_4) | instskip(NEXT) | instid1(VALU_DEP_3)
	v_pk_fma_f16 v13, v5, v8, v6
	v_pk_fma_f16 v12, v5, v12, v4
	s_delay_alu instid0(VALU_DEP_3)
	v_pk_fma_f16 v11, v5, v9, v7
	ds_load_2addr_b32 v[8:9], v119 offset0:128 offset1:160
	ds_load_b128 v[4:7], v94 offset:992
	s_wait_dscnt 0x0
	v_dual_lshrrev_b32 v14, 16, v4 :: v_dual_lshrrev_b32 v15, 16, v5
	v_and_b32_e32 v4, 0xffff, v4
	v_and_b32_e32 v5, 0xffff, v5
	s_delay_alu instid0(VALU_DEP_3) | instskip(NEXT) | instid1(VALU_DEP_3)
	v_mul_u32_u24_e32 v14, 0x10001, v14
	v_mul_u32_u24_e32 v4, 0x10001, v4
	s_delay_alu instid0(VALU_DEP_3) | instskip(NEXT) | instid1(VALU_DEP_2)
	v_mul_u32_u24_e32 v5, 0x10001, v5
	v_pk_fma_f16 v4, v8, v4, v13
	s_delay_alu instid0(VALU_DEP_4) | instskip(NEXT) | instid1(VALU_DEP_3)
	v_pk_fma_f16 v13, v8, v14, v10
	v_pk_fma_f16 v5, v8, v5, v11
	v_lshrrev_b32_e32 v10, 16, v6
	v_mul_u32_u24_e32 v15, 0x10001, v15
	v_lshrrev_b32_e32 v11, 16, v7
	v_and_b32_e32 v6, 0xffff, v6
	v_and_b32_e32 v7, 0xffff, v7
	s_delay_alu instid0(VALU_DEP_4) | instskip(SKIP_1) | instid1(VALU_DEP_4)
	v_pk_fma_f16 v8, v8, v15, v12
	v_mul_u32_u24_e32 v12, 0x10001, v10
	v_mul_u32_u24_e32 v6, 0x10001, v6
	s_delay_alu instid0(VALU_DEP_4) | instskip(SKIP_1) | instid1(VALU_DEP_4)
	v_mul_u32_u24_e32 v7, 0x10001, v7
	v_mul_u32_u24_e32 v14, 0x10001, v11
	v_pk_fma_f16 v11, v9, v12, v13
	s_delay_alu instid0(VALU_DEP_4) | instskip(NEXT) | instid1(VALU_DEP_4)
	v_pk_fma_f16 v10, v9, v6, v4
	v_pk_fma_f16 v12, v9, v7, v5
	s_delay_alu instid0(VALU_DEP_4)
	v_pk_fma_f16 v13, v9, v14, v8
	ds_load_2addr_b32 v[8:9], v119 offset0:192 offset1:224
	ds_load_b128 v[4:7], v94 offset:1008
	s_wait_dscnt 0x0
	s_barrier_signal -1
	s_barrier_wait -1
	s_load_b32 s3, s[20:21], 0x4
	v_dual_lshrrev_b32 v14, 16, v4 :: v_dual_lshrrev_b32 v15, 16, v5
	v_and_b32_e32 v4, 0xffff, v4
	v_and_b32_e32 v5, 0xffff, v5
	s_delay_alu instid0(VALU_DEP_3)
	v_mul_u32_u24_e32 v14, 0x10001, v14
	s_wait_kmcnt 0x0
	s_lshl_b32 s3, s3, 7
	v_mul_u32_u24_e32 v4, 0x10001, v4
	v_mul_u32_u24_e32 v5, 0x10001, v5
	s_add_co_i32 s4, s3, s4
	s_delay_alu instid0(SALU_CYCLE_1) | instskip(NEXT) | instid1(VALU_DEP_2)
	s_cmp_ge_i32 s4, s30
	v_pk_fma_f16 v4, v8, v4, v10
	v_pk_fma_f16 v10, v8, v14, v11
	;; [unrolled: 1-line block ×3, first 2 shown]
	v_lshrrev_b32_e32 v11, 16, v6
	v_mul_u32_u24_e32 v15, 0x10001, v15
	v_lshrrev_b32_e32 v12, 16, v7
	v_and_b32_e32 v6, 0xffff, v6
	v_and_b32_e32 v7, 0xffff, v7
	v_mul_u32_u24_e32 v11, 0x10001, v11
	v_pk_fma_f16 v8, v8, v15, v13
	v_mul_u32_u24_e32 v12, 0x10001, v12
	v_mul_u32_u24_e32 v6, 0x10001, v6
	;; [unrolled: 1-line block ×3, first 2 shown]
	v_pk_fma_f16 v121, v9, v11, v10
	s_delay_alu instid0(VALU_DEP_4) | instskip(NEXT) | instid1(VALU_DEP_4)
	v_pk_fma_f16 v123, v9, v12, v8
	v_pk_fma_f16 v122, v9, v6, v4
	s_delay_alu instid0(VALU_DEP_4)
	v_pk_fma_f16 v120, v9, v7, v5
	s_cbranch_scc0 .LBB40_9
; %bb.10:
	v_mov_b32_e32 v5, v77
.LBB40_11:
	v_lshlrev_b32_e32 v9, 1, v76
	v_cmp_lt_i32_e32 vcc_lo, v87, v78
	s_cmp_lg_u64 s[12:13], 0
	s_cselect_b32 s3, -1, 0
	s_cmp_eq_u32 s31, 0
	v_cndmask_b32_e32 v4, v5, v87, vcc_lo
	v_cmp_lt_i32_e32 vcc_lo, v83, v78
	s_cselect_b32 s4, -1, 0
	s_delay_alu instid0(SALU_CYCLE_1) | instskip(NEXT) | instid1(VALU_DEP_2)
	s_and_b32 s3, s4, s3
	v_lshlrev_b32_e32 v4, 2, v4
	ds_bpermute_b32 v6, v4, v46
	ds_bpermute_b32 v7, v4, v47
	ds_bpermute_b32 v10, v4, v42
	ds_bpermute_b32 v11, v4, v43
	v_cndmask_b32_e32 v4, v5, v83, vcc_lo
	v_cmp_lt_i32_e32 vcc_lo, v82, v78
	s_delay_alu instid0(VALU_DEP_2)
	v_lshlrev_b32_e32 v4, 2, v4
	s_wait_dscnt 0x2
	v_pk_add_f32 v[6:7], v[46:47], v[6:7]
	s_wait_dscnt 0x0
	v_pk_add_f32 v[10:11], v[42:43], v[10:11]
	ds_bpermute_b32 v12, v4, v6
	ds_bpermute_b32 v13, v4, v7
	ds_bpermute_b32 v14, v4, v10
	ds_bpermute_b32 v15, v4, v11
	v_cndmask_b32_e32 v4, v5, v82, vcc_lo
	v_cmp_lt_i32_e32 vcc_lo, v81, v78
	s_delay_alu instid0(VALU_DEP_2)
	v_lshlrev_b32_e32 v4, 2, v4
	s_wait_dscnt 0x2
	v_pk_add_f32 v[6:7], v[6:7], v[12:13]
	s_wait_dscnt 0x0
	v_pk_add_f32 v[10:11], v[10:11], v[14:15]
	;; [unrolled: 12-line block ×3, first 2 shown]
	ds_bpermute_b32 v12, v4, v6
	ds_bpermute_b32 v13, v4, v7
	;; [unrolled: 1-line block ×4, first 2 shown]
	v_cndmask_b32_e32 v4, v5, v79, vcc_lo
	s_and_b32 vcc_lo, exec_lo, s3
	s_delay_alu instid0(VALU_DEP_1)
	v_lshlrev_b32_e32 v8, 2, v4
	s_wait_dscnt 0x2
	v_pk_add_f32 v[4:5], v[6:7], v[12:13]
	s_wait_dscnt 0x0
	v_pk_add_f32 v[10:11], v[10:11], v[14:15]
	ds_bpermute_b32 v6, v8, v4
	ds_bpermute_b32 v7, v8, v5
	;; [unrolled: 1-line block ×4, first 2 shown]
	s_wait_dscnt 0x2
	v_pk_add_f32 v[6:7], v[4:5], v[6:7]
	s_wait_dscnt 0x0
	v_pk_add_f32 v[4:5], v[10:11], v[12:13]
	s_cbranch_vccz .LBB40_13
; %bb.12:
	s_ashr_i32 s3, s2, 31
	v_mov_b32_e32 v8, 0
	s_lshl_b64 s[4:5], s[2:3], 2
	v_max_num_f32_e32 v11, v1, v1
	s_add_nc_u64 s[4:5], s[12:13], s[4:5]
	v_max_num_f32_e32 v16, v2, v2
	global_load_b64 v[14:15], v8, s[4:5]
	s_wait_loadcnt 0x0
	v_dual_max_num_f32 v8, v0, v0 :: v_dual_max_num_f32 v12, v14, v14
	v_max_num_f32_e32 v13, v15, v15
	s_delay_alu instid0(VALU_DEP_2) | instskip(NEXT) | instid1(VALU_DEP_2)
	v_dual_max_num_f32 v17, v3, v3 :: v_dual_max_num_f32 v10, v8, v12
	v_dual_max_num_f32 v11, v11, v13 :: v_dual_max_num_f32 v12, v16, v12
	s_delay_alu instid0(VALU_DEP_2) | instskip(NEXT) | instid1(VALU_DEP_2)
	v_dual_max_num_f32 v13, v17, v13 :: v_dual_sub_f32 v0, v0, v10
	v_dual_sub_f32 v16, v15, v11 :: v_dual_sub_f32 v17, v2, v12
	v_dual_sub_f32 v8, v14, v10 :: v_dual_sub_f32 v1, v1, v11
	s_delay_alu instid0(VALU_DEP_3) | instskip(NEXT) | instid1(VALU_DEP_3)
	v_sub_f32_e32 v20, v15, v13
	v_dual_mul_f32 v2, 0x3fb8aa3b, v0 :: v_dual_mul_f32 v21, 0x3fb8aa3b, v17
	v_dual_sub_f32 v18, v14, v12 :: v_dual_sub_f32 v19, v3, v13
	s_delay_alu instid0(VALU_DEP_4) | instskip(SKIP_1) | instid1(VALU_DEP_4)
	v_dual_mul_f32 v3, 0x3fb8aa3b, v8 :: v_dual_mul_f32 v14, 0x3fb8aa3b, v1
	v_mul_f32_e32 v15, 0x3fb8aa3b, v16
	v_fma_f32 v33, 0x3fb8aa3b, v17, -v21
	v_rndne_f32_e32 v34, v21
	v_mul_f32_e32 v24, 0x3fb8aa3b, v20
	v_fma_f32 v25, 0x3fb8aa3b, v0, -v2
	v_rndne_f32_e32 v32, v15
	v_rndne_f32_e32 v26, v2
	v_sub_f32_e32 v21, v21, v34
	v_rndne_f32_e32 v40, v24
	v_fmac_f32_e32 v33, 0x32a5705f, v17
	v_fma_f32 v31, 0x3fb8aa3b, v16, -v15
	v_fma_f32 v39, 0x3fb8aa3b, v20, -v24
	;; [unrolled: 1-line block ×3, first 2 shown]
	v_sub_f32_e32 v24, v24, v40
	v_dual_sub_f32 v15, v15, v32 :: v_dual_add_f32 v21, v21, v33
	v_rndne_f32_e32 v28, v3
	v_dual_fmac_f32 v25, 0x32a5705f, v0 :: v_dual_sub_f32 v2, v2, v26
	v_dual_mul_f32 v22, 0x3fb8aa3b, v18 :: v_dual_mul_f32 v23, 0x3fb8aa3b, v19
	s_delay_alu instid0(VALU_DEP_4)
	v_exp_f32_e32 v21, v21
	v_fma_f32 v29, 0x3fb8aa3b, v1, -v14
	v_rndne_f32_e32 v30, v14
	v_fmac_f32_e32 v27, 0x32a5705f, v8
	v_dual_sub_f32 v3, v3, v28 :: v_dual_add_f32 v2, v2, v25
	v_cvt_i32_f32_e32 v34, v34
	v_rndne_f32_e32 v36, v22
	v_dual_fmac_f32 v29, 0x32a5705f, v1 :: v_dual_sub_f32 v14, v14, v30
	s_delay_alu instid0(VALU_DEP_4) | instskip(NEXT) | instid1(VALU_DEP_3)
	v_exp_f32_e32 v2, v2
	v_ldexp_f32 v21, v21, v34
	v_add_f32_e32 v3, v3, v27
	v_cvt_i32_f32_e32 v26, v26
	v_fma_f32 v35, 0x3fb8aa3b, v18, -v22
	v_sub_f32_e32 v22, v22, v36
	v_dual_fmac_f32 v31, 0x32a5705f, v16 :: v_dual_add_f32 v14, v14, v29
	v_exp_f32_e32 v3, v3
	v_fma_f32 v37, 0x3fb8aa3b, v19, -v23
	v_cvt_i32_f32_e32 v28, v28
	v_ldexp_f32 v2, v2, v26
	v_cmp_ngt_f32_e32 vcc_lo, 0xc2ce8ed0, v0
	v_exp_f32_e32 v14, v14
	v_cvt_i32_f32_e32 v30, v30
	v_fmac_f32_e32 v37, 0x32a5705f, v19
	v_ldexp_f32 v3, v3, v28
	v_cndmask_b32_e32 v2, 0, v2, vcc_lo
	v_cmp_ngt_f32_e32 vcc_lo, 0xc2ce8ed0, v8
	v_rndne_f32_e32 v38, v23
	v_ldexp_f32 v14, v14, v30
	v_cvt_i32_f32_e32 v36, v36
	v_cvt_i32_f32_e32 v32, v32
	v_cndmask_b32_e32 v3, 0, v3, vcc_lo
	v_cmp_ngt_f32_e32 vcc_lo, 0xc2ce8ed0, v1
	v_fmac_f32_e32 v39, 0x32a5705f, v20
	v_cvt_i32_f32_e32 v40, v40
	v_cndmask_b32_e32 v14, 0, v14, vcc_lo
	s_delay_alu instid0(VALU_DEP_3) | instskip(SKIP_3) | instid1(VALU_DEP_4)
	v_dual_fmac_f32 v35, 0x32a5705f, v18 :: v_dual_add_f32 v24, v24, v39
	v_sub_f32_e32 v23, v23, v38
	v_cmp_ngt_f32_e32 vcc_lo, 0xc2ce8ed0, v16
	v_cvt_i32_f32_e32 v38, v38
	v_add_f32_e32 v22, v22, v35
	v_exp_f32_e32 v24, v24
	s_delay_alu instid0(VALU_DEP_1) | instskip(NEXT) | instid1(TRANS32_DEP_2)
	v_exp_f32_e32 v22, v22
	v_ldexp_f32 v24, v24, v40
	s_delay_alu instid0(TRANS32_DEP_1) | instskip(SKIP_1) | instid1(VALU_DEP_1)
	v_ldexp_f32 v22, v22, v36
	v_add_f32_e32 v15, v15, v31
	v_exp_f32_e32 v15, v15
	v_nop
	s_delay_alu instid0(TRANS32_DEP_1) | instskip(NEXT) | instid1(VALU_DEP_1)
	v_ldexp_f32 v15, v15, v32
	v_dual_add_f32 v23, v23, v37 :: v_dual_cndmask_b32 v15, 0, v15, vcc_lo
	v_cmp_ngt_f32_e32 vcc_lo, 0xc2ce8ed0, v17
	s_delay_alu instid0(VALU_DEP_2) | instskip(SKIP_2) | instid1(TRANS32_DEP_1)
	v_exp_f32_e32 v23, v23
	v_cndmask_b32_e32 v21, 0, v21, vcc_lo
	v_cmp_ngt_f32_e32 vcc_lo, 0xc2ce8ed0, v18
	v_ldexp_f32 v23, v23, v38
	v_cndmask_b32_e32 v22, 0, v22, vcc_lo
	v_cmp_ngt_f32_e32 vcc_lo, 0xc2ce8ed0, v19
	s_delay_alu instid0(VALU_DEP_3)
	v_cndmask_b32_e32 v23, 0, v23, vcc_lo
	v_cmp_ngt_f32_e32 vcc_lo, 0xc2ce8ed0, v20
	v_cndmask_b32_e32 v24, 0, v24, vcc_lo
	v_cmp_nlt_f32_e32 vcc_lo, 0x42b17218, v0
	v_cndmask_b32_e32 v0, 0x7f800000, v2, vcc_lo
	v_cmp_nlt_f32_e32 vcc_lo, 0x42b17218, v8
	s_delay_alu instid0(VALU_DEP_2) | instskip(SKIP_2) | instid1(VALU_DEP_3)
	v_cvt_f16_f32_e32 v8, v0
	v_cndmask_b32_e32 v2, 0x7f800000, v3, vcc_lo
	v_cmp_nlt_f32_e32 vcc_lo, 0x42b17218, v1
	v_and_b32_e32 v8, 0xffff, v8
	v_cndmask_b32_e32 v1, 0x7f800000, v14, vcc_lo
	v_cmp_nlt_f32_e32 vcc_lo, 0x42b17218, v16
	v_cndmask_b32_e32 v3, 0x7f800000, v15, vcc_lo
	v_cmp_nlt_f32_e32 vcc_lo, 0x42b17218, v17
	s_delay_alu instid0(VALU_DEP_2) | instskip(SKIP_3) | instid1(VALU_DEP_3)
	v_pk_fma_f32 v[6:7], v[6:7], v[0:1], v[2:3]
	v_cndmask_b32_e32 v14, 0x7f800000, v21, vcc_lo
	v_cmp_nlt_f32_e32 vcc_lo, 0x42b17218, v19
	v_mul_u32_u24_e32 v0, 0x10001, v8
	v_cvt_f16_f32_e32 v19, v14
	v_cndmask_b32_e32 v15, 0x7f800000, v23, vcc_lo
	v_cmp_nlt_f32_e32 vcc_lo, 0x42b17218, v18
	v_cvt_f16_f32_e32 v18, v1
	v_pk_mul_f16 v122, v122, v0
	v_and_b32_e32 v19, 0xffff, v19
	v_cvt_f16_f32_e32 v21, v15
	v_cndmask_b32_e32 v16, 0x7f800000, v22, vcc_lo
	v_cmp_nlt_f32_e32 vcc_lo, 0x42b17218, v20
	v_and_b32_e32 v18, 0xffff, v18
	v_mul_u32_u24_e32 v2, 0x10001, v19
	v_and_b32_e32 v20, 0xffff, v21
	v_cndmask_b32_e32 v17, 0x7f800000, v24, vcc_lo
	s_delay_alu instid0(VALU_DEP_4) | instskip(NEXT) | instid1(VALU_DEP_4)
	v_mul_u32_u24_e32 v1, 0x10001, v18
	v_pk_mul_f16 v120, v120, v2
	s_delay_alu instid0(VALU_DEP_4) | instskip(NEXT) | instid1(VALU_DEP_4)
	v_mul_u32_u24_e32 v3, 0x10001, v20
	v_pk_fma_f32 v[4:5], v[4:5], v[14:15], v[16:17]
	s_delay_alu instid0(VALU_DEP_4) | instskip(NEXT) | instid1(VALU_DEP_3)
	v_pk_mul_f16 v121, v121, v1
	v_pk_mul_f16 v123, v123, v3
	v_mov_b64_e32 v[0:1], v[10:11]
	v_mov_b64_e32 v[2:3], v[12:13]
.LBB40_13:
	s_mov_b32 s3, exec_lo
	v_cmpx_gt_i32_e64 s22, v75
	s_cbranch_execz .LBB40_32
; %bb.14:
	s_load_b32 s0, s[0:1], 0xd4
	v_mov_b32_e32 v8, 1.0
	s_wait_kmcnt 0x0
	s_cmp_lg_u32 s0, 1
	s_cselect_b32 s3, -1, 0
	s_cmp_eq_u32 s0, 1
	s_cselect_b32 s4, -1, 0
	s_and_b32 vcc_lo, exec_lo, s3
	s_cbranch_vccnz .LBB40_16
; %bb.15:
	v_div_scale_f32 v8, null, v6, v6, 1.0
	s_delay_alu instid0(VALU_DEP_1) | instskip(SKIP_1) | instid1(TRANS32_DEP_1)
	v_rcp_f32_e32 v10, v8
	v_nop
	v_fma_f32 v11, -v8, v10, 1.0
	s_delay_alu instid0(VALU_DEP_1) | instskip(SKIP_1) | instid1(VALU_DEP_1)
	v_fmac_f32_e32 v10, v11, v10
	v_div_scale_f32 v11, vcc_lo, 1.0, v6, 1.0
	v_mul_f32_e32 v12, v11, v10
	s_delay_alu instid0(VALU_DEP_1) | instskip(NEXT) | instid1(VALU_DEP_1)
	v_fma_f32 v13, -v8, v12, v11
	v_fmac_f32_e32 v12, v13, v10
	s_delay_alu instid0(VALU_DEP_1) | instskip(NEXT) | instid1(VALU_DEP_1)
	v_fma_f32 v8, -v8, v12, v11
	v_div_fmas_f32 v8, v8, v10, v12
	s_delay_alu instid0(VALU_DEP_1)
	v_div_fixup_f32 v8, v8, v6, 1.0
.LBB40_16:
	s_mul_i32 s1, s28, s22
	v_lshrrev_b32_e32 v15, 16, v122
	s_add_co_i32 s1, s1, s33
	v_cvt_f32_f16_e32 v14, v122
	v_dual_mov_b32 v13, 0 :: v_dual_add_nc_u32 v10, s1, v74
	s_delay_alu instid0(VALU_DEP_3) | instskip(SKIP_1) | instid1(VALU_DEP_3)
	v_cvt_f32_f16_e32 v15, v15
	v_cmp_eq_u32_e32 vcc_lo, 0, v76
	v_mul_lo_u32 v10, v10, s23
	s_delay_alu instid0(VALU_DEP_3) | instskip(SKIP_1) | instid1(VALU_DEP_2)
	v_pk_mul_f32 v[14:15], v[8:9], v[14:15] op_sel_hi:[0,1]
	s_and_b32 s3, vcc_lo, s3
	v_add_nc_u32_e32 v11, s2, v10
	s_delay_alu instid0(VALU_DEP_1) | instskip(NEXT) | instid1(VALU_DEP_1)
	v_mad_u32 v11, s0, v11, s31
	v_lshl_add_u32 v12, v11, 6, v9
	s_delay_alu instid0(VALU_DEP_1)
	v_lshl_add_u64 v[12:13], v[12:13], 2, s[16:17]
	global_store_b64 v[12:13], v[14:15], off
	s_wait_xcnt 0x0
	s_and_saveexec_b32 s5, s3
	s_cbranch_execz .LBB40_18
; %bb.17:
	v_dual_mov_b32 v12, v0 :: v_dual_mov_b32 v13, v6
	global_store_b64 v11, v[12:13], s[18:19] scale_offset
.LBB40_18:
	s_wait_xcnt 0x0
	s_or_b32 exec_lo, exec_lo, s5
	v_cndmask_b32_e64 v8, 0, 1, s4
	v_mov_b32_e32 v0, 1.0
	s_and_not1_b32 vcc_lo, exec_lo, s4
	s_cbranch_vccnz .LBB40_20
; %bb.19:
	v_div_scale_f32 v0, null, v7, v7, 1.0
	s_delay_alu instid0(VALU_DEP_1) | instskip(SKIP_1) | instid1(TRANS32_DEP_1)
	v_rcp_f32_e32 v6, v0
	v_nop
	v_fma_f32 v11, -v0, v6, 1.0
	s_delay_alu instid0(VALU_DEP_1) | instskip(SKIP_1) | instid1(VALU_DEP_1)
	v_fmac_f32_e32 v6, v11, v6
	v_div_scale_f32 v11, vcc_lo, 1.0, v7, 1.0
	v_mul_f32_e32 v12, v11, v6
	s_delay_alu instid0(VALU_DEP_1) | instskip(NEXT) | instid1(VALU_DEP_1)
	v_fma_f32 v13, -v0, v12, v11
	v_fmac_f32_e32 v12, v13, v6
	s_delay_alu instid0(VALU_DEP_1) | instskip(NEXT) | instid1(VALU_DEP_1)
	v_fma_f32 v0, -v0, v12, v11
	v_div_fmas_f32 v0, v0, v6, v12
	s_delay_alu instid0(VALU_DEP_1)
	v_div_fixup_f32 v0, v0, v7, 1.0
.LBB40_20:
	s_add_co_i32 s4, s2, 1
	v_cvt_f32_f16_e32 v14, v121
	v_dual_mov_b32 v13, 0 :: v_dual_add_nc_u32 v6, s4, v10
	s_delay_alu instid0(VALU_DEP_1) | instskip(SKIP_1) | instid1(VALU_DEP_1)
	v_mad_u32 v10, s0, v6, s31
	v_lshrrev_b32_e32 v6, 16, v121
	v_cvt_f32_f16_e32 v15, v6
	s_delay_alu instid0(VALU_DEP_1) | instskip(NEXT) | instid1(VALU_DEP_4)
	v_pk_mul_f32 v[14:15], v[0:1], v[14:15] op_sel_hi:[0,1]
	v_lshl_add_u32 v12, v10, 6, v9
	s_delay_alu instid0(VALU_DEP_1)
	v_lshl_add_u64 v[12:13], v[12:13], 2, s[16:17]
	global_store_b64 v[12:13], v[14:15], off
	s_wait_xcnt 0x0
	s_and_saveexec_b32 s5, s3
	s_cbranch_execz .LBB40_22
; %bb.21:
	v_mov_b32_e32 v6, v1
	global_store_b64 v10, v[6:7], s[18:19] scale_offset
.LBB40_22:
	s_wait_xcnt 0x0
	s_or_b32 exec_lo, exec_lo, s5
	v_cmp_gt_i32_e32 vcc_lo, s22, v73
	s_and_b32 exec_lo, exec_lo, vcc_lo
	s_cbranch_execz .LBB40_32
; %bb.23:
	v_cmp_ne_u32_e32 vcc_lo, 1, v8
	v_mov_b32_e32 v0, 1.0
	s_cbranch_vccnz .LBB40_25
; %bb.24:
	v_div_scale_f32 v0, null, v4, v4, 1.0
	s_delay_alu instid0(VALU_DEP_1) | instskip(SKIP_1) | instid1(TRANS32_DEP_1)
	v_rcp_f32_e32 v1, v0
	v_nop
	v_fma_f32 v6, -v0, v1, 1.0
	s_delay_alu instid0(VALU_DEP_1) | instskip(SKIP_1) | instid1(VALU_DEP_1)
	v_fmac_f32_e32 v1, v6, v1
	v_div_scale_f32 v6, vcc_lo, 1.0, v4, 1.0
	v_mul_f32_e32 v7, v6, v1
	s_delay_alu instid0(VALU_DEP_1) | instskip(NEXT) | instid1(VALU_DEP_1)
	v_fma_f32 v10, -v0, v7, v6
	v_fmac_f32_e32 v7, v10, v1
	s_delay_alu instid0(VALU_DEP_1) | instskip(NEXT) | instid1(VALU_DEP_1)
	v_fma_f32 v0, -v0, v7, v6
	v_div_fmas_f32 v0, v0, v1, v7
	s_delay_alu instid0(VALU_DEP_1)
	v_div_fixup_f32 v0, v0, v4, 1.0
.LBB40_25:
	v_dual_add_nc_u32 v1, s1, v72 :: v_dual_mov_b32 v7, 0
	v_lshrrev_b32_e32 v11, 16, v120
	v_cvt_f32_f16_e32 v10, v120
	s_delay_alu instid0(VALU_DEP_3) | instskip(NEXT) | instid1(VALU_DEP_3)
	v_mad_u32 v1, v1, s23, s2
	v_cvt_f32_f16_e32 v11, v11
	s_delay_alu instid0(VALU_DEP_2) | instskip(NEXT) | instid1(VALU_DEP_1)
	v_mad_u32 v1, s0, v1, s31
	v_lshl_add_u32 v6, v1, 6, v9
	s_delay_alu instid0(VALU_DEP_3) | instskip(NEXT) | instid1(VALU_DEP_2)
	v_pk_mul_f32 v[10:11], v[0:1], v[10:11] op_sel_hi:[0,1]
	v_lshl_add_u64 v[6:7], v[6:7], 2, s[16:17]
	global_store_b64 v[6:7], v[10:11], off
	s_wait_xcnt 0x0
	s_and_saveexec_b32 s2, s3
	s_cbranch_execz .LBB40_27
; %bb.26:
	v_dual_mov_b32 v6, v2 :: v_dual_mov_b32 v7, v4
	global_store_b64 v1, v[6:7], s[18:19] scale_offset
.LBB40_27:
	s_wait_xcnt 0x0
	s_or_b32 exec_lo, exec_lo, s2
	v_cmp_gt_i32_e32 vcc_lo, s22, v71
	s_and_b32 exec_lo, exec_lo, vcc_lo
	s_cbranch_execz .LBB40_32
; %bb.28:
	v_cmp_ne_u32_e32 vcc_lo, 1, v8
	v_mov_b32_e32 v0, 1.0
	s_cbranch_vccnz .LBB40_30
; %bb.29:
	v_div_scale_f32 v0, null, v5, v5, 1.0
	s_delay_alu instid0(VALU_DEP_1) | instskip(SKIP_1) | instid1(TRANS32_DEP_1)
	v_rcp_f32_e32 v1, v0
	v_nop
	v_fma_f32 v2, -v0, v1, 1.0
	s_delay_alu instid0(VALU_DEP_1) | instskip(SKIP_1) | instid1(VALU_DEP_1)
	v_fmac_f32_e32 v1, v2, v1
	v_div_scale_f32 v2, vcc_lo, 1.0, v5, 1.0
	v_mul_f32_e32 v4, v2, v1
	s_delay_alu instid0(VALU_DEP_1) | instskip(NEXT) | instid1(VALU_DEP_1)
	v_fma_f32 v6, -v0, v4, v2
	v_fmac_f32_e32 v4, v6, v1
	s_delay_alu instid0(VALU_DEP_1) | instskip(NEXT) | instid1(VALU_DEP_1)
	v_fma_f32 v0, -v0, v4, v2
	v_div_fmas_f32 v0, v0, v1, v4
	s_delay_alu instid0(VALU_DEP_1)
	v_div_fixup_f32 v0, v0, v5, 1.0
.LBB40_30:
	v_dual_add_nc_u32 v1, s1, v70 :: v_dual_lshrrev_b32 v2, 16, v123
	v_mov_b32_e32 v7, 0
	v_cvt_f32_f16_e32 v8, v123
	s_delay_alu instid0(VALU_DEP_3) | instskip(NEXT) | instid1(VALU_DEP_1)
	v_mad_u32 v1, v1, s23, s4
	v_mad_u32 v1, s0, v1, s31
	s_delay_alu instid0(VALU_DEP_1) | instskip(SKIP_1) | instid1(VALU_DEP_2)
	v_lshl_add_u32 v6, v1, 6, v9
	v_cvt_f32_f16_e32 v9, v2
	v_lshl_add_u64 v[6:7], v[6:7], 2, s[16:17]
	s_delay_alu instid0(VALU_DEP_2)
	v_pk_mul_f32 v[8:9], v[0:1], v[8:9] op_sel_hi:[0,1]
	global_store_b64 v[6:7], v[8:9], off
	s_wait_xcnt 0x0
	s_and_b32 exec_lo, exec_lo, s3
	s_cbranch_execz .LBB40_32
; %bb.31:
	v_mov_b32_e32 v4, v3
	global_store_b64 v1, v[4:5], s[18:19] scale_offset
.LBB40_32:
	s_sendmsg sendmsg(MSG_DEALLOC_VGPRS)
	s_endpgm
	.section	.rodata,"a",@progbits
	.p2align	6, 0x0
	.amdhsa_kernel _ZL15flash_attn_tileILi64ELi64ELi8ELi2ELb0EEvPKcS1_S1_S1_S1_PKiPfP15HIP_vector_typeIfLj2EEffffjfiS5_IjLj3EEiiiiiiiiiiiliiliiiiil
		.amdhsa_group_segment_fixed_size 24576
		.amdhsa_private_segment_fixed_size 0
		.amdhsa_kernarg_size 464
		.amdhsa_user_sgpr_count 2
		.amdhsa_user_sgpr_dispatch_ptr 0
		.amdhsa_user_sgpr_queue_ptr 0
		.amdhsa_user_sgpr_kernarg_segment_ptr 1
		.amdhsa_user_sgpr_dispatch_id 0
		.amdhsa_user_sgpr_kernarg_preload_length 0
		.amdhsa_user_sgpr_kernarg_preload_offset 0
		.amdhsa_user_sgpr_private_segment_size 0
		.amdhsa_wavefront_size32 1
		.amdhsa_uses_dynamic_stack 0
		.amdhsa_enable_private_segment 0
		.amdhsa_system_sgpr_workgroup_id_x 1
		.amdhsa_system_sgpr_workgroup_id_y 1
		.amdhsa_system_sgpr_workgroup_id_z 1
		.amdhsa_system_sgpr_workgroup_info 0
		.amdhsa_system_vgpr_workitem_id 1
		.amdhsa_next_free_vgpr 152
		.amdhsa_next_free_sgpr 46
		.amdhsa_named_barrier_count 0
		.amdhsa_reserve_vcc 1
		.amdhsa_float_round_mode_32 0
		.amdhsa_float_round_mode_16_64 0
		.amdhsa_float_denorm_mode_32 3
		.amdhsa_float_denorm_mode_16_64 3
		.amdhsa_fp16_overflow 0
		.amdhsa_memory_ordered 1
		.amdhsa_forward_progress 1
		.amdhsa_inst_pref_size 186
		.amdhsa_round_robin_scheduling 0
		.amdhsa_exception_fp_ieee_invalid_op 0
		.amdhsa_exception_fp_denorm_src 0
		.amdhsa_exception_fp_ieee_div_zero 0
		.amdhsa_exception_fp_ieee_overflow 0
		.amdhsa_exception_fp_ieee_underflow 0
		.amdhsa_exception_fp_ieee_inexact 0
		.amdhsa_exception_int_div_zero 0
	.end_amdhsa_kernel
	.section	.text._ZL15flash_attn_tileILi64ELi64ELi8ELi2ELb0EEvPKcS1_S1_S1_S1_PKiPfP15HIP_vector_typeIfLj2EEffffjfiS5_IjLj3EEiiiiiiiiiiiliiliiiiil,"axG",@progbits,_ZL15flash_attn_tileILi64ELi64ELi8ELi2ELb0EEvPKcS1_S1_S1_S1_PKiPfP15HIP_vector_typeIfLj2EEffffjfiS5_IjLj3EEiiiiiiiiiiiliiliiiiil,comdat
.Lfunc_end40:
	.size	_ZL15flash_attn_tileILi64ELi64ELi8ELi2ELb0EEvPKcS1_S1_S1_S1_PKiPfP15HIP_vector_typeIfLj2EEffffjfiS5_IjLj3EEiiiiiiiiiiiliiliiiiil, .Lfunc_end40-_ZL15flash_attn_tileILi64ELi64ELi8ELi2ELb0EEvPKcS1_S1_S1_S1_PKiPfP15HIP_vector_typeIfLj2EEffffjfiS5_IjLj3EEiiiiiiiiiiiliiliiiiil
                                        ; -- End function
	.set _ZL15flash_attn_tileILi64ELi64ELi8ELi2ELb0EEvPKcS1_S1_S1_S1_PKiPfP15HIP_vector_typeIfLj2EEffffjfiS5_IjLj3EEiiiiiiiiiiiliiliiiiil.num_vgpr, 152
	.set _ZL15flash_attn_tileILi64ELi64ELi8ELi2ELb0EEvPKcS1_S1_S1_S1_PKiPfP15HIP_vector_typeIfLj2EEffffjfiS5_IjLj3EEiiiiiiiiiiiliiliiiiil.num_agpr, 0
	.set _ZL15flash_attn_tileILi64ELi64ELi8ELi2ELb0EEvPKcS1_S1_S1_S1_PKiPfP15HIP_vector_typeIfLj2EEffffjfiS5_IjLj3EEiiiiiiiiiiiliiliiiiil.numbered_sgpr, 46
	.set _ZL15flash_attn_tileILi64ELi64ELi8ELi2ELb0EEvPKcS1_S1_S1_S1_PKiPfP15HIP_vector_typeIfLj2EEffffjfiS5_IjLj3EEiiiiiiiiiiiliiliiiiil.num_named_barrier, 0
	.set _ZL15flash_attn_tileILi64ELi64ELi8ELi2ELb0EEvPKcS1_S1_S1_S1_PKiPfP15HIP_vector_typeIfLj2EEffffjfiS5_IjLj3EEiiiiiiiiiiiliiliiiiil.private_seg_size, 0
	.set _ZL15flash_attn_tileILi64ELi64ELi8ELi2ELb0EEvPKcS1_S1_S1_S1_PKiPfP15HIP_vector_typeIfLj2EEffffjfiS5_IjLj3EEiiiiiiiiiiiliiliiiiil.uses_vcc, 1
	.set _ZL15flash_attn_tileILi64ELi64ELi8ELi2ELb0EEvPKcS1_S1_S1_S1_PKiPfP15HIP_vector_typeIfLj2EEffffjfiS5_IjLj3EEiiiiiiiiiiiliiliiiiil.uses_flat_scratch, 0
	.set _ZL15flash_attn_tileILi64ELi64ELi8ELi2ELb0EEvPKcS1_S1_S1_S1_PKiPfP15HIP_vector_typeIfLj2EEffffjfiS5_IjLj3EEiiiiiiiiiiiliiliiiiil.has_dyn_sized_stack, 0
	.set _ZL15flash_attn_tileILi64ELi64ELi8ELi2ELb0EEvPKcS1_S1_S1_S1_PKiPfP15HIP_vector_typeIfLj2EEffffjfiS5_IjLj3EEiiiiiiiiiiiliiliiiiil.has_recursion, 0
	.set _ZL15flash_attn_tileILi64ELi64ELi8ELi2ELb0EEvPKcS1_S1_S1_S1_PKiPfP15HIP_vector_typeIfLj2EEffffjfiS5_IjLj3EEiiiiiiiiiiiliiliiiiil.has_indirect_call, 0
	.section	.AMDGPU.csdata,"",@progbits
; Kernel info:
; codeLenInByte = 23776
; TotalNumSgprs: 48
; NumVgprs: 152
; ScratchSize: 0
; MemoryBound: 0
; FloatMode: 240
; IeeeMode: 1
; LDSByteSize: 24576 bytes/workgroup (compile time only)
; SGPRBlocks: 0
; VGPRBlocks: 9
; NumSGPRsForWavesPerEU: 48
; NumVGPRsForWavesPerEU: 152
; NamedBarCnt: 0
; Occupancy: 6
; WaveLimiterHint : 1
; COMPUTE_PGM_RSRC2:SCRATCH_EN: 0
; COMPUTE_PGM_RSRC2:USER_SGPR: 2
; COMPUTE_PGM_RSRC2:TRAP_HANDLER: 0
; COMPUTE_PGM_RSRC2:TGID_X_EN: 1
; COMPUTE_PGM_RSRC2:TGID_Y_EN: 1
; COMPUTE_PGM_RSRC2:TGID_Z_EN: 1
; COMPUTE_PGM_RSRC2:TIDIG_COMP_CNT: 1
	.section	.text._ZL33flash_attn_stream_k_fixup_uniformILi64ELi8ELi2EEvPfPK15HIP_vector_typeIfLj2EEiiiiiiS1_IjLj3EES5_S5_,"axG",@progbits,_ZL33flash_attn_stream_k_fixup_uniformILi64ELi8ELi2EEvPfPK15HIP_vector_typeIfLj2EEiiiiiiS1_IjLj3EES5_S5_,comdat
	.globl	_ZL33flash_attn_stream_k_fixup_uniformILi64ELi8ELi2EEvPfPK15HIP_vector_typeIfLj2EEiiiiiiS1_IjLj3EES5_S5_ ; -- Begin function _ZL33flash_attn_stream_k_fixup_uniformILi64ELi8ELi2EEvPfPK15HIP_vector_typeIfLj2EEiiiiiiS1_IjLj3EES5_S5_
	.p2align	8
	.type	_ZL33flash_attn_stream_k_fixup_uniformILi64ELi8ELi2EEvPfPK15HIP_vector_typeIfLj2EEiiiiiiS1_IjLj3EES5_S5_,@function
_ZL33flash_attn_stream_k_fixup_uniformILi64ELi8ELi2EEvPfPK15HIP_vector_typeIfLj2EEiiiiiiS1_IjLj3EES5_S5_: ; @_ZL33flash_attn_stream_k_fixup_uniformILi64ELi8ELi2EEvPfPK15HIP_vector_typeIfLj2EEiiiiiiS1_IjLj3EES5_S5_
; %bb.0:
	s_load_b256 s[4:11], s[0:1], 0x1c
	s_bfe_u32 s2, ttmp6, 0x40014
	s_lshr_b32 s3, ttmp7, 16
	s_add_co_i32 s2, s2, 1
	s_bfe_u32 s13, ttmp6, 0x40010
	s_mul_i32 s2, s3, s2
	s_bfe_u32 s12, ttmp6, 0x40008
	s_and_b32 s15, ttmp7, 0xffff
	s_add_co_i32 s13, s13, 1
	s_bfe_u32 s14, ttmp6, 0x4000c
	s_add_co_i32 s12, s12, s2
	s_mul_i32 s2, s15, s13
	s_bfe_u32 s13, ttmp6, 0x40004
	s_add_co_i32 s14, s14, 1
	s_add_co_i32 s13, s13, s2
	s_and_b32 s2, ttmp6, 15
	s_mul_i32 s14, ttmp9, s14
	s_getreg_b32 s20, hwreg(HW_REG_IB_STS2, 6, 4)
	s_add_co_i32 s2, s2, s14
	s_load_b128 s[16:19], s[0:1], 0x3c
	s_cmp_eq_u32 s20, 0
	s_cselect_b32 s14, ttmp9, s2
	s_cselect_b32 s13, s15, s13
	s_wait_kmcnt 0x0
	s_mul_hi_u32 s2, s7, s14
	s_cselect_b32 s12, s3, s12
	s_add_co_i32 s2, s14, s2
	s_delay_alu instid0(SALU_CYCLE_1) | instskip(NEXT) | instid1(SALU_CYCLE_1)
	s_lshr_b32 s7, s2, s8
	s_mul_i32 s2, s7, s9
	s_delay_alu instid0(SALU_CYCLE_1) | instskip(NEXT) | instid1(SALU_CYCLE_1)
	s_sub_co_i32 s8, s14, s2
	s_mul_hi_u32 s2, s8, s10
	s_delay_alu instid0(SALU_CYCLE_1) | instskip(SKIP_2) | instid1(SALU_CYCLE_1)
	s_add_co_i32 s9, s8, s2
	s_load_b64 s[2:3], s[0:1], 0x10
	s_lshr_b32 s15, s9, s11
	s_mul_i32 s9, s15, s16
	s_delay_alu instid0(SALU_CYCLE_1) | instskip(NEXT) | instid1(SALU_CYCLE_1)
	s_sub_co_i32 s8, s8, s9
	s_mul_hi_u32 s9, s8, s17
	s_delay_alu instid0(SALU_CYCLE_1) | instskip(NEXT) | instid1(SALU_CYCLE_1)
	s_add_co_i32 s9, s8, s9
	s_lshr_b32 s9, s9, s18
	s_delay_alu instid0(SALU_CYCLE_1) | instskip(SKIP_2) | instid1(SALU_CYCLE_1)
	s_mul_i32 s10, s9, s19
	s_lshl_b32 s17, s9, 1
	s_sub_co_i32 s16, s8, s10
	s_lshl_b32 s8, s16, 3
	s_delay_alu instid0(SALU_CYCLE_1) | instskip(SKIP_4) | instid1(SALU_CYCLE_1)
	s_add_co_i32 s8, s8, s13
	s_wait_kmcnt 0x0
	s_cmp_lt_i32 s8, s2
	s_cselect_b32 s8, -1, 0
	s_add_co_i32 s9, s17, s12
	s_cmp_lt_i32 s9, s5
	s_cselect_b32 s9, -1, 0
	s_delay_alu instid0(SALU_CYCLE_1) | instskip(NEXT) | instid1(SALU_CYCLE_1)
	s_and_b32 s8, s8, s9
	s_and_not1_b32 vcc_lo, exec_lo, s8
	s_cbranch_vccnz .LBB41_6
; %bb.1:
	s_mul_i32 s2, s7, s2
	s_load_b128 s[8:11], s[0:1], 0x0
	s_wait_xcnt 0x0
	s_add_co_i32 s0, s2, s13
	s_mul_i32 s15, s15, s5
	s_mul_i32 s0, s0, s3
	;; [unrolled: 1-line block ×3, first 2 shown]
	s_add_co_i32 s0, s0, s12
	s_lshl_b32 s1, s1, 9
	s_add_co_i32 s0, s0, s15
	s_mul_i32 s7, s6, s14
	s_add_co_i32 s0, s0, s17
	s_lshl_b32 s5, s13, 1
	s_lshl_b32 s0, s0, 6
	s_add_co_i32 s15, s7, s6
	s_add_co_i32 s1, s1, s0
	;; [unrolled: 1-line block ×3, first 2 shown]
	v_or_b32_e32 v4, s1, v0
	s_lshl_b32 s1, s15, 4
	s_add_co_i32 s2, s15, -2
	s_add_co_i32 s0, s0, s1
	s_delay_alu instid0(SALU_CYCLE_1)
	s_add_co_i32 s0, s0, -16
	s_wait_kmcnt 0x0
	global_load_b32 v3, v4, s[8:9] scale_offset
	s_ashr_i32 s1, s0, 31
	v_ashrrev_i32_e32 v5, 31, v4
	s_lshl_b64 s[0:1], s[0:1], 3
	s_cmp_lt_i32 s2, s7
	s_add_nc_u64 s[0:1], s[10:11], s[0:1]
	s_load_b32 s16, s[0:1], 0x4
	s_cbranch_scc1 .LBB41_4
; %bb.2:
	s_wait_xcnt 0x0
	s_load_b32 s0, s[0:1], 0x0
	s_add_co_i32 s14, s14, 1
	s_lshl_b32 s3, s13, 7
	s_wait_xcnt 0x0
	s_mul_i32 s1, s6, s14
	s_lshl_b32 s6, s12, 6
	s_lshl_b32 s13, s1, 10
	s_add_co_i32 s6, s6, s3
	s_lshl_b32 s1, s1, 4
	s_add_co_i32 s6, s6, s13
	s_lshl_b32 s2, s4, 6
	s_wait_kmcnt 0x0
	v_dual_mov_b32 v2, s16 :: v_dual_bitop2_b32 v0, s6, v0 bitop3:0x54
	s_add_co_i32 s1, s12, s1
	s_lshl_b32 s4, s4, 4
	s_ashr_i32 s3, s2, 31
	s_add_co_i32 s1, s1, s4
	v_add_nc_u32_e32 v0, 0xfffff800, v0
	s_lshl_b64 s[2:3], s[2:3], 2
	s_add_co_i32 s4, s1, s5
	s_add_nc_u64 s[2:3], s[10:11], s[2:3]
	s_add_co_i32 s1, s15, -1
	s_sub_co_i32 s4, s4, 32
.LBB41_3:                               ; =>This Inner Loop Header: Depth=1
	global_load_b32 v7, v0, s[2:3] scale_offset
	s_ashr_i32 s5, s4, 31
	v_max_num_f32_e64 v1, s0, s0
	s_lshl_b64 s[12:13], s[4:5], 3
	s_delay_alu instid0(SALU_CYCLE_1) | instskip(SKIP_1) | instid1(VALU_DEP_1)
	s_add_nc_u64 s[12:13], s[10:11], s[12:13]
	s_load_b64 s[12:13], s[12:13], 0x0
	v_readfirstlane_b32 s5, v1
	v_add_nc_u32_e32 v0, 0xfffffc00, v0
	s_wait_kmcnt 0x0
	v_max_num_f32_e64 v1, s12, s12
	s_delay_alu instid0(VALU_DEP_1) | instskip(SKIP_1) | instid1(SALU_CYCLE_3)
	v_readfirstlane_b32 s6, v1
	s_max_num_f32 s5, s5, s6
	s_sub_f32 s0, s0, s5
	s_sub_f32 s6, s12, s5
	s_delay_alu instid0(SALU_CYCLE_2) | instskip(NEXT) | instid1(SALU_CYCLE_2)
	s_mul_f32 s12, s0, 0x3fb8aa3b
	s_mul_f32 s14, s6, 0x3fb8aa3b
	s_delay_alu instid0(SALU_CYCLE_2)
	s_xor_b32 s15, s12, 0x80000000
	s_rndne_f32 s16, s12
	s_fmamk_f32 s15, s0, 0x3fb8aa3b, s15
	s_cmp_nlt_f32 s0, 0xc2ce8ed0
	s_rndne_f32 s17, s14
	s_sub_f32 s12, s12, s16
	s_fmamk_f32 s15, s0, 0x32a5705f, s15
	s_cselect_b32 vcc_lo, -1, 0
	s_cmp_ngt_f32 s0, 0x42b17218
	s_delay_alu instid0(SALU_CYCLE_1) | instskip(SKIP_2) | instid1(SALU_CYCLE_1)
	s_add_f32 s12, s12, s15
	s_cvt_i32_f32 s15, s16
	s_sub_f32 s16, s14, s17
	v_s_exp_f32 s12, s12
	v_nop
	s_delay_alu instid0(TRANS32_DEP_1) | instskip(SKIP_1) | instid1(VALU_DEP_1)
	v_ldexp_f32 v1, s12, s15
	s_cvt_i32_f32 s12, s17
	v_cndmask_b32_e32 v1, 0, v1, vcc_lo
	s_cselect_b32 vcc_lo, -1, 0
	s_cmp_ge_f32 s0, 0xc1a00000
	s_delay_alu instid0(VALU_DEP_1)
	v_cndmask_b32_e32 v1, 0x7f800000, v1, vcc_lo
	s_cselect_b32 vcc_lo, -1, 0
	s_xor_b32 s0, s14, 0x80000000
	s_cmp_nlt_f32 s6, 0xc2ce8ed0
	s_fmamk_f32 s0, s6, 0x3fb8aa3b, s0
	v_cndmask_b32_e32 v10, 0, v1, vcc_lo
	s_delay_alu instid0(SALU_CYCLE_2) | instskip(NEXT) | instid1(SALU_CYCLE_3)
	s_fmamk_f32 s0, s6, 0x32a5705f, s0
	s_add_f32 s0, s16, s0
	s_delay_alu instid0(SALU_CYCLE_3) | instskip(SKIP_1) | instid1(TRANS32_DEP_1)
	v_s_exp_f32 s0, s0
	v_nop
	v_ldexp_f32 v6, s0, s12
	s_cselect_b32 s0, -1, 0
	s_cmp_ngt_f32 s6, 0x42b17218
	s_delay_alu instid0(VALU_DEP_1) | instskip(SKIP_2) | instid1(VALU_DEP_1)
	v_cndmask_b32_e64 v6, 0, v6, s0
	s_cselect_b32 s0, -1, 0
	s_cmp_ge_f32 s6, 0xc1a00000
	v_cndmask_b32_e64 v8, 0x7f800000, v6, s0
	s_cselect_b32 s0, -1, 0
	v_mov_b32_e32 v6, s13
	s_add_co_i32 s1, s1, -1
	s_add_co_i32 s4, s4, -16
	v_cndmask_b32_e64 v8, 0, v8, s0
	s_cmp_le_i32 s1, s7
	s_mov_b32 s0, s5
	s_wait_loadcnt 0x0
	s_delay_alu instid0(VALU_DEP_1) | instskip(NEXT) | instid1(VALU_DEP_1)
	v_pk_mul_f32 v[6:7], v[6:7], v[8:9] op_sel_hi:[1,0]
	v_pk_fma_f32 v[2:3], v[2:3], v[10:11], v[6:7] op_sel_hi:[1,0,1]
	s_cbranch_scc0 .LBB41_3
	s_branch .LBB41_5
.LBB41_4:
	s_wait_kmcnt 0x0
	v_mov_b32_e32 v2, s16
.LBB41_5:
	v_lshl_add_u64 v[0:1], v[4:5], 2, s[8:9]
	s_wait_loadcnt 0x0
	s_delay_alu instid0(VALU_DEP_2) | instskip(NEXT) | instid1(VALU_DEP_1)
	v_div_scale_f32 v4, null, v2, v2, v3
	v_rcp_f32_e32 v5, v4
	v_nop
	s_delay_alu instid0(TRANS32_DEP_1) | instskip(NEXT) | instid1(VALU_DEP_1)
	v_fma_f32 v6, -v4, v5, 1.0
	v_fmac_f32_e32 v5, v6, v5
	v_div_scale_f32 v6, vcc_lo, v3, v2, v3
	s_delay_alu instid0(VALU_DEP_1) | instskip(NEXT) | instid1(VALU_DEP_1)
	v_mul_f32_e32 v7, v6, v5
	v_fma_f32 v8, -v4, v7, v6
	s_delay_alu instid0(VALU_DEP_1) | instskip(NEXT) | instid1(VALU_DEP_1)
	v_fmac_f32_e32 v7, v8, v5
	v_fma_f32 v4, -v4, v7, v6
	s_delay_alu instid0(VALU_DEP_1) | instskip(NEXT) | instid1(VALU_DEP_1)
	v_div_fmas_f32 v4, v4, v5, v7
	v_div_fixup_f32 v2, v4, v2, v3
	global_store_b32 v[0:1], v2, off
.LBB41_6:
	s_endpgm
	.section	.rodata,"a",@progbits
	.p2align	6, 0x0
	.amdhsa_kernel _ZL33flash_attn_stream_k_fixup_uniformILi64ELi8ELi2EEvPfPK15HIP_vector_typeIfLj2EEiiiiiiS1_IjLj3EES5_S5_
		.amdhsa_group_segment_fixed_size 0
		.amdhsa_private_segment_fixed_size 0
		.amdhsa_kernarg_size 76
		.amdhsa_user_sgpr_count 2
		.amdhsa_user_sgpr_dispatch_ptr 0
		.amdhsa_user_sgpr_queue_ptr 0
		.amdhsa_user_sgpr_kernarg_segment_ptr 1
		.amdhsa_user_sgpr_dispatch_id 0
		.amdhsa_user_sgpr_kernarg_preload_length 0
		.amdhsa_user_sgpr_kernarg_preload_offset 0
		.amdhsa_user_sgpr_private_segment_size 0
		.amdhsa_wavefront_size32 1
		.amdhsa_uses_dynamic_stack 0
		.amdhsa_enable_private_segment 0
		.amdhsa_system_sgpr_workgroup_id_x 1
		.amdhsa_system_sgpr_workgroup_id_y 1
		.amdhsa_system_sgpr_workgroup_id_z 1
		.amdhsa_system_sgpr_workgroup_info 0
		.amdhsa_system_vgpr_workitem_id 0
		.amdhsa_next_free_vgpr 12
		.amdhsa_next_free_sgpr 21
		.amdhsa_named_barrier_count 0
		.amdhsa_reserve_vcc 1
		.amdhsa_float_round_mode_32 0
		.amdhsa_float_round_mode_16_64 0
		.amdhsa_float_denorm_mode_32 3
		.amdhsa_float_denorm_mode_16_64 3
		.amdhsa_fp16_overflow 0
		.amdhsa_memory_ordered 1
		.amdhsa_forward_progress 1
		.amdhsa_inst_pref_size 9
		.amdhsa_round_robin_scheduling 0
		.amdhsa_exception_fp_ieee_invalid_op 0
		.amdhsa_exception_fp_denorm_src 0
		.amdhsa_exception_fp_ieee_div_zero 0
		.amdhsa_exception_fp_ieee_overflow 0
		.amdhsa_exception_fp_ieee_underflow 0
		.amdhsa_exception_fp_ieee_inexact 0
		.amdhsa_exception_int_div_zero 0
	.end_amdhsa_kernel
	.section	.text._ZL33flash_attn_stream_k_fixup_uniformILi64ELi8ELi2EEvPfPK15HIP_vector_typeIfLj2EEiiiiiiS1_IjLj3EES5_S5_,"axG",@progbits,_ZL33flash_attn_stream_k_fixup_uniformILi64ELi8ELi2EEvPfPK15HIP_vector_typeIfLj2EEiiiiiiS1_IjLj3EES5_S5_,comdat
.Lfunc_end41:
	.size	_ZL33flash_attn_stream_k_fixup_uniformILi64ELi8ELi2EEvPfPK15HIP_vector_typeIfLj2EEiiiiiiS1_IjLj3EES5_S5_, .Lfunc_end41-_ZL33flash_attn_stream_k_fixup_uniformILi64ELi8ELi2EEvPfPK15HIP_vector_typeIfLj2EEiiiiiiS1_IjLj3EES5_S5_
                                        ; -- End function
	.set _ZL33flash_attn_stream_k_fixup_uniformILi64ELi8ELi2EEvPfPK15HIP_vector_typeIfLj2EEiiiiiiS1_IjLj3EES5_S5_.num_vgpr, 12
	.set _ZL33flash_attn_stream_k_fixup_uniformILi64ELi8ELi2EEvPfPK15HIP_vector_typeIfLj2EEiiiiiiS1_IjLj3EES5_S5_.num_agpr, 0
	.set _ZL33flash_attn_stream_k_fixup_uniformILi64ELi8ELi2EEvPfPK15HIP_vector_typeIfLj2EEiiiiiiS1_IjLj3EES5_S5_.numbered_sgpr, 21
	.set _ZL33flash_attn_stream_k_fixup_uniformILi64ELi8ELi2EEvPfPK15HIP_vector_typeIfLj2EEiiiiiiS1_IjLj3EES5_S5_.num_named_barrier, 0
	.set _ZL33flash_attn_stream_k_fixup_uniformILi64ELi8ELi2EEvPfPK15HIP_vector_typeIfLj2EEiiiiiiS1_IjLj3EES5_S5_.private_seg_size, 0
	.set _ZL33flash_attn_stream_k_fixup_uniformILi64ELi8ELi2EEvPfPK15HIP_vector_typeIfLj2EEiiiiiiS1_IjLj3EES5_S5_.uses_vcc, 1
	.set _ZL33flash_attn_stream_k_fixup_uniformILi64ELi8ELi2EEvPfPK15HIP_vector_typeIfLj2EEiiiiiiS1_IjLj3EES5_S5_.uses_flat_scratch, 0
	.set _ZL33flash_attn_stream_k_fixup_uniformILi64ELi8ELi2EEvPfPK15HIP_vector_typeIfLj2EEiiiiiiS1_IjLj3EES5_S5_.has_dyn_sized_stack, 0
	.set _ZL33flash_attn_stream_k_fixup_uniformILi64ELi8ELi2EEvPfPK15HIP_vector_typeIfLj2EEiiiiiiS1_IjLj3EES5_S5_.has_recursion, 0
	.set _ZL33flash_attn_stream_k_fixup_uniformILi64ELi8ELi2EEvPfPK15HIP_vector_typeIfLj2EEiiiiiiS1_IjLj3EES5_S5_.has_indirect_call, 0
	.section	.AMDGPU.csdata,"",@progbits
; Kernel info:
; codeLenInByte = 1092
; TotalNumSgprs: 23
; NumVgprs: 12
; ScratchSize: 0
; MemoryBound: 0
; FloatMode: 240
; IeeeMode: 1
; LDSByteSize: 0 bytes/workgroup (compile time only)
; SGPRBlocks: 0
; VGPRBlocks: 0
; NumSGPRsForWavesPerEU: 23
; NumVGPRsForWavesPerEU: 12
; NamedBarCnt: 0
; Occupancy: 16
; WaveLimiterHint : 0
; COMPUTE_PGM_RSRC2:SCRATCH_EN: 0
; COMPUTE_PGM_RSRC2:USER_SGPR: 2
; COMPUTE_PGM_RSRC2:TRAP_HANDLER: 0
; COMPUTE_PGM_RSRC2:TGID_X_EN: 1
; COMPUTE_PGM_RSRC2:TGID_Y_EN: 1
; COMPUTE_PGM_RSRC2:TGID_Z_EN: 1
; COMPUTE_PGM_RSRC2:TIDIG_COMP_CNT: 0
	.section	.text._ZL33flash_attn_stream_k_fixup_generalILi64ELi8ELi2EEvPfPK15HIP_vector_typeIfLj2EEiiiiS1_IjLj3EES5_S5_S5_,"axG",@progbits,_ZL33flash_attn_stream_k_fixup_generalILi64ELi8ELi2EEvPfPK15HIP_vector_typeIfLj2EEiiiiS1_IjLj3EES5_S5_S5_,comdat
	.globl	_ZL33flash_attn_stream_k_fixup_generalILi64ELi8ELi2EEvPfPK15HIP_vector_typeIfLj2EEiiiiS1_IjLj3EES5_S5_S5_ ; -- Begin function _ZL33flash_attn_stream_k_fixup_generalILi64ELi8ELi2EEvPfPK15HIP_vector_typeIfLj2EEiiiiS1_IjLj3EES5_S5_S5_
	.p2align	8
	.type	_ZL33flash_attn_stream_k_fixup_generalILi64ELi8ELi2EEvPfPK15HIP_vector_typeIfLj2EEiiiiS1_IjLj3EES5_S5_S5_,@function
_ZL33flash_attn_stream_k_fixup_generalILi64ELi8ELi2EEvPfPK15HIP_vector_typeIfLj2EEiiiiS1_IjLj3EES5_S5_S5_: ; @_ZL33flash_attn_stream_k_fixup_generalILi64ELi8ELi2EEvPfPK15HIP_vector_typeIfLj2EEiiiiS1_IjLj3EES5_S5_S5_
; %bb.0:
	s_clause 0x1
	s_load_b128 s[4:7], s[0:1], 0x10
	s_load_b32 s16, s[0:1], 0x50
	s_bfe_u32 s2, ttmp6, 0x4000c
	s_and_b32 s3, ttmp6, 15
	s_add_co_i32 s2, s2, 1
	s_getreg_b32 s15, hwreg(HW_REG_IB_STS2, 6, 4)
	s_mul_i32 s2, ttmp9, s2
	s_mov_b32 s17, 0
	s_add_co_i32 s3, s3, s2
	s_cmp_eq_u32 s15, 0
	s_cselect_b32 s2, ttmp9, s3
	s_delay_alu instid0(SALU_CYCLE_1) | instskip(SKIP_3) | instid1(SALU_CYCLE_1)
	s_ashr_i32 s3, s2, 31
	s_wait_kmcnt 0x0
	s_ashr_i32 s19, s7, 31
	s_mov_b32 s18, s7
	s_mul_u64 s[8:9], s[18:19], s[2:3]
	s_delay_alu instid0(SALU_CYCLE_1) | instskip(NEXT) | instid1(SALU_CYCLE_1)
	s_and_b64 s[10:11], s[8:9], 0xffffffff00000000
	s_cmp_lg_u64 s[10:11], 0
	s_cbranch_scc0 .LBB42_21
; %bb.1:
	s_add_nc_u64 s[10:11], s[16:17], 0
	s_mov_b32 s23, s17
	s_xor_b64 s[10:11], s[10:11], 0
	s_mov_b32 s27, s17
	s_cvt_f32_u32 s3, s10
	s_cvt_f32_u32 s7, s11
	s_sub_nc_u64 s[20:21], 0, s[10:11]
	s_delay_alu instid0(SALU_CYCLE_2) | instskip(NEXT) | instid1(SALU_CYCLE_3)
	s_fmamk_f32 s3, s7, 0x4f800000, s3
	v_s_rcp_f32 s3, s3
	s_delay_alu instid0(TRANS32_DEP_1) | instskip(NEXT) | instid1(SALU_CYCLE_3)
	s_mul_f32 s3, s3, 0x5f7ffffc
	s_mul_f32 s7, s3, 0x2f800000
	s_delay_alu instid0(SALU_CYCLE_3) | instskip(NEXT) | instid1(SALU_CYCLE_3)
	s_trunc_f32 s7, s7
	s_fmamk_f32 s3, s7, 0xcf800000, s3
	s_cvt_u32_f32 s13, s7
	s_delay_alu instid0(SALU_CYCLE_2) | instskip(NEXT) | instid1(SALU_CYCLE_3)
	s_cvt_u32_f32 s12, s3
	s_mul_u64 s[24:25], s[20:21], s[12:13]
	s_delay_alu instid0(SALU_CYCLE_1)
	s_mul_hi_u32 s29, s12, s25
	s_mul_i32 s28, s12, s25
	s_mul_hi_u32 s22, s12, s24
	s_mul_i32 s7, s13, s24
	s_add_nc_u64 s[22:23], s[22:23], s[28:29]
	s_mul_hi_u32 s3, s13, s24
	s_mul_hi_u32 s14, s13, s25
	s_add_co_u32 s7, s22, s7
	s_add_co_ci_u32 s26, s23, s3
	s_mul_i32 s24, s13, s25
	s_add_co_ci_u32 s25, s14, 0
	s_delay_alu instid0(SALU_CYCLE_1) | instskip(SKIP_3) | instid1(SALU_CYCLE_1)
	s_add_nc_u64 s[22:23], s[26:27], s[24:25]
	s_mov_b32 s25, s17
	s_add_co_u32 s12, s12, s22
	s_cselect_b32 s3, -1, 0
	s_cmp_lg_u32 s3, 0
	s_add_co_ci_u32 s13, s13, s23
	s_mov_b32 s23, s17
	s_mul_u64 s[20:21], s[20:21], s[12:13]
	s_delay_alu instid0(SALU_CYCLE_1)
	s_mul_hi_u32 s27, s12, s21
	s_mul_i32 s26, s12, s21
	s_mul_hi_u32 s22, s12, s20
	s_mul_i32 s7, s13, s20
	s_add_nc_u64 s[22:23], s[22:23], s[26:27]
	s_mul_hi_u32 s3, s13, s20
	s_mul_hi_u32 s14, s13, s21
	s_add_co_u32 s7, s22, s7
	s_add_co_ci_u32 s24, s23, s3
	s_mul_i32 s20, s13, s21
	s_add_co_ci_u32 s21, s14, 0
	s_mov_b32 s23, s17
	s_add_nc_u64 s[20:21], s[24:25], s[20:21]
	s_delay_alu instid0(SALU_CYCLE_1) | instskip(SKIP_1) | instid1(SALU_CYCLE_1)
	s_add_co_u32 s3, s12, s20
	s_cselect_b32 s7, -1, 0
	s_cmp_lg_u32 s7, 0
	s_add_co_ci_u32 s7, s13, s21
	s_ashr_i32 s12, s9, 31
	s_delay_alu instid0(SALU_CYCLE_1) | instskip(NEXT) | instid1(SALU_CYCLE_1)
	s_mov_b32 s13, s12
	s_add_nc_u64 s[20:21], s[8:9], s[12:13]
	s_delay_alu instid0(SALU_CYCLE_1) | instskip(NEXT) | instid1(SALU_CYCLE_1)
	s_xor_b64 s[20:21], s[20:21], s[12:13]
	s_mul_hi_u32 s27, s20, s7
	s_mul_i32 s26, s20, s7
	s_mul_hi_u32 s22, s20, s3
	s_mul_hi_u32 s14, s21, s3
	s_mul_i32 s3, s21, s3
	s_add_nc_u64 s[22:23], s[22:23], s[26:27]
	s_mul_hi_u32 s9, s21, s7
	s_add_co_u32 s3, s22, s3
	s_add_co_ci_u32 s24, s23, s14
	s_mul_i32 s26, s21, s7
	s_add_co_ci_u32 s27, s9, 0
	s_delay_alu instid0(SALU_CYCLE_1) | instskip(NEXT) | instid1(SALU_CYCLE_1)
	s_add_nc_u64 s[22:23], s[24:25], s[26:27]
	s_and_b64 s[24:25], s[22:23], 0xffffffff00000000
	s_delay_alu instid0(SALU_CYCLE_1) | instskip(NEXT) | instid1(SALU_CYCLE_1)
	s_or_b32 s24, s24, s22
	s_mul_u64 s[22:23], s[10:11], s[24:25]
	s_add_nc_u64 s[26:27], s[24:25], 1
	s_sub_co_u32 s3, s20, s22
	s_cselect_b32 s7, -1, 0
	s_sub_co_i32 s9, s21, s23
	s_cmp_lg_u32 s7, 0
	s_add_nc_u64 s[28:29], s[24:25], 2
	s_sub_co_ci_u32 s9, s9, s11
	s_sub_co_u32 s14, s3, s10
	s_cselect_b32 s20, -1, 0
	s_delay_alu instid0(SALU_CYCLE_1) | instskip(SKIP_1) | instid1(SALU_CYCLE_1)
	s_cmp_lg_u32 s20, 0
	s_sub_co_ci_u32 s9, s9, 0
	s_cmp_ge_u32 s9, s11
	s_cselect_b32 s20, -1, 0
	s_cmp_ge_u32 s14, s10
	s_cselect_b32 s14, -1, 0
	s_cmp_eq_u32 s9, s11
	s_cselect_b32 s9, s14, s20
	s_delay_alu instid0(SALU_CYCLE_1) | instskip(SKIP_4) | instid1(SALU_CYCLE_1)
	s_cmp_lg_u32 s9, 0
	s_cselect_b32 s9, s28, s26
	s_cselect_b32 s14, s29, s27
	s_cmp_lg_u32 s7, 0
	s_sub_co_ci_u32 s7, s21, s23
	s_cmp_ge_u32 s7, s11
	s_cselect_b32 s20, -1, 0
	s_cmp_ge_u32 s3, s10
	s_cselect_b32 s3, -1, 0
	s_cmp_eq_u32 s7, s11
	s_cselect_b32 s3, s3, s20
	s_delay_alu instid0(SALU_CYCLE_1) | instskip(SKIP_4) | instid1(SALU_CYCLE_1)
	s_cmp_lg_u32 s3, 0
	s_mov_b32 s3, s17
	s_cselect_b32 s11, s14, s25
	s_cselect_b32 s10, s9, s24
	s_xor_b64 s[12:13], s[12:13], 0
	s_xor_b64 s[10:11], s[10:11], s[12:13]
	s_delay_alu instid0(SALU_CYCLE_1)
	s_sub_nc_u64 s[20:21], s[10:11], s[12:13]
	s_and_not1_b32 vcc_lo, exec_lo, s3
	s_cbranch_vccnz .LBB42_3
.LBB42_2:
	v_cvt_f32_u32_e32 v1, s16
	s_sub_co_i32 s7, 0, s16
	s_mov_b32 s21, 0
	s_delay_alu instid0(VALU_DEP_1) | instskip(SKIP_1) | instid1(TRANS32_DEP_1)
	v_rcp_iflag_f32_e32 v1, v1
	v_nop
	v_mul_f32_e32 v1, 0x4f7ffffe, v1
	s_delay_alu instid0(VALU_DEP_1) | instskip(NEXT) | instid1(VALU_DEP_1)
	v_cvt_u32_f32_e32 v1, v1
	v_readfirstlane_b32 s3, v1
	s_mul_i32 s7, s7, s3
	s_delay_alu instid0(SALU_CYCLE_1) | instskip(NEXT) | instid1(SALU_CYCLE_1)
	s_mul_hi_u32 s7, s3, s7
	s_add_co_i32 s3, s3, s7
	s_delay_alu instid0(SALU_CYCLE_1) | instskip(NEXT) | instid1(SALU_CYCLE_1)
	s_mul_hi_u32 s3, s8, s3
	s_mul_i32 s7, s3, s16
	s_delay_alu instid0(SALU_CYCLE_1)
	s_sub_co_i32 s7, s8, s7
	s_add_co_i32 s8, s3, 1
	s_sub_co_i32 s9, s7, s16
	s_cmp_ge_u32 s7, s16
	s_cselect_b32 s3, s8, s3
	s_cselect_b32 s7, s9, s7
	s_add_co_i32 s8, s3, 1
	s_cmp_ge_u32 s7, s16
	s_cselect_b32 s20, s8, s3
.LBB42_3:
	s_add_co_i32 s8, s2, 1
	s_delay_alu instid0(SALU_CYCLE_1) | instskip(NEXT) | instid1(SALU_CYCLE_1)
	s_ashr_i32 s9, s8, 31
	s_mul_u64 s[8:9], s[18:19], s[8:9]
	s_delay_alu instid0(SALU_CYCLE_1) | instskip(NEXT) | instid1(SALU_CYCLE_1)
	s_and_b64 s[10:11], s[8:9], 0xffffffff00000000
	s_cmp_lg_u64 s[10:11], 0
	s_cbranch_scc0 .LBB42_22
; %bb.4:
	s_add_nc_u64 s[10:11], s[16:17], 0
	s_delay_alu instid0(SALU_CYCLE_1) | instskip(SKIP_4) | instid1(SALU_CYCLE_2)
	s_xor_b64 s[12:13], s[10:11], 0
	s_mov_b32 s11, 0
	s_cvt_f32_u32 s3, s12
	s_cvt_f32_u32 s7, s13
	s_sub_nc_u64 s[24:25], 0, s[12:13]
	s_fmamk_f32 s3, s7, 0x4f800000, s3
	s_delay_alu instid0(SALU_CYCLE_3) | instskip(NEXT) | instid1(TRANS32_DEP_1)
	v_s_rcp_f32 s3, s3
	s_mul_f32 s3, s3, 0x5f7ffffc
	s_delay_alu instid0(SALU_CYCLE_3) | instskip(NEXT) | instid1(SALU_CYCLE_3)
	s_mul_f32 s7, s3, 0x2f800000
	s_trunc_f32 s7, s7
	s_delay_alu instid0(SALU_CYCLE_3) | instskip(SKIP_1) | instid1(SALU_CYCLE_2)
	s_fmamk_f32 s3, s7, 0xcf800000, s3
	s_cvt_u32_f32 s23, s7
	s_cvt_u32_f32 s22, s3
	s_delay_alu instid0(SALU_CYCLE_3) | instskip(NEXT) | instid1(SALU_CYCLE_1)
	s_mul_u64 s[26:27], s[24:25], s[22:23]
	s_mul_hi_u32 s29, s22, s27
	s_mul_i32 s28, s22, s27
	s_mul_hi_u32 s10, s22, s26
	s_mul_i32 s7, s23, s26
	s_add_nc_u64 s[28:29], s[10:11], s[28:29]
	s_mul_hi_u32 s3, s23, s26
	s_mul_hi_u32 s14, s23, s27
	s_add_co_u32 s7, s28, s7
	s_add_co_ci_u32 s10, s29, s3
	s_mul_i32 s26, s23, s27
	s_add_co_ci_u32 s27, s14, 0
	s_delay_alu instid0(SALU_CYCLE_1) | instskip(NEXT) | instid1(SALU_CYCLE_1)
	s_add_nc_u64 s[26:27], s[10:11], s[26:27]
	s_add_co_u32 s22, s22, s26
	s_cselect_b32 s3, -1, 0
	s_delay_alu instid0(SALU_CYCLE_1) | instskip(SKIP_1) | instid1(SALU_CYCLE_1)
	s_cmp_lg_u32 s3, 0
	s_add_co_ci_u32 s23, s23, s27
	s_mul_u64 s[24:25], s[24:25], s[22:23]
	s_delay_alu instid0(SALU_CYCLE_1)
	s_mul_hi_u32 s27, s22, s25
	s_mul_i32 s26, s22, s25
	s_mul_hi_u32 s10, s22, s24
	s_mul_i32 s7, s23, s24
	s_add_nc_u64 s[26:27], s[10:11], s[26:27]
	s_mul_hi_u32 s3, s23, s24
	s_mul_hi_u32 s14, s23, s25
	s_add_co_u32 s7, s26, s7
	s_add_co_ci_u32 s10, s27, s3
	s_mul_i32 s24, s23, s25
	s_add_co_ci_u32 s25, s14, 0
	s_delay_alu instid0(SALU_CYCLE_1) | instskip(NEXT) | instid1(SALU_CYCLE_1)
	s_add_nc_u64 s[24:25], s[10:11], s[24:25]
	s_add_co_u32 s3, s22, s24
	s_cselect_b32 s7, -1, 0
	s_delay_alu instid0(SALU_CYCLE_1) | instskip(SKIP_2) | instid1(SALU_CYCLE_1)
	s_cmp_lg_u32 s7, 0
	s_add_co_ci_u32 s7, s23, s25
	s_ashr_i32 s22, s9, 31
	s_mov_b32 s23, s22
	s_delay_alu instid0(SALU_CYCLE_1) | instskip(NEXT) | instid1(SALU_CYCLE_1)
	s_add_nc_u64 s[24:25], s[8:9], s[22:23]
	s_xor_b64 s[24:25], s[24:25], s[22:23]
	s_delay_alu instid0(SALU_CYCLE_1)
	s_mul_hi_u32 s27, s24, s7
	s_mul_i32 s26, s24, s7
	s_mul_hi_u32 s10, s24, s3
	s_mul_hi_u32 s14, s25, s3
	s_mul_i32 s3, s25, s3
	s_add_nc_u64 s[26:27], s[10:11], s[26:27]
	s_mul_hi_u32 s9, s25, s7
	s_add_co_u32 s3, s26, s3
	s_add_co_ci_u32 s10, s27, s14
	s_mul_i32 s28, s25, s7
	s_add_co_ci_u32 s29, s9, 0
	s_delay_alu instid0(SALU_CYCLE_1) | instskip(NEXT) | instid1(SALU_CYCLE_1)
	s_add_nc_u64 s[26:27], s[10:11], s[28:29]
	s_and_b64 s[28:29], s[26:27], 0xffffffff00000000
	s_delay_alu instid0(SALU_CYCLE_1) | instskip(NEXT) | instid1(SALU_CYCLE_1)
	s_or_b32 s28, s28, s26
	s_mul_u64 s[26:27], s[12:13], s[28:29]
	s_add_nc_u64 s[30:31], s[28:29], 1
	s_sub_co_u32 s3, s24, s26
	s_cselect_b32 s7, -1, 0
	s_sub_co_i32 s9, s25, s27
	s_cmp_lg_u32 s7, 0
	s_add_nc_u64 s[34:35], s[28:29], 2
	s_sub_co_ci_u32 s9, s9, s13
	s_sub_co_u32 s10, s3, s12
	s_cselect_b32 s14, -1, 0
	s_delay_alu instid0(SALU_CYCLE_1) | instskip(SKIP_1) | instid1(SALU_CYCLE_1)
	s_cmp_lg_u32 s14, 0
	s_sub_co_ci_u32 s9, s9, 0
	s_cmp_ge_u32 s9, s13
	s_cselect_b32 s14, -1, 0
	s_cmp_ge_u32 s10, s12
	s_cselect_b32 s10, -1, 0
	s_cmp_eq_u32 s9, s13
	s_cselect_b32 s9, s10, s14
	s_delay_alu instid0(SALU_CYCLE_1) | instskip(SKIP_4) | instid1(SALU_CYCLE_1)
	s_cmp_lg_u32 s9, 0
	s_cselect_b32 s9, s34, s30
	s_cselect_b32 s10, s35, s31
	s_cmp_lg_u32 s7, 0
	s_sub_co_ci_u32 s7, s25, s27
	s_cmp_ge_u32 s7, s13
	s_cselect_b32 s14, -1, 0
	s_cmp_ge_u32 s3, s12
	s_cselect_b32 s3, -1, 0
	s_cmp_eq_u32 s7, s13
	s_cselect_b32 s3, s3, s14
	s_delay_alu instid0(SALU_CYCLE_1) | instskip(SKIP_3) | instid1(SALU_CYCLE_1)
	s_cmp_lg_u32 s3, 0
	s_cselect_b32 s13, s10, s29
	s_cselect_b32 s12, s9, s28
	s_xor_b64 s[22:23], s[22:23], 0
	s_xor_b64 s[12:13], s[12:13], s[22:23]
	s_delay_alu instid0(SALU_CYCLE_1)
	s_sub_nc_u64 s[24:25], s[12:13], s[22:23]
	s_load_b96 s[12:14], s[0:1], 0x44
	s_cbranch_execnz .LBB42_6
.LBB42_5:
	v_cvt_f32_u32_e32 v1, s16
	s_sub_co_i32 s7, 0, s16
	s_delay_alu instid0(VALU_DEP_1) | instskip(SKIP_1) | instid1(TRANS32_DEP_1)
	v_rcp_iflag_f32_e32 v1, v1
	v_nop
	v_mul_f32_e32 v1, 0x4f7ffffe, v1
	s_delay_alu instid0(VALU_DEP_1) | instskip(NEXT) | instid1(VALU_DEP_1)
	v_cvt_u32_f32_e32 v1, v1
	v_readfirstlane_b32 s3, v1
	s_mul_i32 s7, s7, s3
	s_delay_alu instid0(SALU_CYCLE_1) | instskip(NEXT) | instid1(SALU_CYCLE_1)
	s_mul_hi_u32 s7, s3, s7
	s_add_co_i32 s3, s3, s7
	s_delay_alu instid0(SALU_CYCLE_1) | instskip(NEXT) | instid1(SALU_CYCLE_1)
	s_mul_hi_u32 s3, s8, s3
	s_mul_i32 s7, s3, s16
	s_delay_alu instid0(SALU_CYCLE_1)
	s_sub_co_i32 s7, s8, s7
	s_add_co_i32 s8, s3, 1
	s_sub_co_i32 s9, s7, s16
	s_cmp_ge_u32 s7, s16
	s_cselect_b32 s3, s8, s3
	s_cselect_b32 s7, s9, s7
	s_add_co_i32 s8, s3, 1
	s_cmp_ge_u32 s7, s16
	s_cselect_b32 s24, s8, s3
.LBB42_6:
	s_delay_alu instid0(SALU_CYCLE_1)
	s_cmp_eq_u32 s20, s24
	s_mov_b64 s[8:9], 0xffffffff
	s_cselect_b32 s3, -1, 0
	s_and_b64 s[8:9], s[20:21], s[8:9]
	s_mov_b32 s23, 0
	s_wait_kmcnt 0x0
	s_mov_b32 s22, s12
	s_mov_b32 s25, s23
	s_mul_u64 s[10:11], s[8:9], s[22:23]
	s_delay_alu instid0(SALU_CYCLE_1) | instskip(SKIP_2) | instid1(SALU_CYCLE_1)
	s_add_co_i32 s7, s11, s20
	s_mul_u64 s[10:11], s[24:25], s[22:23]
	s_lshr_b32 s12, s7, s13
	s_mul_i32 s7, s12, s14
	s_delay_alu instid0(SALU_CYCLE_1) | instskip(SKIP_2) | instid1(SALU_CYCLE_1)
	s_cmp_eq_u32 s7, s20
	s_cselect_b32 s7, -1, 0
	s_add_co_i32 s10, s11, s24
	s_lshr_b32 s10, s10, s13
	s_delay_alu instid0(SALU_CYCLE_1)
	s_cmp_eq_u32 s12, s10
	s_mul_i32 s10, s10, s14
	s_cselect_b32 s11, -1, 0
	s_cmp_lg_u32 s10, s24
	s_cselect_b32 s10, -1, 0
	s_or_b32 s3, s3, s7
	s_and_b32 s10, s11, s10
	s_delay_alu instid0(SALU_CYCLE_1) | instskip(NEXT) | instid1(SALU_CYCLE_1)
	s_or_b32 s3, s3, s10
	s_and_b32 vcc_lo, exec_lo, s3
	s_cbranch_vccnz .LBB42_24
; %bb.7:
	s_load_b256 s[24:31], s[0:1], 0x20
	s_bfe_u32 s7, ttmp6, 0x40014
	s_bfe_u32 s33, ttmp6, 0x40010
	s_lshr_b32 s3, ttmp7, 16
	s_add_co_i32 s7, s7, 1
	s_and_b32 s21, ttmp7, 0xffff
	s_add_co_i32 s33, s33, 1
	s_bfe_u32 s10, ttmp6, 0x40008
	s_mul_i32 s7, s3, s7
	s_bfe_u32 s34, ttmp6, 0x40004
	s_mul_i32 s33, s21, s33
	s_mov_b32 s11, s23
	s_add_co_i32 s35, s10, s7
	s_add_co_i32 s34, s34, s33
	s_cmp_eq_u32 s15, 0
	s_cselect_b32 s7, s21, s34
	s_cselect_b32 s3, s3, s35
	s_wait_kmcnt 0x0
	s_mov_b32 s10, s24
	s_delay_alu instid0(SALU_CYCLE_1) | instskip(NEXT) | instid1(SALU_CYCLE_1)
	s_mul_u64 s[8:9], s[8:9], s[10:11]
	s_add_co_i32 s8, s9, s20
	s_load_b32 s9, s[0:1], 0x40
	s_lshr_b32 s8, s8, s25
	s_delay_alu instid0(SALU_CYCLE_1) | instskip(NEXT) | instid1(SALU_CYCLE_1)
	s_mul_i32 s10, s8, s26
	s_sub_co_i32 s10, s20, s10
	s_delay_alu instid0(SALU_CYCLE_1) | instskip(NEXT) | instid1(SALU_CYCLE_1)
	s_mul_hi_u32 s11, s10, s27
	s_add_co_i32 s11, s10, s11
	s_delay_alu instid0(SALU_CYCLE_1) | instskip(NEXT) | instid1(SALU_CYCLE_1)
	s_lshr_b32 s15, s11, s28
	s_mul_i32 s11, s15, s29
	s_delay_alu instid0(SALU_CYCLE_1) | instskip(NEXT) | instid1(SALU_CYCLE_1)
	s_sub_co_i32 s10, s10, s11
	s_mul_hi_u32 s11, s10, s30
	s_delay_alu instid0(SALU_CYCLE_1) | instskip(NEXT) | instid1(SALU_CYCLE_1)
	s_add_co_i32 s11, s10, s11
	s_lshr_b32 s26, s11, s31
	s_mov_b32 s11, s23
	s_wait_kmcnt 0x0
	s_mul_i32 s9, s26, s9
	s_delay_alu instid0(SALU_CYCLE_1) | instskip(NEXT) | instid1(SALU_CYCLE_1)
	s_sub_co_i32 s10, s10, s9
	s_mul_u64 s[24:25], s[10:11], s[22:23]
	s_lshl_b32 s24, s26, 1
	s_add_co_i32 s9, s10, s25
	s_delay_alu instid0(SALU_CYCLE_1) | instskip(NEXT) | instid1(SALU_CYCLE_1)
	s_lshr_b32 s21, s9, s13
	s_lshl_b32 s9, s21, 3
	s_delay_alu instid0(SALU_CYCLE_1) | instskip(NEXT) | instid1(SALU_CYCLE_1)
	s_add_co_i32 s9, s9, s7
	s_cmp_lt_i32 s9, s4
	s_cselect_b32 s9, -1, 0
	s_add_co_i32 s10, s24, s3
	s_delay_alu instid0(SALU_CYCLE_1) | instskip(SKIP_1) | instid1(SALU_CYCLE_1)
	s_cmp_lt_i32 s10, s6
	s_cselect_b32 s10, -1, 0
	s_and_b32 s9, s9, s10
	s_delay_alu instid0(SALU_CYCLE_1)
	s_and_not1_b32 vcc_lo, exec_lo, s9
	s_cbranch_vccnz .LBB42_24
; %bb.8:
	s_mul_i32 s4, s8, s4
	s_load_b128 s[8:11], s[0:1], 0x0
	s_wait_xcnt 0x0
	s_add_co_i32 s0, s4, s7
	s_mul_i32 s15, s15, s6
	s_mul_i32 s0, s0, s5
	;; [unrolled: 1-line block ×3, first 2 shown]
	s_add_co_i32 s0, s0, s3
	s_lshl_b32 s1, s1, 9
	s_add_co_i32 s0, s0, s15
	s_lshl_b32 s15, s7, 1
	s_add_co_i32 s0, s0, s24
	s_add_co_i32 s15, s15, s3
	s_lshl_b32 s0, s0, 6
	v_lshl_or_b32 v6, s15, 6, v0
	s_add_co_i32 s1, s1, s0
	v_cvt_f32_u32_e32 v4, s16
	v_or_b32_e32 v2, s1, v0
	s_add_nc_u64 s[0:1], s[16:17], 0
	s_lshl_b32 s24, s16, 6
	s_xor_b64 s[6:7], s[0:1], 0
	s_lshl_b32 s0, s2, 4
	s_cvt_f32_u32 s3, s6
	s_add_co_i32 s0, s15, s0
	s_cvt_f32_u32 s4, s7
	s_ashr_i32 s1, s0, 31
	v_rcp_iflag_f32_e32 v4, v4
	s_lshl_b64 s[0:1], s[0:1], 3
	s_fmamk_f32 s3, s4, 0x4f800000, s3
	s_wait_kmcnt 0x0
	s_add_nc_u64 s[0:1], s[10:11], s[0:1]
	s_mov_b32 s25, 0
	s_load_b64 s[28:29], s[0:1], 0x0
	v_s_rcp_f32 s3, s3
	s_wait_xcnt 0x0
	s_lshl_b64 s[0:1], s[24:25], 2
	s_add_co_i32 s36, s2, -1
	s_add_nc_u64 s[26:27], s[10:11], s[0:1]
	s_sub_nc_u64 s[34:35], 0, s[6:7]
	v_mul_f32_e32 v4, 0x4f7ffffe, v4
	s_delay_alu instid0(TRANS32_DEP_1) | instskip(NEXT) | instid1(VALU_DEP_1)
	s_mul_f32 s3, s3, 0x5f7ffffc
	v_cvt_u32_f32_e32 v7, v4
	s_delay_alu instid0(SALU_CYCLE_2) | instskip(NEXT) | instid1(SALU_CYCLE_3)
	s_mul_f32 s4, s3, 0x2f800000
	s_trunc_f32 s4, s4
	s_wait_kmcnt 0x0
	v_mov_b32_e32 v0, s29
	global_load_b32 v1, v2, s[8:9] scale_offset
	v_ashrrev_i32_e32 v3, 31, v2
	s_fmamk_f32 s0, s4, 0xcf800000, s3
	s_cvt_u32_f32 s31, s4
	s_wait_xcnt 0x0
	s_delay_alu instid0(VALU_DEP_1)
	v_lshl_add_u64 v[2:3], v[2:3], 2, s[8:9]
	s_cvt_u32_f32 s30, s0
	s_mov_b64 s[8:9], 0xffffffff
.LBB42_9:                               ; =>This Inner Loop Header: Depth=1
	s_ashr_i32 s37, s36, 31
                                        ; implicit-def: $sgpr40_sgpr41
	s_delay_alu instid0(SALU_CYCLE_1) | instskip(NEXT) | instid1(SALU_CYCLE_1)
	s_mul_u64 s[0:1], s[36:37], s[18:19]
	s_and_b64 s[2:3], s[0:1], 0xffffffff00000000
	s_delay_alu instid0(SALU_CYCLE_1)
	s_cmp_lg_u64 s[2:3], 0
	s_mov_b32 s2, -1
	s_cbranch_scc0 .LBB42_11
; %bb.10:                               ;   in Loop: Header=BB42_9 Depth=1
	s_mul_u64 s[2:3], s[34:35], s[30:31]
	s_delay_alu instid0(SALU_CYCLE_1)
	s_mul_hi_u32 s5, s30, s3
	s_mul_i32 s4, s30, s3
	s_mul_hi_u32 s24, s30, s2
	s_mul_hi_u32 s17, s31, s2
	s_add_nc_u64 s[4:5], s[24:25], s[4:5]
	s_mul_i32 s2, s31, s2
	s_mul_hi_u32 s21, s31, s3
	s_add_co_u32 s2, s4, s2
	s_add_co_ci_u32 s24, s5, s17
	s_add_co_ci_u32 s5, s21, 0
	s_mul_i32 s4, s31, s3
	s_delay_alu instid0(SALU_CYCLE_1) | instskip(NEXT) | instid1(SALU_CYCLE_1)
	s_add_nc_u64 s[2:3], s[24:25], s[4:5]
	s_add_co_u32 s2, s30, s2
	s_cselect_b32 s4, -1, 0
	s_delay_alu instid0(SALU_CYCLE_1) | instskip(SKIP_1) | instid1(SALU_CYCLE_1)
	s_cmp_lg_u32 s4, 0
	s_add_co_ci_u32 s3, s31, s3
	s_mul_u64 s[4:5], s[34:35], s[2:3]
	s_delay_alu instid0(SALU_CYCLE_1)
	s_mul_hi_u32 s39, s2, s5
	s_mul_i32 s38, s2, s5
	s_mul_hi_u32 s24, s2, s4
	s_mul_hi_u32 s17, s3, s4
	s_mul_i32 s4, s3, s4
	s_add_nc_u64 s[38:39], s[24:25], s[38:39]
	s_mul_hi_u32 s21, s3, s5
	s_add_co_u32 s4, s38, s4
	s_add_co_ci_u32 s24, s39, s17
	s_mul_i32 s4, s3, s5
	s_add_co_ci_u32 s5, s21, 0
	s_delay_alu instid0(SALU_CYCLE_1) | instskip(NEXT) | instid1(SALU_CYCLE_1)
	s_add_nc_u64 s[4:5], s[24:25], s[4:5]
	s_add_co_u32 s17, s2, s4
	s_cselect_b32 s2, -1, 0
	s_delay_alu instid0(SALU_CYCLE_1) | instskip(SKIP_2) | instid1(SALU_CYCLE_1)
	s_cmp_lg_u32 s2, 0
	s_add_co_ci_u32 s21, s3, s5
	s_ashr_i32 s2, s1, 31
	s_mov_b32 s3, s2
	s_delay_alu instid0(SALU_CYCLE_1) | instskip(NEXT) | instid1(SALU_CYCLE_1)
	s_add_nc_u64 s[4:5], s[0:1], s[2:3]
	s_xor_b64 s[4:5], s[4:5], s[2:3]
	s_delay_alu instid0(SALU_CYCLE_1)
	s_mul_hi_u32 s39, s4, s21
	s_mul_i32 s38, s4, s21
	s_mul_hi_u32 s24, s4, s17
	s_mul_hi_u32 s29, s5, s17
	s_mul_i32 s17, s5, s17
	s_add_nc_u64 s[38:39], s[24:25], s[38:39]
	s_mul_hi_u32 s1, s5, s21
	s_add_co_u32 s17, s38, s17
	s_add_co_ci_u32 s24, s39, s29
	s_mul_i32 s40, s5, s21
	s_add_co_ci_u32 s41, s1, 0
	s_delay_alu instid0(SALU_CYCLE_1) | instskip(NEXT) | instid1(SALU_CYCLE_1)
	s_add_nc_u64 s[38:39], s[24:25], s[40:41]
	s_and_b64 s[40:41], s[38:39], 0xffffffff00000000
	s_delay_alu instid0(SALU_CYCLE_1) | instskip(NEXT) | instid1(SALU_CYCLE_1)
	s_or_b32 s40, s40, s38
	s_mul_u64 s[38:39], s[6:7], s[40:41]
	s_add_nc_u64 s[42:43], s[40:41], 1
	s_sub_co_u32 s1, s4, s38
	s_cselect_b32 s4, -1, 0
	s_sub_co_i32 s17, s5, s39
	s_cmp_lg_u32 s4, 0
	s_add_nc_u64 s[44:45], s[40:41], 2
	s_sub_co_ci_u32 s17, s17, s7
	s_sub_co_u32 s21, s1, s6
	s_cselect_b32 s24, -1, 0
	s_delay_alu instid0(SALU_CYCLE_1) | instskip(SKIP_1) | instid1(SALU_CYCLE_1)
	s_cmp_lg_u32 s24, 0
	s_sub_co_ci_u32 s17, s17, 0
	s_cmp_ge_u32 s17, s7
	s_cselect_b32 s24, -1, 0
	s_cmp_ge_u32 s21, s6
	s_cselect_b32 s21, -1, 0
	s_cmp_eq_u32 s17, s7
	s_cselect_b32 s17, s21, s24
	s_delay_alu instid0(SALU_CYCLE_1) | instskip(SKIP_4) | instid1(SALU_CYCLE_1)
	s_cmp_lg_u32 s17, 0
	s_cselect_b32 s17, s44, s42
	s_cselect_b32 s21, s45, s43
	s_cmp_lg_u32 s4, 0
	s_sub_co_ci_u32 s4, s5, s39
	s_cmp_ge_u32 s4, s7
	s_cselect_b32 s5, -1, 0
	s_cmp_ge_u32 s1, s6
	s_cselect_b32 s1, -1, 0
	s_cmp_eq_u32 s4, s7
	s_cselect_b32 s1, s1, s5
	s_delay_alu instid0(SALU_CYCLE_1) | instskip(SKIP_3) | instid1(SALU_CYCLE_1)
	s_cmp_lg_u32 s1, 0
	s_cselect_b32 s5, s21, s41
	s_cselect_b32 s4, s17, s40
	s_xor_b64 s[2:3], s[2:3], 0
	s_xor_b64 s[4:5], s[4:5], s[2:3]
	s_delay_alu instid0(SALU_CYCLE_1)
	s_sub_nc_u64 s[40:41], s[4:5], s[2:3]
	s_mov_b32 s2, 0
.LBB42_11:                              ;   in Loop: Header=BB42_9 Depth=1
	s_delay_alu instid0(SALU_CYCLE_1)
	s_and_not1_b32 vcc_lo, exec_lo, s2
	s_cbranch_vccnz .LBB42_13
; %bb.12:                               ;   in Loop: Header=BB42_9 Depth=1
	v_readfirstlane_b32 s1, v7
	s_sub_co_i32 s2, 0, s16
	s_delay_alu instid0(SALU_CYCLE_1) | instskip(NEXT) | instid1(SALU_CYCLE_1)
	s_mul_i32 s2, s2, s1
	s_mul_hi_u32 s2, s1, s2
	s_delay_alu instid0(SALU_CYCLE_1) | instskip(NEXT) | instid1(SALU_CYCLE_1)
	s_add_co_i32 s1, s1, s2
	s_mul_hi_u32 s1, s0, s1
	s_delay_alu instid0(SALU_CYCLE_1) | instskip(NEXT) | instid1(SALU_CYCLE_1)
	s_mul_i32 s2, s1, s16
	s_sub_co_i32 s0, s0, s2
	s_add_co_i32 s2, s1, 1
	s_sub_co_i32 s3, s0, s16
	s_cmp_ge_u32 s0, s16
	s_cselect_b32 s1, s2, s1
	s_cselect_b32 s0, s3, s0
	s_add_co_i32 s2, s1, 1
	s_cmp_ge_u32 s0, s16
	s_cselect_b32 s24, s2, s1
	s_delay_alu instid0(SALU_CYCLE_1)
	s_mov_b64 s[40:41], s[24:25]
.LBB42_13:                              ;   in Loop: Header=BB42_9 Depth=1
	s_delay_alu instid0(SALU_CYCLE_1)
	s_cmp_lg_u32 s20, s40
	s_mov_b32 s0, -1
                                        ; implicit-def: $vgpr4_vgpr5
                                        ; implicit-def: $sgpr24
                                        ; implicit-def: $sgpr17
                                        ; implicit-def: $sgpr21
                                        ; implicit-def: $sgpr29
	s_cbranch_scc0 .LBB42_18
; %bb.14:                               ;   in Loop: Header=BB42_9 Depth=1
	s_add_co_i32 s0, s36, s16
	v_max_num_f32_e64 v4, s28, s28
	s_lshl_b32 s0, s0, 4
	s_mov_b32 s29, s20
	s_add_co_i32 s0, s0, s15
	s_load_b64 s[38:39], s[10:11], s0 offset:0x0 scale_offset
	s_wait_xcnt 0x0
	v_readfirstlane_b32 s0, v4
	s_wait_kmcnt 0x0
	v_max_num_f32_e64 v5, s38, s38
	s_delay_alu instid0(VALU_DEP_1) | instskip(SKIP_1) | instid1(SALU_CYCLE_3)
	v_readfirstlane_b32 s1, v5
	s_max_num_f32 s17, s0, s1
	s_sub_f32 s33, s28, s17
	s_sub_f32 s37, s38, s17
	s_delay_alu instid0(SALU_CYCLE_2)
	s_cmp_nlt_f32 s33, 0xc2ce8ed0
	s_cselect_b32 s1, -1, 0
	s_cmp_ngt_f32 s33, 0x42b17218
	s_cselect_b32 s2, -1, 0
	s_cmp_ge_f32 s33, 0xc1a00000
	s_cselect_b32 s0, -1, 0
	s_cmp_nlt_f32 s37, 0xc2ce8ed0
	s_cselect_b32 s3, -1, 0
	s_cmp_ngt_f32 s37, 0x42b17218
	s_cselect_b32 s4, -1, 0
	s_cmp_ge_f32 s37, 0xc1a00000
	s_cselect_b32 s5, -1, 0
	s_and_b64 s[42:43], s[40:41], s[8:9]
	s_delay_alu instid0(SALU_CYCLE_1) | instskip(NEXT) | instid1(SALU_CYCLE_1)
	s_mul_u64 s[42:43], s[42:43], s[22:23]
	s_add_co_i32 s21, s43, s40
	s_delay_alu instid0(SALU_CYCLE_1) | instskip(NEXT) | instid1(SALU_CYCLE_1)
	s_lshr_b32 s21, s21, s13
	s_mul_i32 s24, s21, s14
	s_delay_alu instid0(SALU_CYCLE_1) | instskip(SKIP_3) | instid1(SALU_CYCLE_1)
	s_cmp_eq_u32 s24, s40
	s_cselect_b32 s24, -1, 0
	s_cmp_lt_u32 s21, s12
	s_cselect_b32 s21, -1, 0
	s_or_b32 s21, s21, s24
	s_mov_b32 s24, -1
	s_and_b32 vcc_lo, exec_lo, s21
	s_mov_b32 s21, s36
	s_cbranch_vccnz .LBB42_16
; %bb.15:                               ;   in Loop: Header=BB42_9 Depth=1
	s_add_co_i32 s21, s36, -1
	s_mov_b32 s24, 0
	s_mov_b32 s29, s40
.LBB42_16:                              ;   in Loop: Header=BB42_9 Depth=1
	v_lshl_add_u32 v4, s36, 10, v6
	s_mul_f32 s40, s33, 0x3fb8aa3b
	s_mul_f32 s38, s37, 0x3fb8aa3b
	s_delay_alu instid0(SALU_CYCLE_2)
	s_xor_b32 s42, s40, 0x80000000
	global_load_b32 v5, v4, s[26:27] scale_offset
	s_fmamk_f32 s42, s33, 0x3fb8aa3b, s42
	s_rndne_f32 s44, s40
	s_xor_b32 s41, s38, 0x80000000
	s_rndne_f32 s43, s38
	s_fmamk_f32 s33, s33, 0x32a5705f, s42
	s_sub_f32 s40, s40, s44
	s_fmamk_f32 s41, s37, 0x3fb8aa3b, s41
	s_sub_f32 s38, s38, s43
	s_delay_alu instid0(SALU_CYCLE_1) | instskip(NEXT) | instid1(SALU_CYCLE_1)
	s_add_f32 s33, s40, s33
	s_fmamk_f32 s37, s37, 0x32a5705f, s41
	s_cvt_i32_f32 s40, s44
	s_delay_alu instid0(SALU_CYCLE_1) | instskip(NEXT) | instid1(SALU_CYCLE_1)
	v_s_exp_f32 s33, s33
	s_add_f32 s37, s38, s37
	s_cvt_i32_f32 s38, s43
	s_delay_alu instid0(SALU_CYCLE_2) | instskip(NEXT) | instid1(TRANS32_DEP_2)
	v_s_exp_f32 s37, s37
	v_ldexp_f32 v8, s33, s40
	s_wait_xcnt 0x0
	s_delay_alu instid0(TRANS32_DEP_1) | instskip(NEXT) | instid1(VALU_DEP_2)
	v_ldexp_f32 v4, s37, s38
	v_cndmask_b32_e64 v8, 0, v8, s1
	s_delay_alu instid0(VALU_DEP_1) | instskip(NEXT) | instid1(VALU_DEP_1)
	v_cndmask_b32_e64 v9, 0x7f800000, v8, s2
	v_dual_cndmask_b32 v4, 0, v4, s3 :: v_dual_cndmask_b32 v10, 0, v9, s0
	s_delay_alu instid0(VALU_DEP_1) | instskip(NEXT) | instid1(VALU_DEP_1)
	v_cndmask_b32_e64 v4, 0x7f800000, v4, s4
	v_dual_cndmask_b32 v8, 0, v4, s5 :: v_dual_mov_b32 v4, s39
	s_wait_loadcnt 0x0
	s_delay_alu instid0(VALU_DEP_1) | instskip(NEXT) | instid1(VALU_DEP_1)
	v_pk_mul_f32 v[4:5], v[4:5], v[8:9] op_sel_hi:[1,0]
	v_pk_fma_f32 v[4:5], v[0:1], v[10:11], v[4:5] op_sel_hi:[1,0,1]
	s_cbranch_execz .LBB42_19
.LBB42_17:                              ;   in Loop: Header=BB42_9 Depth=1
	s_and_not1_b32 vcc_lo, exec_lo, s24
	s_cbranch_vccnz .LBB42_20
	s_branch .LBB42_23
.LBB42_18:                              ;   in Loop: Header=BB42_9 Depth=1
	s_and_not1_b32 vcc_lo, exec_lo, s0
	s_cbranch_vccnz .LBB42_17
.LBB42_19:                              ;   in Loop: Header=BB42_9 Depth=1
	s_wait_loadcnt 0x0
	v_mov_b64_e32 v[4:5], v[0:1]
	s_add_co_i32 s21, s36, -1
	s_mov_b32 s29, s20
	s_mov_b32 s17, s28
	s_cbranch_execz .LBB42_23
.LBB42_20:                              ;   in Loop: Header=BB42_9 Depth=1
	s_wait_loadcnt 0x0
	s_delay_alu instid0(VALU_DEP_1)
	v_mov_b64_e32 v[0:1], v[4:5]
	s_mov_b32 s20, s29
	s_mov_b32 s36, s21
	;; [unrolled: 1-line block ×3, first 2 shown]
	s_branch .LBB42_9
.LBB42_21:
                                        ; implicit-def: $sgpr20_sgpr21
	s_branch .LBB42_2
.LBB42_22:
                                        ; implicit-def: $sgpr24_sgpr25
	s_load_b96 s[12:14], s[0:1], 0x44
	s_branch .LBB42_5
.LBB42_23:
	s_delay_alu instid0(VALU_DEP_1) | instskip(SKIP_1) | instid1(VALU_DEP_1)
	v_div_scale_f32 v0, null, v4, v4, v5
	s_wait_loadcnt 0x0
	v_rcp_f32_e32 v1, v0
	v_nop
	s_delay_alu instid0(TRANS32_DEP_1) | instskip(NEXT) | instid1(VALU_DEP_1)
	v_fma_f32 v6, -v0, v1, 1.0
	v_fmac_f32_e32 v1, v6, v1
	v_div_scale_f32 v6, vcc_lo, v5, v4, v5
	s_delay_alu instid0(VALU_DEP_1) | instskip(NEXT) | instid1(VALU_DEP_1)
	v_mul_f32_e32 v7, v6, v1
	v_fma_f32 v8, -v0, v7, v6
	s_delay_alu instid0(VALU_DEP_1) | instskip(NEXT) | instid1(VALU_DEP_1)
	v_fmac_f32_e32 v7, v8, v1
	v_fma_f32 v0, -v0, v7, v6
	s_delay_alu instid0(VALU_DEP_1) | instskip(NEXT) | instid1(VALU_DEP_1)
	v_div_fmas_f32 v0, v0, v1, v7
	v_div_fixup_f32 v0, v0, v4, v5
	global_store_b32 v[2:3], v0, off
.LBB42_24:
	s_endpgm
	.section	.rodata,"a",@progbits
	.p2align	6, 0x0
	.amdhsa_kernel _ZL33flash_attn_stream_k_fixup_generalILi64ELi8ELi2EEvPfPK15HIP_vector_typeIfLj2EEiiiiS1_IjLj3EES5_S5_S5_
		.amdhsa_group_segment_fixed_size 0
		.amdhsa_private_segment_fixed_size 0
		.amdhsa_kernarg_size 336
		.amdhsa_user_sgpr_count 2
		.amdhsa_user_sgpr_dispatch_ptr 0
		.amdhsa_user_sgpr_queue_ptr 0
		.amdhsa_user_sgpr_kernarg_segment_ptr 1
		.amdhsa_user_sgpr_dispatch_id 0
		.amdhsa_user_sgpr_kernarg_preload_length 0
		.amdhsa_user_sgpr_kernarg_preload_offset 0
		.amdhsa_user_sgpr_private_segment_size 0
		.amdhsa_wavefront_size32 1
		.amdhsa_uses_dynamic_stack 0
		.amdhsa_enable_private_segment 0
		.amdhsa_system_sgpr_workgroup_id_x 1
		.amdhsa_system_sgpr_workgroup_id_y 1
		.amdhsa_system_sgpr_workgroup_id_z 1
		.amdhsa_system_sgpr_workgroup_info 0
		.amdhsa_system_vgpr_workitem_id 0
		.amdhsa_next_free_vgpr 12
		.amdhsa_next_free_sgpr 46
		.amdhsa_named_barrier_count 0
		.amdhsa_reserve_vcc 1
		.amdhsa_float_round_mode_32 0
		.amdhsa_float_round_mode_16_64 0
		.amdhsa_float_denorm_mode_32 3
		.amdhsa_float_denorm_mode_16_64 3
		.amdhsa_fp16_overflow 0
		.amdhsa_memory_ordered 1
		.amdhsa_forward_progress 1
		.amdhsa_inst_pref_size 27
		.amdhsa_round_robin_scheduling 0
		.amdhsa_exception_fp_ieee_invalid_op 0
		.amdhsa_exception_fp_denorm_src 0
		.amdhsa_exception_fp_ieee_div_zero 0
		.amdhsa_exception_fp_ieee_overflow 0
		.amdhsa_exception_fp_ieee_underflow 0
		.amdhsa_exception_fp_ieee_inexact 0
		.amdhsa_exception_int_div_zero 0
	.end_amdhsa_kernel
	.section	.text._ZL33flash_attn_stream_k_fixup_generalILi64ELi8ELi2EEvPfPK15HIP_vector_typeIfLj2EEiiiiS1_IjLj3EES5_S5_S5_,"axG",@progbits,_ZL33flash_attn_stream_k_fixup_generalILi64ELi8ELi2EEvPfPK15HIP_vector_typeIfLj2EEiiiiS1_IjLj3EES5_S5_S5_,comdat
.Lfunc_end42:
	.size	_ZL33flash_attn_stream_k_fixup_generalILi64ELi8ELi2EEvPfPK15HIP_vector_typeIfLj2EEiiiiS1_IjLj3EES5_S5_S5_, .Lfunc_end42-_ZL33flash_attn_stream_k_fixup_generalILi64ELi8ELi2EEvPfPK15HIP_vector_typeIfLj2EEiiiiS1_IjLj3EES5_S5_S5_
                                        ; -- End function
	.set _ZL33flash_attn_stream_k_fixup_generalILi64ELi8ELi2EEvPfPK15HIP_vector_typeIfLj2EEiiiiS1_IjLj3EES5_S5_S5_.num_vgpr, 12
	.set _ZL33flash_attn_stream_k_fixup_generalILi64ELi8ELi2EEvPfPK15HIP_vector_typeIfLj2EEiiiiS1_IjLj3EES5_S5_S5_.num_agpr, 0
	.set _ZL33flash_attn_stream_k_fixup_generalILi64ELi8ELi2EEvPfPK15HIP_vector_typeIfLj2EEiiiiS1_IjLj3EES5_S5_S5_.numbered_sgpr, 46
	.set _ZL33flash_attn_stream_k_fixup_generalILi64ELi8ELi2EEvPfPK15HIP_vector_typeIfLj2EEiiiiS1_IjLj3EES5_S5_S5_.num_named_barrier, 0
	.set _ZL33flash_attn_stream_k_fixup_generalILi64ELi8ELi2EEvPfPK15HIP_vector_typeIfLj2EEiiiiS1_IjLj3EES5_S5_S5_.private_seg_size, 0
	.set _ZL33flash_attn_stream_k_fixup_generalILi64ELi8ELi2EEvPfPK15HIP_vector_typeIfLj2EEiiiiS1_IjLj3EES5_S5_S5_.uses_vcc, 1
	.set _ZL33flash_attn_stream_k_fixup_generalILi64ELi8ELi2EEvPfPK15HIP_vector_typeIfLj2EEiiiiS1_IjLj3EES5_S5_S5_.uses_flat_scratch, 0
	.set _ZL33flash_attn_stream_k_fixup_generalILi64ELi8ELi2EEvPfPK15HIP_vector_typeIfLj2EEiiiiS1_IjLj3EES5_S5_S5_.has_dyn_sized_stack, 0
	.set _ZL33flash_attn_stream_k_fixup_generalILi64ELi8ELi2EEvPfPK15HIP_vector_typeIfLj2EEiiiiS1_IjLj3EES5_S5_S5_.has_recursion, 0
	.set _ZL33flash_attn_stream_k_fixup_generalILi64ELi8ELi2EEvPfPK15HIP_vector_typeIfLj2EEiiiiS1_IjLj3EES5_S5_S5_.has_indirect_call, 0
	.section	.AMDGPU.csdata,"",@progbits
; Kernel info:
; codeLenInByte = 3360
; TotalNumSgprs: 48
; NumVgprs: 12
; ScratchSize: 0
; MemoryBound: 0
; FloatMode: 240
; IeeeMode: 1
; LDSByteSize: 0 bytes/workgroup (compile time only)
; SGPRBlocks: 0
; VGPRBlocks: 0
; NumSGPRsForWavesPerEU: 48
; NumVGPRsForWavesPerEU: 12
; NamedBarCnt: 0
; Occupancy: 16
; WaveLimiterHint : 0
; COMPUTE_PGM_RSRC2:SCRATCH_EN: 0
; COMPUTE_PGM_RSRC2:USER_SGPR: 2
; COMPUTE_PGM_RSRC2:TRAP_HANDLER: 0
; COMPUTE_PGM_RSRC2:TGID_X_EN: 1
; COMPUTE_PGM_RSRC2:TGID_Y_EN: 1
; COMPUTE_PGM_RSRC2:TGID_Z_EN: 1
; COMPUTE_PGM_RSRC2:TIDIG_COMP_CNT: 0
	.section	.text._ZL15flash_attn_tileILi64ELi64ELi4ELi2ELb0EEvPKcS1_S1_S1_S1_PKiPfP15HIP_vector_typeIfLj2EEffffjfiS5_IjLj3EEiiiiiiiiiiiliiliiiiil,"axG",@progbits,_ZL15flash_attn_tileILi64ELi64ELi4ELi2ELb0EEvPKcS1_S1_S1_S1_PKiPfP15HIP_vector_typeIfLj2EEffffjfiS5_IjLj3EEiiiiiiiiiiiliiliiiiil,comdat
	.globl	_ZL15flash_attn_tileILi64ELi64ELi4ELi2ELb0EEvPKcS1_S1_S1_S1_PKiPfP15HIP_vector_typeIfLj2EEffffjfiS5_IjLj3EEiiiiiiiiiiiliiliiiiil ; -- Begin function _ZL15flash_attn_tileILi64ELi64ELi4ELi2ELb0EEvPKcS1_S1_S1_S1_PKiPfP15HIP_vector_typeIfLj2EEffffjfiS5_IjLj3EEiiiiiiiiiiiliiliiiiil
	.p2align	8
	.type	_ZL15flash_attn_tileILi64ELi64ELi4ELi2ELb0EEvPKcS1_S1_S1_S1_PKiPfP15HIP_vector_typeIfLj2EEffffjfiS5_IjLj3EEiiiiiiiiiiiliiliiiiil,@function
_ZL15flash_attn_tileILi64ELi64ELi4ELi2ELb0EEvPKcS1_S1_S1_S1_PKiPfP15HIP_vector_typeIfLj2EEffffjfiS5_IjLj3EEiiiiiiiiiiiliiliiiiil: ; @_ZL15flash_attn_tileILi64ELi64ELi4ELi2ELb0EEvPKcS1_S1_S1_S1_PKiPfP15HIP_vector_typeIfLj2EEffffjfiS5_IjLj3EEiiiiiiiiiiiliiliiiiil
; %bb.0:
	s_clause 0x1
	s_load_b128 s[20:23], s[0:1], 0x5c
	s_load_b64 s[30:31], s[0:1], 0x80
	s_bfe_u32 s5, ttmp6, 0x40014
	s_lshr_b32 s4, ttmp7, 16
	s_add_co_i32 s5, s5, 1
	s_bfe_u32 s6, ttmp6, 0x40008
	s_mul_i32 s5, s4, s5
	s_getreg_b32 s24, hwreg(HW_REG_IB_STS2, 6, 4)
	s_add_co_i32 s6, s6, s5
	s_load_b64 s[38:39], s[0:1], 0xb8
	s_mov_b32 s37, 0
	s_mov_b64 s[34:35], 0
	s_wait_kmcnt 0x0
	s_lshr_b32 s2, s23, 31
	s_delay_alu instid0(SALU_CYCLE_1) | instskip(NEXT) | instid1(SALU_CYCLE_1)
	s_add_co_i32 s2, s23, s2
	s_ashr_i32 s2, s2, 1
	s_delay_alu instid0(SALU_CYCLE_1) | instskip(SKIP_1) | instid1(SALU_CYCLE_2)
	s_cvt_f32_u32 s3, s2
	s_sub_co_i32 s7, 0, s2
	v_rcp_iflag_f32_e32 v1, s3
	v_nop
	s_delay_alu instid0(TRANS32_DEP_1) | instskip(SKIP_1) | instid1(SALU_CYCLE_3)
	v_readfirstlane_b32 s3, v1
	s_mul_f32 s3, s3, 0x4f7ffffe
	s_cvt_u32_f32 s3, s3
	s_delay_alu instid0(SALU_CYCLE_3) | instskip(NEXT) | instid1(SALU_CYCLE_1)
	s_mul_i32 s7, s7, s3
	s_mul_hi_u32 s7, s3, s7
	s_delay_alu instid0(SALU_CYCLE_1) | instskip(SKIP_2) | instid1(SALU_CYCLE_1)
	s_add_co_i32 s3, s3, s7
	s_cmp_eq_u32 s24, 0
	s_cselect_b32 s4, s4, s6
	s_mul_hi_u32 s3, s4, s3
	s_delay_alu instid0(SALU_CYCLE_1) | instskip(SKIP_2) | instid1(SALU_CYCLE_1)
	s_mul_i32 s5, s3, s2
	s_add_co_i32 s6, s3, 1
	s_sub_co_i32 s5, s4, s5
	s_sub_co_i32 s7, s5, s2
	s_cmp_ge_u32 s5, s2
	s_cselect_b32 s3, s6, s3
	s_cselect_b32 s5, s7, s5
	s_add_co_i32 s6, s3, 1
	s_cmp_ge_u32 s5, s2
	s_cselect_b32 s2, s6, s3
	s_abs_i32 s3, s31
	s_lshl_b32 s4, s4, 1
	s_cvt_f32_u32 s5, s3
	s_sub_co_i32 s6, 0, s3
	s_mul_i32 s7, s2, s23
	s_abs_i32 s8, s23
	v_rcp_iflag_f32_e32 v1, s5
	s_sub_co_i32 s28, s4, s7
	v_nop
	s_delay_alu instid0(TRANS32_DEP_1) | instskip(SKIP_1) | instid1(SALU_CYCLE_3)
	v_readfirstlane_b32 s5, v1
	s_mul_f32 s5, s5, 0x4f7ffffe
	s_cvt_u32_f32 s5, s5
	s_delay_alu instid0(SALU_CYCLE_3) | instskip(NEXT) | instid1(SALU_CYCLE_1)
	s_mul_i32 s6, s6, s5
	s_mul_hi_u32 s6, s5, s6
	s_delay_alu instid0(SALU_CYCLE_1) | instskip(NEXT) | instid1(SALU_CYCLE_1)
	s_add_co_i32 s5, s5, s6
	s_mul_hi_u32 s4, s8, s5
	s_xor_b32 s5, s23, s31
	s_mul_i32 s6, s4, s3
	s_ashr_i32 s25, s5, 31
	s_sub_co_i32 s5, s8, s6
	s_add_co_i32 s6, s4, 1
	s_sub_co_i32 s7, s5, s3
	s_cmp_ge_u32 s5, s3
	s_cselect_b32 s4, s6, s4
	s_cselect_b32 s5, s7, s5
	s_add_co_i32 s6, s4, 1
	s_cmp_ge_u32 s5, s3
	s_cselect_b32 s3, s6, s4
	s_load_b512 s[4:19], s[0:1], 0x0
	s_xor_b32 s3, s3, s25
	s_delay_alu instid0(SALU_CYCLE_1) | instskip(NEXT) | instid1(SALU_CYCLE_1)
	s_sub_co_i32 s3, s3, s25
	s_abs_i32 s29, s3
	s_delay_alu instid0(SALU_CYCLE_1) | instskip(NEXT) | instid1(SALU_CYCLE_3)
	s_cvt_f32_u32 s25, s29
	v_rcp_iflag_f32_e32 v1, s25
	v_nop
	s_delay_alu instid0(TRANS32_DEP_1)
	v_readfirstlane_b32 s33, v1
	s_wait_kmcnt 0x0
	s_cmp_eq_u64 s[10:11], 0
	s_cbranch_scc1 .LBB43_2
; %bb.1:
	s_abs_i32 s25, s38
	s_abs_i32 s31, s2
	s_cvt_f32_u32 s26, s25
	s_sub_co_i32 s27, 0, s25
	s_delay_alu instid0(SALU_CYCLE_2) | instskip(SKIP_1) | instid1(TRANS32_DEP_1)
	v_rcp_iflag_f32_e32 v1, s26
	v_nop
	v_readfirstlane_b32 s26, v1
	s_mul_f32 s26, s26, 0x4f7ffffe
	s_delay_alu instid0(SALU_CYCLE_3) | instskip(NEXT) | instid1(SALU_CYCLE_3)
	s_cvt_u32_f32 s26, s26
	s_mul_i32 s27, s27, s26
	s_delay_alu instid0(SALU_CYCLE_1) | instskip(NEXT) | instid1(SALU_CYCLE_1)
	s_mul_hi_u32 s27, s26, s27
	s_add_co_i32 s26, s26, s27
	s_delay_alu instid0(SALU_CYCLE_1) | instskip(SKIP_2) | instid1(SALU_CYCLE_1)
	s_mul_hi_u32 s34, s31, s26
	s_load_b64 s[26:27], s[0:1], 0xc8
	s_mul_i32 s34, s34, s25
	s_sub_co_i32 s31, s31, s34
	s_ashr_i32 s34, s2, 31
	s_sub_co_i32 s35, s31, s25
	s_cmp_ge_u32 s31, s25
	s_cselect_b32 s31, s35, s31
	s_delay_alu instid0(SALU_CYCLE_1) | instskip(SKIP_2) | instid1(SALU_CYCLE_1)
	s_sub_co_i32 s35, s31, s25
	s_cmp_ge_u32 s31, s25
	s_cselect_b32 s25, s35, s31
	s_xor_b32 s25, s25, s34
	s_delay_alu instid0(SALU_CYCLE_1) | instskip(NEXT) | instid1(SALU_CYCLE_1)
	s_sub_co_i32 s34, s25, s34
	s_ashr_i32 s35, s34, 31
	s_wait_kmcnt 0x0
	s_mul_u64 s[26:27], s[26:27], s[34:35]
	s_delay_alu instid0(SALU_CYCLE_1)
	s_add_nc_u64 s[34:35], s[10:11], s[26:27]
.LBB43_2:
	s_bfe_u32 s10, ttmp6, 0x4000c
	s_and_b32 s11, ttmp6, 15
	s_add_co_i32 s10, s10, 1
	v_bfe_u32 v1, v0, 10, 10
	s_mul_i32 s10, ttmp9, s10
	s_load_b96 s[40:42], s[0:1], 0x70
	s_add_co_i32 s11, s11, s10
	s_cmp_eq_u32 s24, 0
	v_and_b32_e32 v60, 0x3ff, v0
	s_cselect_b32 s10, ttmp9, s11
	v_lshl_add_u32 v62, v1, 8, 0x5000
	v_lshl_add_u32 v61, s10, 2, v1
	s_delay_alu instid0(VALU_DEP_3) | instskip(NEXT) | instid1(VALU_DEP_2)
	v_dual_mov_b32 v3, 0 :: v_dual_lshlrev_b32 v6, 3, v60
	v_mul_hi_u32 v2, s20, v61
	s_delay_alu instid0(VALU_DEP_2) | instskip(SKIP_3) | instid1(VALU_DEP_2)
	v_mov_b32_e32 v7, v3
	s_wait_kmcnt 0x0
	s_mul_i32 s20, s28, s41
	s_ashr_i32 s27, s41, 31
	v_add_nc_u32_e32 v2, v61, v2
	s_mov_b32 s26, s41
	s_ashr_i32 s41, s40, 31
	s_delay_alu instid0(SALU_CYCLE_1) | instskip(NEXT) | instid1(VALU_DEP_1)
	s_lshr_b64 s[40:41], s[40:41], 2
	v_lshrrev_b32_e32 v2, s21, v2
	s_ashr_i32 s21, s20, 31
	s_delay_alu instid0(VALU_DEP_1) | instskip(NEXT) | instid1(VALU_DEP_1)
	v_mul_lo_u32 v2, v2, s22
	v_sub_nc_u32_e32 v2, v61, v2
	s_delay_alu instid0(VALU_DEP_1) | instskip(SKIP_1) | instid1(SALU_CYCLE_1)
	v_mul_u64_e32 v[4:5], s[40:41], v[2:3]
	s_mul_i32 s40, s2, s42
	s_ashr_i32 s41, s40, 31
	s_delay_alu instid0(SALU_CYCLE_1) | instskip(NEXT) | instid1(SALU_CYCLE_1)
	s_add_nc_u64 s[4:5], s[4:5], s[40:41]
	s_add_nc_u64 s[4:5], s[4:5], s[20:21]
	s_delay_alu instid0(VALU_DEP_1) | instid1(SALU_CYCLE_1)
	v_lshl_add_u64 v[4:5], v[4:5], 2, s[4:5]
	s_and_b64 s[4:5], s[26:27], -4
	s_cmp_eq_u64 s[14:15], 0
	s_delay_alu instid0(VALU_DEP_1) | instskip(NEXT) | instid1(VALU_DEP_1)
	v_add_nc_u64_e32 v[4:5], v[4:5], v[6:7]
	v_add_nc_u64_e32 v[6:7], s[4:5], v[4:5]
	s_load_b32 s4, s[0:1], 0x40
	s_clause 0x1
	global_load_b64 v[8:9], v[4:5], off
	global_load_b64 v[10:11], v[6:7], off
	s_wait_xcnt 0x0
	v_lshl_add_u32 v6, v60, 2, v62
	s_wait_loadcnt 0x1
	s_wait_kmcnt 0x0
	v_fma_mixlo_f16 v0, s4, v9, 0
	v_fma_mixlo_f16 v3, s4, v8, 0
	s_wait_loadcnt 0x0
	v_fma_mixlo_f16 v4, s4, v11, 0
	v_fma_mixlo_f16 v5, s4, v10, 0
	s_delay_alu instid0(VALU_DEP_3) | instskip(NEXT) | instid1(VALU_DEP_3)
	v_and_b32_e32 v3, 0xffff, v3
	v_lshlrev_b32_e32 v4, 16, v4
	s_delay_alu instid0(VALU_DEP_3) | instskip(SKIP_1) | instid1(VALU_DEP_1)
	v_and_b32_e32 v5, 0xffff, v5
	v_lshlrev_b32_e32 v0, 16, v0
	v_or_b32_e32 v0, v0, v3
	s_delay_alu instid0(VALU_DEP_3)
	v_or_b32_e32 v3, v4, v5
	ds_store_2addr_b32 v6, v0, v3 offset1:32
	s_wait_dscnt 0x0
	s_barrier_signal -1
	s_barrier_wait -1
	s_cbranch_scc1 .LBB43_4
; %bb.3:
	s_load_b32 s4, s[0:1], 0xd0
	s_wait_kmcnt 0x0
	s_mul_i32 s4, s4, s2
	s_delay_alu instid0(SALU_CYCLE_1)
	s_add_co_i32 s4, s4, s10
	s_load_b32 s30, s[14:15], s4 offset:0x0 scale_offset
.LBB43_4:
	s_wait_xcnt 0x0
	s_bfe_u32 s4, ttmp6, 0x40010
	s_and_b32 s5, ttmp7, 0xffff
	s_add_co_i32 s4, s4, 1
	s_bfe_u32 s10, ttmp6, 0x40004
	s_mul_i32 s4, s5, s4
	v_mbcnt_lo_u32_b32 v63, -1, 0
	s_add_co_i32 s10, s10, s4
	s_cmp_eq_u32 s24, 0
	s_cselect_b32 s31, s5, s10
	s_mov_b32 s5, 0
	s_lshl_b32 s4, s31, 7
	s_wait_kmcnt 0x0
	s_cmp_lt_i32 s4, s30
	s_cbranch_scc1 .LBB43_7
; %bb.5:
	v_mbcnt_lo_u32_b32 v0, -1, 0
	s_delay_alu instid0(VALU_DEP_1)
	v_dual_mov_b32 v65, 32 :: v_dual_bitop2_b32 v71, 16, v0 bitop3:0x14
	v_xor_b32_e32 v70, 8, v0
	v_xor_b32_e32 v69, 4, v0
	v_xor_b32_e32 v68, 2, v0
	v_xor_b32_e32 v67, 1, v0
	s_and_not1_b32 vcc_lo, exec_lo, s5
	s_cbranch_vccz .LBB43_8
; %bb.6:
	v_dual_mov_b32 v51, 0 :: v_dual_mov_b32 v101, 0
	v_mov_b32_e32 v5, 0xfeffffff
	v_dual_mov_b32 v100, 0 :: v_dual_lshlrev_b32 v3, 1, v60
	s_delay_alu instid0(VALU_DEP_2)
	v_dual_mov_b32 v50, v51 :: v_dual_mov_b32 v4, v5
	s_branch .LBB43_11
.LBB43_7:
                                        ; implicit-def: $vgpr0
                                        ; implicit-def: $vgpr65
                                        ; implicit-def: $vgpr71
                                        ; implicit-def: $vgpr70
                                        ; implicit-def: $vgpr69
                                        ; implicit-def: $vgpr68
                                        ; implicit-def: $vgpr67
.LBB43_8:
	s_clause 0x1
	s_load_b128 s[24:27], s[0:1], 0x98
	s_load_b64 s[14:15], s[0:1], 0x8c
	s_mul_f32 s5, s33, 0x4f7ffffe
	s_sub_co_i32 s10, 0, s29
	v_dual_lshrrev_b32 v0, 3, v60 :: v_dual_lshlrev_b32 v64, 2, v60
	s_delay_alu instid0(SALU_CYCLE_1)
	s_cvt_u32_f32 s5, s5
	s_abs_i32 s36, s28
	s_mov_b32 s11, s37
	s_ashr_i32 s33, s28, 31
	s_mul_i32 s10, s10, s5
	s_ashr_i32 s38, s3, 31
	s_mul_hi_u32 s10, s5, s10
	v_lshl_add_u32 v3, v1, 2, v0
	s_add_co_i32 s10, s5, s10
	s_xor_b32 s5, s33, s38
	s_mul_u64 s[10:11], s[36:37], s[10:11]
	s_ashr_i32 s39, s39, 1
	s_mul_i32 s33, s11, s29
	s_ashr_i32 s3, s2, 31
	s_wait_kmcnt 0x0
	s_ashr_i32 s10, s26, 2
	s_ashr_i32 s14, s14, 2
	s_sub_co_i32 s26, s36, s33
	v_mul_lo_u32 v24, s14, v3
	s_add_co_i32 s33, s11, 1
	s_sub_co_i32 s36, s26, s29
	s_cmp_ge_u32 s26, s29
	s_load_b64 s[20:21], s[0:1], 0xa8
	s_cselect_b32 s11, s33, s11
	s_cselect_b32 s26, s36, s26
	s_add_co_i32 s33, s11, 1
	s_cmp_ge_u32 s26, s29
	v_mul_lo_u32 v32, s10, v3
	s_cselect_b32 s11, s33, s11
	s_lshl_b32 s26, s14, 4
	s_mul_u64 s[24:25], s[24:25], s[2:3]
	v_add_nc_u32_e32 v26, s26, v24
	v_mad_u32 v75, v2, s39, v60
	s_xor_b32 s11, s11, s5
	v_and_b32_e32 v0, 28, v64
	v_lshl_add_u32 v76, v1, 9, 0x4800
	v_add_nc_u32_e32 v28, s26, v26
	s_sub_co_i32 s5, s11, s5
	s_add_nc_u64 s[6:7], s[6:7], s[24:25]
	v_mov_b32_e32 v37, 0
	s_mul_i32 s24, s5, s15
	v_add_nc_u32_e32 v30, s26, v28
	s_wait_kmcnt 0x0
	s_mul_u64 s[20:21], s[20:21], s[2:3]
	s_lshl_b32 s3, s10, 4
	s_add_nc_u64 s[8:9], s[8:9], s[20:21]
	s_mul_i32 s20, s5, s27
	v_dual_add_nc_u32 v34, s26, v30 :: v_dual_lshlrev_b32 v4, 2, v0
	v_dual_ashrrev_i32 v25, 31, v24 :: v_dual_ashrrev_i32 v27, 31, v26
	v_dual_ashrrev_i32 v29, 31, v28 :: v_dual_ashrrev_i32 v31, 31, v30
	s_delay_alu instid0(VALU_DEP_3) | instskip(NEXT) | instid1(VALU_DEP_4)
	v_dual_add_nc_u32 v38, s26, v34 :: v_dual_add_nc_u32 v40, s3, v32
	v_mad_u32_u24 v66, 0x90, v3, v4
	v_lshl_or_b32 v74, v3, 7, v4
	v_mul_u32_u24_e32 v73, 0x90, v60
	s_delay_alu instid0(VALU_DEP_4) | instskip(SKIP_2) | instid1(VALU_DEP_3)
	v_add_nc_u32_e32 v42, s26, v38
	v_dual_ashrrev_i32 v35, 31, v34 :: v_dual_add_nc_u32 v44, s3, v40
	v_dual_mov_b32 v4, 0xfeffffff :: v_dual_ashrrev_i32 v39, 31, v38
	v_dual_add_nc_u32 v46, s26, v42 :: v_dual_ashrrev_i32 v43, 31, v42
	s_delay_alu instid0(VALU_DEP_3) | instskip(NEXT) | instid1(VALU_DEP_3)
	v_dual_add_nc_u32 v48, s3, v44 :: v_dual_ashrrev_i32 v45, 31, v44
	v_dual_mov_b32 v5, v4 :: v_dual_add_nc_u32 v72, 0x3f00, v66
	s_delay_alu instid0(VALU_DEP_2) | instskip(SKIP_2) | instid1(VALU_DEP_3)
	v_dual_ashrrev_i32 v47, 31, v46 :: v_dual_add_nc_u32 v52, s3, v48
	v_dual_mov_b32 v50, v37 :: v_dual_add_nc_u32 v77, 0x800, v74
	v_dual_mov_b32 v51, v37 :: v_dual_add_nc_u32 v78, 0x1000, v74
	v_dual_add_nc_u32 v54, s3, v52 :: v_dual_ashrrev_i32 v53, 31, v52
	v_ashrrev_i32_e32 v33, 31, v32
	v_ashrrev_i32_e32 v41, 31, v40
	v_dual_mov_b32 v100, v37 :: v_dual_add_nc_u32 v79, 0x1800, v74
	s_delay_alu instid0(VALU_DEP_4) | instskip(SKIP_2) | instid1(VALU_DEP_3)
	v_add_nc_u32_e32 v56, s3, v54
	v_dual_mov_b32 v65, 32 :: v_dual_add_nc_u32 v80, 0x2000, v74
	v_add_nc_u32_e32 v81, 0x2800, v74
	v_dual_ashrrev_i32 v55, 31, v54 :: v_dual_add_nc_u32 v58, s3, v56
	v_ashrrev_i32_e32 v57, 31, v56
	v_ashrrev_i32_e32 v49, 31, v48
	v_dual_mov_b32 v101, v37 :: v_dual_add_nc_u32 v82, 0x3000, v74
	v_add_nc_u32_e32 v83, 0x3800, v74
	v_dual_ashrrev_i32 v59, 31, v58 :: v_dual_lshlrev_b32 v36, 2, v0
	v_xor_b32_e32 v71, 16, v63
	v_dual_add_nc_u32 v84, v76, v64 :: v_dual_bitop2_b32 v70, 8, v63 bitop3:0x14
	v_xor_b32_e32 v69, 4, v63
	v_xor_b32_e32 v68, 2, v63
	;; [unrolled: 1-line block ×3, first 2 shown]
	v_add_nc_u32_e32 v85, 0x400, v64
	v_add_nc_u32_e32 v86, 0x800, v64
	;; [unrolled: 1-line block ×15, first 2 shown]
	s_ashr_i32 s25, s24, 31
	s_ashr_i32 s21, s20, 31
	s_add_nc_u64 s[6:7], s[6:7], s[24:25]
	s_add_nc_u64 s[8:9], s[8:9], s[20:21]
	s_ashr_i32 s15, s14, 31
	s_ashr_i32 s11, s10, 31
	s_add_nc_u64 s[20:21], s[0:1], 0xd0
.LBB43_9:                               ; =>This Inner Loop Header: Depth=1
	s_ashr_i32 s5, s4, 31
	v_dual_mov_b32 v102, v5 :: v_dual_mov_b32 v103, v4
	s_mul_u64 s[24:25], s[4:5], s[14:15]
	v_dual_mov_b32 v105, 0 :: v_dual_add_nc_u32 v4, 0x900, v66
	s_lshl_b64 s[24:25], s[24:25], 2
	v_cmp_gt_i32_e32 vcc_lo, 32, v71
	s_add_nc_u64 s[24:25], s[6:7], s[24:25]
	v_mov_b32_e32 v104, 0
	v_lshl_add_u64 v[0:1], v[24:25], 2, s[24:25]
	s_delay_alu instid0(VALU_DEP_1) | instskip(SKIP_4) | instid1(VALU_DEP_1)
	v_add_nc_u64_e32 v[0:1], v[0:1], v[36:37]
	global_load_b128 v[0:3], v[0:1], off
	s_wait_loadcnt 0x0
	ds_store_b128 v66, v[0:3]
	v_lshl_add_u64 v[0:1], v[26:27], 2, s[24:25]
	v_add_nc_u64_e32 v[0:1], v[0:1], v[36:37]
	global_load_b128 v[0:3], v[0:1], off
	s_wait_loadcnt 0x0
	ds_store_b128 v4, v[0:3]
	v_lshl_add_u64 v[0:1], v[28:29], 2, s[24:25]
	v_add_nc_u32_e32 v4, 0x1200, v66
	s_delay_alu instid0(VALU_DEP_2)
	v_add_nc_u64_e32 v[0:1], v[0:1], v[36:37]
	global_load_b128 v[0:3], v[0:1], off
	s_wait_loadcnt 0x0
	ds_store_b128 v4, v[0:3]
	v_lshl_add_u64 v[0:1], v[30:31], 2, s[24:25]
	v_add_nc_u32_e32 v4, 0x1b00, v66
	s_delay_alu instid0(VALU_DEP_2)
	;; [unrolled: 7-line block ×5, first 2 shown]
	v_add_nc_u64_e32 v[0:1], v[0:1], v[36:37]
	global_load_b128 v[0:3], v[0:1], off
	s_wait_loadcnt 0x0
	ds_store_b128 v4, v[0:3]
	v_lshl_add_u64 v[0:1], v[46:47], 2, s[24:25]
	s_mul_u64 s[24:25], s[4:5], s[10:11]
	s_delay_alu instid0(SALU_CYCLE_1) | instskip(NEXT) | instid1(VALU_DEP_1)
	s_lshl_b64 s[24:25], s[24:25], 2
	v_add_nc_u64_e32 v[0:1], v[0:1], v[36:37]
	s_add_nc_u64 s[24:25], s[8:9], s[24:25]
	global_load_b128 v[0:3], v[0:1], off
	s_wait_loadcnt 0x0
	ds_store_b128 v72, v[0:3]
	s_wait_dscnt 0x0
	s_barrier_signal -1
	s_barrier_wait -1
	ds_load_b128 v[20:23], v73
	ds_load_b128 v[16:19], v73 offset:4608
	ds_load_b128 v[12:15], v73 offset:9216
	;; [unrolled: 1-line block ×3, first 2 shown]
	ds_load_b128 v[8:11], v62
	ds_load_b128 v[4:7], v62 offset:128
	s_wait_dscnt 0x1
	;;#ASMSTART
	v_dot2_f32_f16 v104, v20, v8, v104
	;;#ASMEND
	;;#ASMSTART
	v_dot2_f32_f16 v104, v21, v9, v104
	;;#ASMEND
	;;#ASMSTART
	v_dot2_f32_f16 v104, v22, v10, v104
	;;#ASMEND
	;;#ASMSTART
	v_dot2_f32_f16 v104, v23, v11, v104
	;;#ASMEND
	s_wait_dscnt 0x0
	;;#ASMSTART
	v_dot2_f32_f16 v105, v20, v4, v105
	;;#ASMEND
	;;#ASMSTART
	v_dot2_f32_f16 v105, v21, v5, v105
	;;#ASMEND
	;;#ASMSTART
	v_dot2_f32_f16 v105, v22, v6, v105
	;;#ASMEND
	v_mov_b32_e32 v21, 0
	;;#ASMSTART
	v_dot2_f32_f16 v105, v23, v7, v105
	;;#ASMEND
	;;#ASMSTART
	v_dot2_f32_f16 v21, v16, v8, v21
	;;#ASMEND
	;;#ASMSTART
	v_dot2_f32_f16 v21, v17, v9, v21
	;;#ASMEND
	;;#ASMSTART
	v_dot2_f32_f16 v21, v18, v10, v21
	;;#ASMEND
	v_mov_b32_e32 v20, 0
	;;#ASMSTART
	v_dot2_f32_f16 v21, v19, v11, v21
	;;#ASMEND
	;;#ASMSTART
	v_dot2_f32_f16 v20, v16, v4, v20
	;;#ASMEND
	;;#ASMSTART
	v_dot2_f32_f16 v20, v17, v5, v20
	;;#ASMEND
	;;#ASMSTART
	v_dot2_f32_f16 v20, v18, v6, v20
	;;#ASMEND
	v_mov_b32_e32 v17, 0
	;;#ASMSTART
	v_dot2_f32_f16 v20, v19, v7, v20
	;;#ASMEND
	;;#ASMSTART
	v_dot2_f32_f16 v17, v12, v8, v17
	;;#ASMEND
	;;#ASMSTART
	v_dot2_f32_f16 v17, v13, v9, v17
	;;#ASMEND
	;;#ASMSTART
	v_dot2_f32_f16 v17, v14, v10, v17
	;;#ASMEND
	v_mov_b32_e32 v16, 0
	;;#ASMSTART
	v_dot2_f32_f16 v17, v15, v11, v17
	;;#ASMEND
	;;#ASMSTART
	v_dot2_f32_f16 v16, v12, v4, v16
	;;#ASMEND
	;;#ASMSTART
	v_dot2_f32_f16 v16, v13, v5, v16
	;;#ASMEND
	;;#ASMSTART
	v_dot2_f32_f16 v16, v14, v6, v16
	;;#ASMEND
	v_mov_b32_e32 v12, 0
	;;#ASMSTART
	v_dot2_f32_f16 v16, v15, v7, v16
	;;#ASMEND
	;;#ASMSTART
	v_dot2_f32_f16 v12, v0, v8, v12
	;;#ASMEND
	;;#ASMSTART
	v_dot2_f32_f16 v12, v1, v9, v12
	;;#ASMEND
	;;#ASMSTART
	v_dot2_f32_f16 v12, v2, v10, v12
	;;#ASMEND
	v_mov_b32_e32 v8, 0
	;;#ASMSTART
	v_dot2_f32_f16 v12, v3, v11, v12
	;;#ASMEND
	;;#ASMSTART
	v_dot2_f32_f16 v8, v0, v4, v8
	;;#ASMEND
	;;#ASMSTART
	v_dot2_f32_f16 v8, v1, v5, v8
	;;#ASMEND
	;;#ASMSTART
	v_dot2_f32_f16 v8, v2, v6, v8
	;;#ASMEND
	;;#ASMSTART
	v_dot2_f32_f16 v8, v3, v7, v8
	;;#ASMEND
	ds_load_b128 v[0:3], v73 offset:16
	ds_load_b128 v[4:7], v73 offset:4624
	;; [unrolled: 1-line block ×6, first 2 shown]
	s_wait_dscnt 0x1
	;;#ASMSTART
	v_dot2_f32_f16 v104, v0, v114, v104
	;;#ASMEND
	;;#ASMSTART
	v_dot2_f32_f16 v104, v1, v115, v104
	;;#ASMEND
	;; [unrolled: 3-line block ×4, first 2 shown]
	s_wait_dscnt 0x0
	;;#ASMSTART
	v_dot2_f32_f16 v105, v0, v118, v105
	;;#ASMEND
	;;#ASMSTART
	v_dot2_f32_f16 v105, v1, v119, v105
	;;#ASMEND
	;; [unrolled: 3-line block ×28, first 2 shown]
	ds_load_b128 v[0:3], v73 offset:32
	ds_load_b128 v[4:7], v73 offset:4640
	ds_load_b128 v[106:109], v73 offset:9248
	ds_load_b128 v[110:113], v73 offset:13856
	ds_load_b128 v[114:117], v62 offset:32
	ds_load_b128 v[118:121], v62 offset:160
	s_wait_dscnt 0x1
	;;#ASMSTART
	v_dot2_f32_f16 v104, v0, v114, v104
	;;#ASMEND
	;;#ASMSTART
	v_dot2_f32_f16 v104, v1, v115, v104
	;;#ASMEND
	;; [unrolled: 3-line block ×4, first 2 shown]
	s_wait_dscnt 0x0
	;;#ASMSTART
	v_dot2_f32_f16 v105, v0, v118, v105
	;;#ASMEND
	;;#ASMSTART
	v_dot2_f32_f16 v105, v1, v119, v105
	;;#ASMEND
	;; [unrolled: 3-line block ×28, first 2 shown]
	ds_load_b128 v[0:3], v73 offset:48
	ds_load_b128 v[4:7], v73 offset:4656
	;; [unrolled: 1-line block ×6, first 2 shown]
	s_wait_dscnt 0x1
	;;#ASMSTART
	v_dot2_f32_f16 v104, v0, v114, v104
	;;#ASMEND
	;;#ASMSTART
	v_dot2_f32_f16 v104, v1, v115, v104
	;;#ASMEND
	;; [unrolled: 3-line block ×4, first 2 shown]
	s_wait_dscnt 0x0
	;;#ASMSTART
	v_dot2_f32_f16 v105, v0, v118, v105
	;;#ASMEND
	;;#ASMSTART
	v_dot2_f32_f16 v105, v1, v119, v105
	;;#ASMEND
	;; [unrolled: 3-line block ×28, first 2 shown]
	ds_load_b128 v[0:3], v73 offset:64
	ds_load_b128 v[4:7], v73 offset:4672
	;; [unrolled: 1-line block ×6, first 2 shown]
	s_wait_dscnt 0x1
	;;#ASMSTART
	v_dot2_f32_f16 v104, v0, v114, v104
	;;#ASMEND
	;;#ASMSTART
	v_dot2_f32_f16 v104, v1, v115, v104
	;;#ASMEND
	;; [unrolled: 3-line block ×4, first 2 shown]
	s_wait_dscnt 0x0
	;;#ASMSTART
	v_dot2_f32_f16 v105, v0, v118, v105
	;;#ASMEND
	;;#ASMSTART
	v_dot2_f32_f16 v105, v1, v119, v105
	;;#ASMEND
	;;#ASMSTART
	v_dot2_f32_f16 v105, v2, v120, v105
	;;#ASMEND
	;;#ASMSTART
	v_dot2_f32_f16 v105, v3, v121, v105
	;;#ASMEND
	;;#ASMSTART
	v_dot2_f32_f16 v21, v4, v114, v21
	;;#ASMEND
	;;#ASMSTART
	v_dot2_f32_f16 v21, v5, v115, v21
	;;#ASMEND
	;;#ASMSTART
	v_dot2_f32_f16 v21, v6, v116, v21
	;;#ASMEND
	;;#ASMSTART
	v_dot2_f32_f16 v21, v7, v117, v21
	;;#ASMEND
	;;#ASMSTART
	v_dot2_f32_f16 v20, v4, v118, v20
	;;#ASMEND
	;;#ASMSTART
	v_dot2_f32_f16 v20, v5, v119, v20
	;;#ASMEND
	;;#ASMSTART
	v_dot2_f32_f16 v20, v6, v120, v20
	;;#ASMEND
	;;#ASMSTART
	v_dot2_f32_f16 v20, v7, v121, v20
	;;#ASMEND
	;;#ASMSTART
	v_dot2_f32_f16 v17, v106, v114, v17
	;;#ASMEND
	;;#ASMSTART
	v_dot2_f32_f16 v17, v107, v115, v17
	;;#ASMEND
	;;#ASMSTART
	v_dot2_f32_f16 v17, v108, v116, v17
	;;#ASMEND
	;;#ASMSTART
	v_dot2_f32_f16 v17, v109, v117, v17
	;;#ASMEND
	;;#ASMSTART
	v_dot2_f32_f16 v16, v106, v118, v16
	;;#ASMEND
	;;#ASMSTART
	v_dot2_f32_f16 v16, v107, v119, v16
	;;#ASMEND
	;;#ASMSTART
	v_dot2_f32_f16 v16, v108, v120, v16
	;;#ASMEND
	;;#ASMSTART
	v_dot2_f32_f16 v16, v109, v121, v16
	;;#ASMEND
	;;#ASMSTART
	v_dot2_f32_f16 v12, v110, v114, v12
	;;#ASMEND
	;;#ASMSTART
	v_dot2_f32_f16 v12, v111, v115, v12
	;;#ASMEND
	;;#ASMSTART
	v_dot2_f32_f16 v12, v112, v116, v12
	;;#ASMEND
	;;#ASMSTART
	v_dot2_f32_f16 v12, v113, v117, v12
	;;#ASMEND
	;;#ASMSTART
	v_dot2_f32_f16 v8, v110, v118, v8
	;;#ASMEND
	;;#ASMSTART
	v_dot2_f32_f16 v8, v111, v119, v8
	;;#ASMEND
	;;#ASMSTART
	v_dot2_f32_f16 v8, v112, v120, v8
	;;#ASMEND
	;;#ASMSTART
	v_dot2_f32_f16 v8, v113, v121, v8
	;;#ASMEND
	ds_load_b128 v[0:3], v73 offset:80
	ds_load_b128 v[4:7], v73 offset:4688
	;; [unrolled: 1-line block ×6, first 2 shown]
	s_wait_dscnt 0x1
	;;#ASMSTART
	v_dot2_f32_f16 v104, v0, v114, v104
	;;#ASMEND
	;;#ASMSTART
	v_dot2_f32_f16 v104, v1, v115, v104
	;;#ASMEND
	;; [unrolled: 3-line block ×4, first 2 shown]
	s_wait_dscnt 0x0
	;;#ASMSTART
	v_dot2_f32_f16 v105, v0, v118, v105
	;;#ASMEND
	;;#ASMSTART
	v_dot2_f32_f16 v105, v1, v119, v105
	;;#ASMEND
	;; [unrolled: 3-line block ×28, first 2 shown]
	ds_load_b128 v[0:3], v73 offset:96
	ds_load_b128 v[4:7], v73 offset:4704
	;; [unrolled: 1-line block ×6, first 2 shown]
	s_wait_dscnt 0x1
	;;#ASMSTART
	v_dot2_f32_f16 v104, v0, v114, v104
	;;#ASMEND
	;;#ASMSTART
	v_dot2_f32_f16 v104, v1, v115, v104
	;;#ASMEND
	;; [unrolled: 3-line block ×4, first 2 shown]
	s_wait_dscnt 0x0
	;;#ASMSTART
	v_dot2_f32_f16 v105, v0, v118, v105
	;;#ASMEND
	;;#ASMSTART
	v_dot2_f32_f16 v105, v1, v119, v105
	;;#ASMEND
	;; [unrolled: 3-line block ×28, first 2 shown]
	ds_load_b128 v[0:3], v73 offset:112
	ds_load_b128 v[4:7], v73 offset:4720
	;; [unrolled: 1-line block ×6, first 2 shown]
	s_wait_dscnt 0x1
	;;#ASMSTART
	v_dot2_f32_f16 v104, v0, v114, v104
	;;#ASMEND
	;;#ASMSTART
	v_dot2_f32_f16 v104, v1, v115, v104
	;;#ASMEND
	;; [unrolled: 3-line block ×4, first 2 shown]
	s_wait_dscnt 0x0
	;;#ASMSTART
	v_dot2_f32_f16 v105, v0, v118, v105
	;;#ASMEND
	;;#ASMSTART
	v_dot2_f32_f16 v105, v1, v119, v105
	;;#ASMEND
	v_cndmask_b32_e32 v1, v63, v71, vcc_lo
	v_cmp_gt_i32_e32 vcc_lo, 32, v70
	;;#ASMSTART
	v_dot2_f32_f16 v105, v2, v120, v105
	;;#ASMEND
	;;#ASMSTART
	v_dot2_f32_f16 v105, v3, v121, v105
	;;#ASMEND
	;; [unrolled: 3-line block ×3, first 2 shown]
	v_dual_cndmask_b32 v2, v63, v70 :: v_dual_lshlrev_b32 v1, 2, v1
	v_cmp_gt_i32_e32 vcc_lo, 32, v69
	;;#ASMSTART
	v_dot2_f32_f16 v21, v5, v115, v21
	;;#ASMEND
	;;#ASMSTART
	v_dot2_f32_f16 v21, v6, v116, v21
	;;#ASMEND
	;; [unrolled: 3-line block ×4, first 2 shown]
	v_cndmask_b32_e32 v3, v63, v69, vcc_lo
	v_cmp_gt_i32_e32 vcc_lo, 32, v68
	;;#ASMSTART
	v_dot2_f32_f16 v20, v5, v119, v20
	;;#ASMEND
	;;#ASMSTART
	v_dot2_f32_f16 v20, v6, v120, v20
	;;#ASMEND
	;;#ASMSTART
	v_dot2_f32_f16 v20, v7, v121, v20
	;;#ASMEND
	;;#ASMSTART
	v_dot2_f32_f16 v17, v106, v114, v17
	;;#ASMEND
	;;#ASMSTART
	v_dot2_f32_f16 v17, v107, v115, v17
	;;#ASMEND
	;;#ASMSTART
	v_dot2_f32_f16 v17, v108, v116, v17
	;;#ASMEND
	v_cndmask_b32_e32 v4, v63, v68, vcc_lo
	v_cmp_gt_i32_e32 vcc_lo, 32, v67
	;;#ASMSTART
	v_dot2_f32_f16 v17, v109, v117, v17
	;;#ASMEND
	;;#ASMSTART
	v_dot2_f32_f16 v16, v106, v118, v16
	;;#ASMEND
	;; [unrolled: 3-line block ×7, first 2 shown]
	v_dual_add_nc_u32 v0, s4, v75 :: v_dual_lshlrev_b32 v5, 2, v4
	v_cndmask_b32_e32 v4, v63, v67, vcc_lo
	;;#ASMSTART
	v_dot2_f32_f16 v12, v112, v116, v12
	;;#ASMEND
	;;#ASMSTART
	v_dot2_f32_f16 v12, v113, v117, v12
	;;#ASMEND
	;; [unrolled: 3-line block ×6, first 2 shown]
	v_lshlrev_b32_e32 v6, 2, v4
	s_clause 0x1
	global_load_u16 v4, v0, s[34:35] scale_offset
	global_load_u16 v10, v0, s[34:35] offset:64 scale_offset
	v_dual_lshlrev_b32 v2, 2, v2 :: v_dual_lshlrev_b32 v3, 2, v3
	s_wait_loadcnt 0x1
	v_cvt_f32_f16_e32 v7, v4
	s_wait_loadcnt 0x0
	v_cvt_f32_f16_e32 v10, v10
	s_delay_alu instid0(VALU_DEP_1) | instskip(NEXT) | instid1(VALU_DEP_1)
	v_dual_add_f32 v9, v104, v7 :: v_dual_add_f32 v11, v21, v10
	v_dual_add_f32 v4, 0x40051340, v9 :: v_dual_add_f32 v13, 0x40051340, v11
	s_delay_alu instid0(VALU_DEP_1)
	v_max3_num_f32 v4, v103, v4, v13
	s_clause 0x1
	global_load_u16 v13, v0, s[34:35] offset:128 scale_offset
	global_load_u16 v0, v0, s[34:35] offset:192 scale_offset
	s_wait_loadcnt 0x0
	s_barrier_signal -1
	s_barrier_wait -1
	v_cvt_f32_f16_e32 v13, v13
	s_wait_xcnt 0x0
	v_cvt_f32_f16_e32 v0, v0
	v_add_f32_e32 v7, v105, v7
	s_delay_alu instid0(VALU_DEP_2) | instskip(SKIP_1) | instid1(VALU_DEP_2)
	v_dual_add_f32 v14, v17, v13 :: v_dual_add_f32 v12, v12, v0
	v_add_f32_e32 v13, v16, v13
	v_dual_add_f32 v16, v8, v0 :: v_dual_add_f32 v15, 0x40051340, v14
	s_delay_alu instid0(VALU_DEP_3) | instskip(NEXT) | instid1(VALU_DEP_2)
	v_add_f32_e32 v17, 0x40051340, v12
	v_add_f32_e32 v0, 0x40051340, v16
	s_delay_alu instid0(VALU_DEP_2) | instskip(SKIP_4) | instid1(VALU_DEP_1)
	v_max3_num_f32 v4, v4, v15, v17
	v_add_f32_e32 v17, v20, v10
	ds_bpermute_b32 v15, v1, v4
	s_wait_dscnt 0x0
	v_dual_add_f32 v10, 0x40051340, v17 :: v_dual_max_num_f32 v15, v15, v15
	v_max_num_f32_e32 v4, v4, v15
	ds_bpermute_b32 v15, v2, v4
	s_wait_dscnt 0x0
	v_max_num_f32_e32 v15, v15, v15
	s_delay_alu instid0(VALU_DEP_1) | instskip(SKIP_3) | instid1(VALU_DEP_1)
	v_max_num_f32_e32 v4, v4, v15
	ds_bpermute_b32 v15, v3, v4
	s_wait_dscnt 0x0
	v_max_num_f32_e32 v15, v15, v15
	v_max_num_f32_e32 v4, v4, v15
	ds_bpermute_b32 v15, v5, v4
	s_wait_dscnt 0x0
	v_max_num_f32_e32 v15, v15, v15
	s_delay_alu instid0(VALU_DEP_1) | instskip(SKIP_3) | instid1(VALU_DEP_1)
	v_max_num_f32_e32 v4, v4, v15
	ds_bpermute_b32 v15, v6, v4
	s_wait_dscnt 0x0
	v_max_num_f32_e32 v15, v15, v15
	v_max_num_f32_e32 v4, v4, v15
	v_add_f32_e32 v15, 0x40051340, v7
	s_delay_alu instid0(VALU_DEP_1) | instskip(SKIP_1) | instid1(VALU_DEP_1)
	v_max3_num_f32 v10, v102, v15, v10
	v_add_f32_e32 v15, 0x40051340, v13
	v_max3_num_f32 v0, v10, v15, v0
	ds_bpermute_b32 v1, v1, v0
	s_wait_dscnt 0x0
	v_max_num_f32_e32 v1, v1, v1
	s_delay_alu instid0(VALU_DEP_1) | instskip(SKIP_3) | instid1(VALU_DEP_1)
	v_max_num_f32_e32 v0, v0, v1
	ds_bpermute_b32 v1, v2, v0
	s_wait_dscnt 0x0
	v_max_num_f32_e32 v1, v1, v1
	v_max_num_f32_e32 v0, v0, v1
	ds_bpermute_b32 v1, v3, v0
	s_wait_dscnt 0x0
	v_max_num_f32_e32 v1, v1, v1
	s_delay_alu instid0(VALU_DEP_1) | instskip(SKIP_3) | instid1(VALU_DEP_1)
	v_max_num_f32_e32 v0, v0, v1
	ds_bpermute_b32 v1, v5, v0
	s_wait_dscnt 0x0
	v_max_num_f32_e32 v1, v1, v1
	v_max_num_f32_e32 v0, v0, v1
	ds_bpermute_b32 v1, v6, v0
	s_wait_dscnt 0x0
	v_max_num_f32_e32 v1, v1, v1
	s_delay_alu instid0(VALU_DEP_1) | instskip(SKIP_1) | instid1(VALU_DEP_1)
	v_dual_max_num_f32 v5, v0, v1 :: v_dual_sub_f32 v1, v103, v4
	v_sub_f32_e32 v0, v9, v4
	v_mul_f32_e32 v2, 0x3fb8aa3b, v0
	s_delay_alu instid0(VALU_DEP_1) | instskip(SKIP_1) | instid1(VALU_DEP_1)
	v_fma_f32 v3, 0x3fb8aa3b, v0, -v2
	v_rndne_f32_e32 v6, v2
	v_sub_f32_e32 v2, v2, v6
	v_cmp_ngt_f32_e32 vcc_lo, 0xc2ce8ed0, v0
	s_delay_alu instid0(VALU_DEP_4) | instskip(NEXT) | instid1(VALU_DEP_1)
	v_fmac_f32_e32 v3, 0x32a5705f, v0
	v_add_f32_e32 v2, v2, v3
	v_cvt_i32_f32_e32 v3, v6
	s_delay_alu instid0(VALU_DEP_2) | instskip(SKIP_1) | instid1(TRANS32_DEP_1)
	v_exp_f32_e32 v2, v2
	v_nop
	v_ldexp_f32 v2, v2, v3
	s_delay_alu instid0(VALU_DEP_1) | instskip(SKIP_1) | instid1(VALU_DEP_2)
	v_cndmask_b32_e32 v2, 0, v2, vcc_lo
	v_cmp_nlt_f32_e32 vcc_lo, 0x42b17218, v0
	v_cndmask_b32_e32 v0, 0x7f800000, v2, vcc_lo
	v_dual_sub_f32 v2, v11, v4 :: v_dual_sub_f32 v11, v102, v5
	s_delay_alu instid0(VALU_DEP_1) | instskip(SKIP_1) | instid1(VALU_DEP_2)
	v_mul_f32_e32 v3, 0x3fb8aa3b, v2
	v_cmp_ngt_f32_e32 vcc_lo, 0xc2ce8ed0, v2
	v_fma_f32 v6, 0x3fb8aa3b, v2, -v3
	v_rndne_f32_e32 v8, v3
	s_delay_alu instid0(VALU_DEP_1) | instskip(NEXT) | instid1(VALU_DEP_1)
	v_dual_fmac_f32 v6, 0x32a5705f, v2 :: v_dual_sub_f32 v3, v3, v8
	v_add_f32_e32 v3, v3, v6
	v_cvt_i32_f32_e32 v6, v8
	s_delay_alu instid0(VALU_DEP_2) | instskip(SKIP_1) | instid1(TRANS32_DEP_1)
	v_exp_f32_e32 v3, v3
	v_nop
	v_ldexp_f32 v3, v3, v6
	s_delay_alu instid0(VALU_DEP_1) | instskip(SKIP_1) | instid1(VALU_DEP_2)
	v_cndmask_b32_e32 v3, 0, v3, vcc_lo
	v_cmp_nlt_f32_e32 vcc_lo, 0x42b17218, v2
	v_dual_cndmask_b32 v2, 0x7f800000, v3 :: v_dual_sub_f32 v3, v14, v4
	s_delay_alu instid0(VALU_DEP_1) | instskip(SKIP_1) | instid1(VALU_DEP_2)
	v_mul_f32_e32 v6, 0x3fb8aa3b, v3
	v_cmp_ngt_f32_e32 vcc_lo, 0xc2ce8ed0, v3
	v_fma_f32 v8, 0x3fb8aa3b, v3, -v6
	v_rndne_f32_e32 v9, v6
	s_delay_alu instid0(VALU_DEP_2) | instskip(NEXT) | instid1(VALU_DEP_2)
	v_fmac_f32_e32 v8, 0x32a5705f, v3
	v_sub_f32_e32 v6, v6, v9
	s_delay_alu instid0(VALU_DEP_1) | instskip(SKIP_1) | instid1(VALU_DEP_2)
	v_add_f32_e32 v6, v6, v8
	v_cvt_i32_f32_e32 v8, v9
	v_exp_f32_e32 v6, v6
	v_nop
	s_delay_alu instid0(TRANS32_DEP_1) | instskip(NEXT) | instid1(VALU_DEP_1)
	v_ldexp_f32 v6, v6, v8
	v_cndmask_b32_e32 v6, 0, v6, vcc_lo
	v_cmp_nlt_f32_e32 vcc_lo, 0x42b17218, v3
	v_sub_f32_e32 v3, v12, v4
	s_delay_alu instid0(VALU_DEP_1) | instskip(NEXT) | instid1(VALU_DEP_1)
	v_mul_f32_e32 v8, 0x3fb8aa3b, v3
	v_fma_f32 v9, 0x3fb8aa3b, v3, -v8
	v_rndne_f32_e32 v10, v8
	s_delay_alu instid0(VALU_DEP_1) | instskip(NEXT) | instid1(VALU_DEP_1)
	v_dual_fmac_f32 v9, 0x32a5705f, v3 :: v_dual_sub_f32 v8, v8, v10
	v_add_f32_e32 v8, v8, v9
	v_cvt_i32_f32_e32 v9, v10
	v_cndmask_b32_e32 v6, 0x7f800000, v6, vcc_lo
	v_cmp_ngt_f32_e32 vcc_lo, 0xc2ce8ed0, v3
	s_delay_alu instid0(VALU_DEP_4) | instskip(SKIP_1) | instid1(TRANS32_DEP_1)
	v_exp_f32_e32 v8, v8
	v_nop
	v_ldexp_f32 v8, v8, v9
	s_delay_alu instid0(VALU_DEP_1) | instskip(SKIP_2) | instid1(VALU_DEP_1)
	v_cndmask_b32_e32 v8, 0, v8, vcc_lo
	v_cmp_nlt_f32_e32 vcc_lo, 0x42b17218, v3
	v_mul_f32_e32 v3, 0x3fb8aa3b, v1
	v_fma_f32 v9, 0x3fb8aa3b, v1, -v3
	v_rndne_f32_e32 v10, v3
	s_delay_alu instid0(VALU_DEP_2) | instskip(NEXT) | instid1(VALU_DEP_2)
	v_fmac_f32_e32 v9, 0x32a5705f, v1
	v_dual_sub_f32 v3, v3, v10 :: v_dual_cndmask_b32 v8, 0x7f800000, v8
	v_cmp_ngt_f32_e32 vcc_lo, 0xc2ce8ed0, v1
	s_delay_alu instid0(VALU_DEP_2) | instskip(SKIP_1) | instid1(VALU_DEP_2)
	v_add_f32_e32 v3, v3, v9
	v_cvt_i32_f32_e32 v9, v10
	v_exp_f32_e32 v3, v3
	v_nop
	s_delay_alu instid0(TRANS32_DEP_1) | instskip(NEXT) | instid1(VALU_DEP_1)
	v_ldexp_f32 v3, v3, v9
	v_cndmask_b32_e32 v3, 0, v3, vcc_lo
	v_cmp_nlt_f32_e32 vcc_lo, 0x42b17218, v1
	s_delay_alu instid0(VALU_DEP_2) | instskip(NEXT) | instid1(VALU_DEP_1)
	v_cndmask_b32_e32 v10, 0x7f800000, v3, vcc_lo
	v_cvt_f16_f32_e32 v1, v10
	s_delay_alu instid0(VALU_DEP_1) | instskip(NEXT) | instid1(VALU_DEP_1)
	v_and_b32_e32 v1, 0xffff, v1
	v_mul_u32_u24_e32 v18, 0x10001, v1
	v_sub_f32_e32 v1, v7, v5
	s_delay_alu instid0(VALU_DEP_1) | instskip(SKIP_1) | instid1(VALU_DEP_2)
	v_mul_f32_e32 v3, 0x3fb8aa3b, v1
	v_cmp_ngt_f32_e32 vcc_lo, 0xc2ce8ed0, v1
	v_fma_f32 v7, 0x3fb8aa3b, v1, -v3
	v_rndne_f32_e32 v9, v3
	s_delay_alu instid0(VALU_DEP_2) | instskip(NEXT) | instid1(VALU_DEP_2)
	v_fmac_f32_e32 v7, 0x32a5705f, v1
	v_sub_f32_e32 v3, v3, v9
	s_delay_alu instid0(VALU_DEP_1) | instskip(SKIP_1) | instid1(VALU_DEP_2)
	v_add_f32_e32 v3, v3, v7
	v_cvt_i32_f32_e32 v7, v9
	v_exp_f32_e32 v3, v3
	v_nop
	s_delay_alu instid0(TRANS32_DEP_1) | instskip(NEXT) | instid1(VALU_DEP_1)
	v_ldexp_f32 v3, v3, v7
	v_cndmask_b32_e32 v3, 0, v3, vcc_lo
	v_cmp_nlt_f32_e32 vcc_lo, 0x42b17218, v1
	s_delay_alu instid0(VALU_DEP_2) | instskip(SKIP_1) | instid1(VALU_DEP_1)
	v_cndmask_b32_e32 v1, 0x7f800000, v3, vcc_lo
	v_sub_f32_e32 v3, v17, v5
	v_mul_f32_e32 v7, 0x3fb8aa3b, v3
	v_cmp_ngt_f32_e32 vcc_lo, 0xc2ce8ed0, v3
	s_delay_alu instid0(VALU_DEP_2) | instskip(SKIP_1) | instid1(VALU_DEP_2)
	v_fma_f32 v9, 0x3fb8aa3b, v3, -v7
	v_rndne_f32_e32 v12, v7
	v_fmac_f32_e32 v9, 0x32a5705f, v3
	s_delay_alu instid0(VALU_DEP_2) | instskip(NEXT) | instid1(VALU_DEP_1)
	v_sub_f32_e32 v7, v7, v12
	v_add_f32_e32 v7, v7, v9
	v_cvt_i32_f32_e32 v9, v12
	s_delay_alu instid0(VALU_DEP_2) | instskip(SKIP_1) | instid1(TRANS32_DEP_1)
	v_exp_f32_e32 v7, v7
	v_nop
	v_ldexp_f32 v7, v7, v9
	s_delay_alu instid0(VALU_DEP_1) | instskip(SKIP_1) | instid1(VALU_DEP_2)
	v_cndmask_b32_e32 v7, 0, v7, vcc_lo
	v_cmp_nlt_f32_e32 vcc_lo, 0x42b17218, v3
	v_cndmask_b32_e32 v3, 0x7f800000, v7, vcc_lo
	v_sub_f32_e32 v7, v13, v5
	s_delay_alu instid0(VALU_DEP_1) | instskip(SKIP_1) | instid1(VALU_DEP_2)
	v_mul_f32_e32 v9, 0x3fb8aa3b, v7
	v_cmp_ngt_f32_e32 vcc_lo, 0xc2ce8ed0, v7
	v_fma_f32 v12, 0x3fb8aa3b, v7, -v9
	v_rndne_f32_e32 v13, v9
	s_delay_alu instid0(VALU_DEP_1) | instskip(NEXT) | instid1(VALU_DEP_1)
	v_dual_fmac_f32 v12, 0x32a5705f, v7 :: v_dual_sub_f32 v9, v9, v13
	v_add_f32_e32 v9, v9, v12
	v_cvt_i32_f32_e32 v12, v13
	s_delay_alu instid0(VALU_DEP_2) | instskip(SKIP_1) | instid1(TRANS32_DEP_1)
	v_exp_f32_e32 v9, v9
	v_nop
	v_ldexp_f32 v9, v9, v12
	s_delay_alu instid0(VALU_DEP_1) | instskip(SKIP_1) | instid1(VALU_DEP_2)
	v_cndmask_b32_e32 v9, 0, v9, vcc_lo
	v_cmp_nlt_f32_e32 vcc_lo, 0x42b17218, v7
	v_cndmask_b32_e32 v7, 0x7f800000, v9, vcc_lo
	v_sub_f32_e32 v9, v16, v5
	v_lshl_add_u64 v[16:17], v[58:59], 2, s[24:25]
	s_delay_alu instid0(VALU_DEP_2) | instskip(SKIP_1) | instid1(VALU_DEP_3)
	v_mul_f32_e32 v12, 0x3fb8aa3b, v9
	v_cmp_ngt_f32_e32 vcc_lo, 0xc2ce8ed0, v9
	v_add_nc_u64_e32 v[16:17], v[16:17], v[36:37]
	s_delay_alu instid0(VALU_DEP_3) | instskip(SKIP_1) | instid1(VALU_DEP_1)
	v_fma_f32 v13, 0x3fb8aa3b, v9, -v12
	v_rndne_f32_e32 v14, v12
	v_dual_fmac_f32 v13, 0x32a5705f, v9 :: v_dual_sub_f32 v12, v12, v14
	s_delay_alu instid0(VALU_DEP_1) | instskip(SKIP_1) | instid1(VALU_DEP_2)
	v_add_f32_e32 v12, v12, v13
	v_cvt_i32_f32_e32 v13, v14
	v_exp_f32_e32 v12, v12
	v_nop
	s_delay_alu instid0(TRANS32_DEP_1) | instskip(NEXT) | instid1(VALU_DEP_1)
	v_ldexp_f32 v12, v12, v13
	v_cndmask_b32_e32 v12, 0, v12, vcc_lo
	v_cmp_nlt_f32_e32 vcc_lo, 0x42b17218, v9
	s_delay_alu instid0(VALU_DEP_2) | instskip(SKIP_2) | instid1(VALU_DEP_2)
	v_cndmask_b32_e32 v9, 0x7f800000, v12, vcc_lo
	v_mul_f32_e32 v12, 0x3fb8aa3b, v11
	v_cmp_ngt_f32_e32 vcc_lo, 0xc2ce8ed0, v11
	v_fma_f32 v13, 0x3fb8aa3b, v11, -v12
	v_rndne_f32_e32 v14, v12
	s_delay_alu instid0(VALU_DEP_1) | instskip(NEXT) | instid1(VALU_DEP_1)
	v_dual_fmac_f32 v13, 0x32a5705f, v11 :: v_dual_sub_f32 v12, v12, v14
	v_add_f32_e32 v12, v12, v13
	v_cvt_i32_f32_e32 v13, v14
	s_delay_alu instid0(VALU_DEP_2) | instskip(SKIP_1) | instid1(TRANS32_DEP_1)
	v_exp_f32_e32 v12, v12
	v_nop
	v_ldexp_f32 v12, v12, v13
	s_delay_alu instid0(VALU_DEP_1) | instskip(SKIP_1) | instid1(VALU_DEP_2)
	v_cndmask_b32_e32 v12, 0, v12, vcc_lo
	v_cmp_nlt_f32_e32 vcc_lo, 0x42b17218, v11
	v_cndmask_b32_e32 v11, 0x7f800000, v12, vcc_lo
	v_pk_add_f32 v[12:13], v[0:1], v[2:3]
	v_cvt_pk_f16_f32 v0, v0, v1
	v_cvt_pk_f16_f32 v1, v2, v3
	v_lshl_add_u64 v[2:3], v[40:41], 2, s[24:25]
	s_delay_alu instid0(VALU_DEP_4)
	v_pk_add_f32 v[12:13], v[6:7], v[12:13]
	ds_store_2addr_b32 v84, v0, v1 offset1:32
	v_cvt_pk_f16_f32 v0, v6, v7
	v_cvt_pk_f16_f32 v1, v8, v9
	v_add_nc_u64_e32 v[2:3], v[2:3], v[36:37]
	v_pk_add_f32 v[12:13], v[8:9], v[12:13]
	v_lshl_add_u64 v[6:7], v[44:45], 2, s[24:25]
	ds_store_2addr_b32 v84, v0, v1 offset0:64 offset1:96
	v_lshl_add_u64 v[0:1], v[32:33], 2, s[24:25]
	v_pk_fma_f32 v[50:51], v[50:51], v[10:11], v[12:13]
	v_cvt_f16_f32_e32 v10, v11
	s_delay_alu instid0(VALU_DEP_3) | instskip(NEXT) | instid1(VALU_DEP_2)
	v_add_nc_u64_e32 v[0:1], v[0:1], v[36:37]
	v_and_b32_e32 v10, 0xffff, v10
	s_clause 0x1
	global_load_b128 v[20:23], v[0:1], off
	global_load_b128 v[0:3], v[2:3], off
	v_mul_u32_u24_e32 v19, 0x10001, v10
	v_add_nc_u64_e32 v[10:11], v[6:7], v[36:37]
	v_lshl_add_u64 v[6:7], v[48:49], 2, s[24:25]
	s_delay_alu instid0(VALU_DEP_1) | instskip(SKIP_1) | instid1(VALU_DEP_1)
	v_add_nc_u64_e32 v[14:15], v[6:7], v[36:37]
	v_lshl_add_u64 v[6:7], v[52:53], 2, s[24:25]
	v_add_nc_u64_e32 v[8:9], v[6:7], v[36:37]
	v_lshl_add_u64 v[6:7], v[54:55], 2, s[24:25]
	s_delay_alu instid0(VALU_DEP_1) | instskip(SKIP_1) | instid1(VALU_DEP_1)
	v_add_nc_u64_e32 v[12:13], v[6:7], v[36:37]
	v_lshl_add_u64 v[6:7], v[56:57], 2, s[24:25]
	v_add_nc_u64_e32 v[6:7], v[6:7], v[36:37]
	s_wait_loadcnt 0x1
	ds_store_b128 v74, v[20:23]
	s_wait_loadcnt 0x0
	ds_store_b128 v77, v[0:3]
	global_load_b128 v[0:3], v[10:11], off
	s_wait_loadcnt 0x0
	ds_store_b128 v78, v[0:3]
	global_load_b128 v[0:3], v[14:15], off
	;; [unrolled: 3-line block ×6, first 2 shown]
	s_wait_loadcnt 0x0
	ds_store_b128 v83, v[0:3]
	s_wait_dscnt 0x0
	s_barrier_signal -1
	s_barrier_wait -1
	ds_load_2addr_b32 v[6:7], v64 offset1:32
	ds_load_b128 v[0:3], v76
	s_wait_dscnt 0x0
	v_lshrrev_b32_e32 v8, 16, v0
	v_and_b32_e32 v0, 0xffff, v0
	s_delay_alu instid0(VALU_DEP_2) | instskip(NEXT) | instid1(VALU_DEP_2)
	v_mul_u32_u24_e32 v8, 0x10001, v8
	v_mul_u32_u24_e32 v0, 0x10001, v0
	s_delay_alu instid0(VALU_DEP_1) | instskip(NEXT) | instid1(VALU_DEP_3)
	v_pk_mul_f16 v0, v6, v0
	v_pk_mul_f16 v6, v6, v8
	v_lshrrev_b32_e32 v8, 16, v1
	v_and_b32_e32 v1, 0xffff, v1
	s_delay_alu instid0(VALU_DEP_4) | instskip(NEXT) | instid1(VALU_DEP_4)
	v_pk_fma_f16 v0, v101, v18, v0
	v_pk_fma_f16 v6, v100, v19, v6
	s_delay_alu instid0(VALU_DEP_4) | instskip(NEXT) | instid1(VALU_DEP_4)
	v_mul_u32_u24_e32 v8, 0x10001, v8
	v_mul_u32_u24_e32 v1, 0x10001, v1
	s_delay_alu instid0(VALU_DEP_2) | instskip(NEXT) | instid1(VALU_DEP_2)
	v_pk_fma_f16 v6, v7, v8, v6
	v_pk_fma_f16 v9, v7, v1, v0
	ds_load_2addr_b32 v[0:1], v64 offset0:64 offset1:96
	v_lshrrev_b32_e32 v7, 16, v2
	v_and_b32_e32 v2, 0xffff, v2
	s_delay_alu instid0(VALU_DEP_2) | instskip(NEXT) | instid1(VALU_DEP_2)
	v_mul_u32_u24_e32 v7, 0x10001, v7
	v_mul_u32_u24_e32 v2, 0x10001, v2
	s_wait_dscnt 0x0
	s_delay_alu instid0(VALU_DEP_1) | instskip(NEXT) | instid1(VALU_DEP_3)
	v_pk_fma_f16 v2, v0, v2, v9
	v_pk_fma_f16 v0, v0, v7, v6
	v_lshrrev_b32_e32 v6, 16, v3
	v_and_b32_e32 v3, 0xffff, v3
	s_delay_alu instid0(VALU_DEP_2) | instskip(NEXT) | instid1(VALU_DEP_2)
	v_mul_u32_u24_e32 v6, 0x10001, v6
	v_mul_u32_u24_e32 v3, 0x10001, v3
	s_delay_alu instid0(VALU_DEP_2) | instskip(NEXT) | instid1(VALU_DEP_2)
	v_pk_fma_f16 v9, v1, v6, v0
	v_pk_fma_f16 v8, v1, v3, v2
	ds_load_2addr_b32 v[6:7], v64 offset0:128 offset1:160
	ds_load_b128 v[0:3], v76 offset:16
	s_wait_dscnt 0x0
	v_lshrrev_b32_e32 v10, 16, v0
	v_and_b32_e32 v0, 0xffff, v0
	s_delay_alu instid0(VALU_DEP_2) | instskip(NEXT) | instid1(VALU_DEP_2)
	v_mul_u32_u24_e32 v10, 0x10001, v10
	v_mul_u32_u24_e32 v0, 0x10001, v0
	s_delay_alu instid0(VALU_DEP_1) | instskip(SKIP_3) | instid1(VALU_DEP_3)
	v_pk_fma_f16 v0, v6, v0, v8
	v_lshrrev_b32_e32 v8, 16, v1
	v_and_b32_e32 v1, 0xffff, v1
	v_pk_fma_f16 v6, v6, v10, v9
	v_mul_u32_u24_e32 v8, 0x10001, v8
	s_delay_alu instid0(VALU_DEP_3) | instskip(NEXT) | instid1(VALU_DEP_2)
	v_mul_u32_u24_e32 v1, 0x10001, v1
	v_pk_fma_f16 v6, v7, v8, v6
	s_delay_alu instid0(VALU_DEP_2) | instskip(SKIP_3) | instid1(VALU_DEP_2)
	v_pk_fma_f16 v9, v7, v1, v0
	ds_load_2addr_b32 v[0:1], v64 offset0:192 offset1:224
	v_lshrrev_b32_e32 v7, 16, v2
	v_and_b32_e32 v2, 0xffff, v2
	v_mul_u32_u24_e32 v7, 0x10001, v7
	s_delay_alu instid0(VALU_DEP_2) | instskip(SKIP_1) | instid1(VALU_DEP_1)
	v_mul_u32_u24_e32 v2, 0x10001, v2
	s_wait_dscnt 0x0
	v_pk_fma_f16 v2, v0, v2, v9
	s_delay_alu instid0(VALU_DEP_3) | instskip(SKIP_2) | instid1(VALU_DEP_2)
	v_pk_fma_f16 v0, v0, v7, v6
	v_lshrrev_b32_e32 v6, 16, v3
	v_and_b32_e32 v3, 0xffff, v3
	v_mul_u32_u24_e32 v6, 0x10001, v6
	s_delay_alu instid0(VALU_DEP_2) | instskip(NEXT) | instid1(VALU_DEP_2)
	v_mul_u32_u24_e32 v3, 0x10001, v3
	v_pk_fma_f16 v9, v1, v6, v0
	s_delay_alu instid0(VALU_DEP_2)
	v_pk_fma_f16 v8, v1, v3, v2
	ds_load_2addr_b32 v[6:7], v85 offset1:32
	ds_load_b128 v[0:3], v76 offset:32
	s_wait_dscnt 0x0
	v_lshrrev_b32_e32 v10, 16, v0
	v_and_b32_e32 v0, 0xffff, v0
	s_delay_alu instid0(VALU_DEP_2) | instskip(NEXT) | instid1(VALU_DEP_2)
	v_mul_u32_u24_e32 v10, 0x10001, v10
	v_mul_u32_u24_e32 v0, 0x10001, v0
	s_delay_alu instid0(VALU_DEP_1) | instskip(SKIP_3) | instid1(VALU_DEP_3)
	v_pk_fma_f16 v0, v6, v0, v8
	v_lshrrev_b32_e32 v8, 16, v1
	v_and_b32_e32 v1, 0xffff, v1
	v_pk_fma_f16 v6, v6, v10, v9
	v_mul_u32_u24_e32 v8, 0x10001, v8
	s_delay_alu instid0(VALU_DEP_3) | instskip(NEXT) | instid1(VALU_DEP_2)
	v_mul_u32_u24_e32 v1, 0x10001, v1
	v_pk_fma_f16 v6, v7, v8, v6
	s_delay_alu instid0(VALU_DEP_2) | instskip(SKIP_3) | instid1(VALU_DEP_2)
	v_pk_fma_f16 v9, v7, v1, v0
	ds_load_2addr_b32 v[0:1], v85 offset0:64 offset1:96
	v_lshrrev_b32_e32 v7, 16, v2
	v_and_b32_e32 v2, 0xffff, v2
	v_mul_u32_u24_e32 v7, 0x10001, v7
	s_delay_alu instid0(VALU_DEP_2) | instskip(SKIP_1) | instid1(VALU_DEP_1)
	v_mul_u32_u24_e32 v2, 0x10001, v2
	s_wait_dscnt 0x0
	v_pk_fma_f16 v2, v0, v2, v9
	s_delay_alu instid0(VALU_DEP_3) | instskip(SKIP_2) | instid1(VALU_DEP_2)
	v_pk_fma_f16 v0, v0, v7, v6
	v_lshrrev_b32_e32 v6, 16, v3
	v_and_b32_e32 v3, 0xffff, v3
	v_mul_u32_u24_e32 v6, 0x10001, v6
	s_delay_alu instid0(VALU_DEP_2) | instskip(NEXT) | instid1(VALU_DEP_2)
	v_mul_u32_u24_e32 v3, 0x10001, v3
	v_pk_fma_f16 v9, v1, v6, v0
	s_delay_alu instid0(VALU_DEP_2)
	v_pk_fma_f16 v8, v1, v3, v2
	ds_load_2addr_b32 v[6:7], v85 offset0:128 offset1:160
	ds_load_b128 v[0:3], v76 offset:48
	s_wait_dscnt 0x0
	v_lshrrev_b32_e32 v10, 16, v0
	v_and_b32_e32 v0, 0xffff, v0
	s_delay_alu instid0(VALU_DEP_2) | instskip(NEXT) | instid1(VALU_DEP_2)
	v_mul_u32_u24_e32 v10, 0x10001, v10
	v_mul_u32_u24_e32 v0, 0x10001, v0
	s_delay_alu instid0(VALU_DEP_1) | instskip(SKIP_3) | instid1(VALU_DEP_3)
	v_pk_fma_f16 v0, v6, v0, v8
	v_lshrrev_b32_e32 v8, 16, v1
	v_and_b32_e32 v1, 0xffff, v1
	v_pk_fma_f16 v6, v6, v10, v9
	v_mul_u32_u24_e32 v8, 0x10001, v8
	s_delay_alu instid0(VALU_DEP_3) | instskip(NEXT) | instid1(VALU_DEP_2)
	v_mul_u32_u24_e32 v1, 0x10001, v1
	v_pk_fma_f16 v6, v7, v8, v6
	s_delay_alu instid0(VALU_DEP_2) | instskip(SKIP_3) | instid1(VALU_DEP_2)
	v_pk_fma_f16 v9, v7, v1, v0
	ds_load_2addr_b32 v[0:1], v85 offset0:192 offset1:224
	v_lshrrev_b32_e32 v7, 16, v2
	v_and_b32_e32 v2, 0xffff, v2
	v_mul_u32_u24_e32 v7, 0x10001, v7
	s_delay_alu instid0(VALU_DEP_2) | instskip(SKIP_1) | instid1(VALU_DEP_1)
	v_mul_u32_u24_e32 v2, 0x10001, v2
	s_wait_dscnt 0x0
	v_pk_fma_f16 v2, v0, v2, v9
	s_delay_alu instid0(VALU_DEP_3) | instskip(SKIP_2) | instid1(VALU_DEP_2)
	v_pk_fma_f16 v0, v0, v7, v6
	v_lshrrev_b32_e32 v6, 16, v3
	v_and_b32_e32 v3, 0xffff, v3
	v_mul_u32_u24_e32 v6, 0x10001, v6
	s_delay_alu instid0(VALU_DEP_2) | instskip(NEXT) | instid1(VALU_DEP_2)
	v_mul_u32_u24_e32 v3, 0x10001, v3
	v_pk_fma_f16 v9, v1, v6, v0
	s_delay_alu instid0(VALU_DEP_2)
	v_pk_fma_f16 v8, v1, v3, v2
	ds_load_2addr_b32 v[6:7], v86 offset1:32
	ds_load_b128 v[0:3], v76 offset:64
	s_wait_dscnt 0x0
	v_lshrrev_b32_e32 v10, 16, v0
	v_and_b32_e32 v0, 0xffff, v0
	s_delay_alu instid0(VALU_DEP_2) | instskip(NEXT) | instid1(VALU_DEP_2)
	v_mul_u32_u24_e32 v10, 0x10001, v10
	v_mul_u32_u24_e32 v0, 0x10001, v0
	s_delay_alu instid0(VALU_DEP_1) | instskip(SKIP_3) | instid1(VALU_DEP_3)
	v_pk_fma_f16 v0, v6, v0, v8
	v_lshrrev_b32_e32 v8, 16, v1
	v_and_b32_e32 v1, 0xffff, v1
	v_pk_fma_f16 v6, v6, v10, v9
	v_mul_u32_u24_e32 v8, 0x10001, v8
	s_delay_alu instid0(VALU_DEP_3) | instskip(NEXT) | instid1(VALU_DEP_2)
	v_mul_u32_u24_e32 v1, 0x10001, v1
	v_pk_fma_f16 v6, v7, v8, v6
	s_delay_alu instid0(VALU_DEP_2) | instskip(SKIP_3) | instid1(VALU_DEP_2)
	v_pk_fma_f16 v9, v7, v1, v0
	ds_load_2addr_b32 v[0:1], v86 offset0:64 offset1:96
	v_lshrrev_b32_e32 v7, 16, v2
	v_and_b32_e32 v2, 0xffff, v2
	v_mul_u32_u24_e32 v7, 0x10001, v7
	s_delay_alu instid0(VALU_DEP_2) | instskip(SKIP_1) | instid1(VALU_DEP_1)
	v_mul_u32_u24_e32 v2, 0x10001, v2
	s_wait_dscnt 0x0
	v_pk_fma_f16 v2, v0, v2, v9
	s_delay_alu instid0(VALU_DEP_3) | instskip(SKIP_2) | instid1(VALU_DEP_2)
	v_pk_fma_f16 v0, v0, v7, v6
	v_lshrrev_b32_e32 v6, 16, v3
	v_and_b32_e32 v3, 0xffff, v3
	v_mul_u32_u24_e32 v6, 0x10001, v6
	s_delay_alu instid0(VALU_DEP_2) | instskip(NEXT) | instid1(VALU_DEP_2)
	v_mul_u32_u24_e32 v3, 0x10001, v3
	v_pk_fma_f16 v9, v1, v6, v0
	s_delay_alu instid0(VALU_DEP_2)
	v_pk_fma_f16 v8, v1, v3, v2
	ds_load_2addr_b32 v[6:7], v86 offset0:128 offset1:160
	ds_load_b128 v[0:3], v76 offset:80
	s_wait_dscnt 0x0
	v_lshrrev_b32_e32 v10, 16, v0
	v_and_b32_e32 v0, 0xffff, v0
	s_delay_alu instid0(VALU_DEP_2) | instskip(NEXT) | instid1(VALU_DEP_2)
	v_mul_u32_u24_e32 v10, 0x10001, v10
	v_mul_u32_u24_e32 v0, 0x10001, v0
	s_delay_alu instid0(VALU_DEP_1) | instskip(SKIP_3) | instid1(VALU_DEP_3)
	v_pk_fma_f16 v0, v6, v0, v8
	v_lshrrev_b32_e32 v8, 16, v1
	v_and_b32_e32 v1, 0xffff, v1
	v_pk_fma_f16 v6, v6, v10, v9
	v_mul_u32_u24_e32 v8, 0x10001, v8
	s_delay_alu instid0(VALU_DEP_3) | instskip(NEXT) | instid1(VALU_DEP_2)
	v_mul_u32_u24_e32 v1, 0x10001, v1
	v_pk_fma_f16 v6, v7, v8, v6
	s_delay_alu instid0(VALU_DEP_2) | instskip(SKIP_3) | instid1(VALU_DEP_2)
	v_pk_fma_f16 v9, v7, v1, v0
	ds_load_2addr_b32 v[0:1], v86 offset0:192 offset1:224
	v_lshrrev_b32_e32 v7, 16, v2
	v_and_b32_e32 v2, 0xffff, v2
	v_mul_u32_u24_e32 v7, 0x10001, v7
	s_delay_alu instid0(VALU_DEP_2) | instskip(SKIP_1) | instid1(VALU_DEP_1)
	v_mul_u32_u24_e32 v2, 0x10001, v2
	s_wait_dscnt 0x0
	v_pk_fma_f16 v2, v0, v2, v9
	s_delay_alu instid0(VALU_DEP_3) | instskip(SKIP_2) | instid1(VALU_DEP_2)
	v_pk_fma_f16 v0, v0, v7, v6
	v_lshrrev_b32_e32 v6, 16, v3
	v_and_b32_e32 v3, 0xffff, v3
	v_mul_u32_u24_e32 v6, 0x10001, v6
	s_delay_alu instid0(VALU_DEP_2) | instskip(NEXT) | instid1(VALU_DEP_2)
	v_mul_u32_u24_e32 v3, 0x10001, v3
	v_pk_fma_f16 v9, v1, v6, v0
	s_delay_alu instid0(VALU_DEP_2)
	v_pk_fma_f16 v8, v1, v3, v2
	ds_load_2addr_b32 v[6:7], v87 offset1:32
	ds_load_b128 v[0:3], v76 offset:96
	s_wait_dscnt 0x0
	v_lshrrev_b32_e32 v10, 16, v0
	v_and_b32_e32 v0, 0xffff, v0
	s_delay_alu instid0(VALU_DEP_2) | instskip(NEXT) | instid1(VALU_DEP_2)
	v_mul_u32_u24_e32 v10, 0x10001, v10
	v_mul_u32_u24_e32 v0, 0x10001, v0
	s_delay_alu instid0(VALU_DEP_1) | instskip(SKIP_3) | instid1(VALU_DEP_3)
	v_pk_fma_f16 v0, v6, v0, v8
	v_lshrrev_b32_e32 v8, 16, v1
	v_and_b32_e32 v1, 0xffff, v1
	v_pk_fma_f16 v6, v6, v10, v9
	v_mul_u32_u24_e32 v8, 0x10001, v8
	s_delay_alu instid0(VALU_DEP_3) | instskip(NEXT) | instid1(VALU_DEP_2)
	v_mul_u32_u24_e32 v1, 0x10001, v1
	v_pk_fma_f16 v6, v7, v8, v6
	s_delay_alu instid0(VALU_DEP_2) | instskip(SKIP_3) | instid1(VALU_DEP_2)
	v_pk_fma_f16 v9, v7, v1, v0
	ds_load_2addr_b32 v[0:1], v87 offset0:64 offset1:96
	v_lshrrev_b32_e32 v7, 16, v2
	v_and_b32_e32 v2, 0xffff, v2
	v_mul_u32_u24_e32 v7, 0x10001, v7
	s_delay_alu instid0(VALU_DEP_2) | instskip(SKIP_1) | instid1(VALU_DEP_1)
	v_mul_u32_u24_e32 v2, 0x10001, v2
	s_wait_dscnt 0x0
	v_pk_fma_f16 v2, v0, v2, v9
	s_delay_alu instid0(VALU_DEP_3) | instskip(SKIP_2) | instid1(VALU_DEP_2)
	v_pk_fma_f16 v0, v0, v7, v6
	v_lshrrev_b32_e32 v6, 16, v3
	v_and_b32_e32 v3, 0xffff, v3
	v_mul_u32_u24_e32 v6, 0x10001, v6
	s_delay_alu instid0(VALU_DEP_2) | instskip(NEXT) | instid1(VALU_DEP_2)
	v_mul_u32_u24_e32 v3, 0x10001, v3
	v_pk_fma_f16 v9, v1, v6, v0
	s_delay_alu instid0(VALU_DEP_2)
	v_pk_fma_f16 v8, v1, v3, v2
	ds_load_2addr_b32 v[6:7], v87 offset0:128 offset1:160
	ds_load_b128 v[0:3], v76 offset:112
	s_wait_dscnt 0x0
	v_lshrrev_b32_e32 v10, 16, v0
	v_and_b32_e32 v0, 0xffff, v0
	s_delay_alu instid0(VALU_DEP_2) | instskip(NEXT) | instid1(VALU_DEP_2)
	v_mul_u32_u24_e32 v10, 0x10001, v10
	v_mul_u32_u24_e32 v0, 0x10001, v0
	s_delay_alu instid0(VALU_DEP_1) | instskip(SKIP_3) | instid1(VALU_DEP_3)
	v_pk_fma_f16 v0, v6, v0, v8
	v_lshrrev_b32_e32 v8, 16, v1
	v_and_b32_e32 v1, 0xffff, v1
	v_pk_fma_f16 v6, v6, v10, v9
	v_mul_u32_u24_e32 v8, 0x10001, v8
	s_delay_alu instid0(VALU_DEP_3) | instskip(NEXT) | instid1(VALU_DEP_2)
	v_mul_u32_u24_e32 v1, 0x10001, v1
	v_pk_fma_f16 v6, v7, v8, v6
	s_delay_alu instid0(VALU_DEP_2) | instskip(SKIP_3) | instid1(VALU_DEP_2)
	v_pk_fma_f16 v9, v7, v1, v0
	ds_load_2addr_b32 v[0:1], v87 offset0:192 offset1:224
	v_lshrrev_b32_e32 v7, 16, v2
	v_and_b32_e32 v2, 0xffff, v2
	v_mul_u32_u24_e32 v7, 0x10001, v7
	s_delay_alu instid0(VALU_DEP_2) | instskip(SKIP_1) | instid1(VALU_DEP_1)
	v_mul_u32_u24_e32 v2, 0x10001, v2
	s_wait_dscnt 0x0
	v_pk_fma_f16 v2, v0, v2, v9
	s_delay_alu instid0(VALU_DEP_3) | instskip(SKIP_2) | instid1(VALU_DEP_2)
	v_pk_fma_f16 v0, v0, v7, v6
	v_lshrrev_b32_e32 v6, 16, v3
	v_and_b32_e32 v3, 0xffff, v3
	v_mul_u32_u24_e32 v6, 0x10001, v6
	s_delay_alu instid0(VALU_DEP_2) | instskip(NEXT) | instid1(VALU_DEP_2)
	v_mul_u32_u24_e32 v3, 0x10001, v3
	v_pk_fma_f16 v9, v1, v6, v0
	s_delay_alu instid0(VALU_DEP_2)
	v_pk_fma_f16 v8, v1, v3, v2
	ds_load_2addr_b32 v[6:7], v88 offset1:32
	ds_load_b128 v[0:3], v76 offset:128
	s_wait_dscnt 0x0
	v_lshrrev_b32_e32 v10, 16, v0
	v_and_b32_e32 v0, 0xffff, v0
	s_delay_alu instid0(VALU_DEP_2) | instskip(NEXT) | instid1(VALU_DEP_2)
	v_mul_u32_u24_e32 v10, 0x10001, v10
	v_mul_u32_u24_e32 v0, 0x10001, v0
	s_delay_alu instid0(VALU_DEP_1) | instskip(SKIP_3) | instid1(VALU_DEP_3)
	v_pk_fma_f16 v0, v6, v0, v8
	v_lshrrev_b32_e32 v8, 16, v1
	v_and_b32_e32 v1, 0xffff, v1
	v_pk_fma_f16 v6, v6, v10, v9
	v_mul_u32_u24_e32 v8, 0x10001, v8
	s_delay_alu instid0(VALU_DEP_3) | instskip(NEXT) | instid1(VALU_DEP_2)
	v_mul_u32_u24_e32 v1, 0x10001, v1
	v_pk_fma_f16 v6, v7, v8, v6
	s_delay_alu instid0(VALU_DEP_2) | instskip(SKIP_3) | instid1(VALU_DEP_2)
	v_pk_fma_f16 v9, v7, v1, v0
	ds_load_2addr_b32 v[0:1], v88 offset0:64 offset1:96
	v_lshrrev_b32_e32 v7, 16, v2
	v_and_b32_e32 v2, 0xffff, v2
	v_mul_u32_u24_e32 v7, 0x10001, v7
	s_delay_alu instid0(VALU_DEP_2) | instskip(SKIP_1) | instid1(VALU_DEP_1)
	v_mul_u32_u24_e32 v2, 0x10001, v2
	s_wait_dscnt 0x0
	v_pk_fma_f16 v2, v0, v2, v9
	s_delay_alu instid0(VALU_DEP_3) | instskip(SKIP_2) | instid1(VALU_DEP_2)
	v_pk_fma_f16 v0, v0, v7, v6
	v_lshrrev_b32_e32 v6, 16, v3
	v_and_b32_e32 v3, 0xffff, v3
	v_mul_u32_u24_e32 v6, 0x10001, v6
	s_delay_alu instid0(VALU_DEP_2) | instskip(NEXT) | instid1(VALU_DEP_2)
	v_mul_u32_u24_e32 v3, 0x10001, v3
	v_pk_fma_f16 v9, v1, v6, v0
	s_delay_alu instid0(VALU_DEP_2)
	v_pk_fma_f16 v8, v1, v3, v2
	ds_load_2addr_b32 v[6:7], v88 offset0:128 offset1:160
	ds_load_b128 v[0:3], v76 offset:144
	s_wait_dscnt 0x0
	v_lshrrev_b32_e32 v10, 16, v0
	v_and_b32_e32 v0, 0xffff, v0
	s_delay_alu instid0(VALU_DEP_2) | instskip(NEXT) | instid1(VALU_DEP_2)
	v_mul_u32_u24_e32 v10, 0x10001, v10
	v_mul_u32_u24_e32 v0, 0x10001, v0
	s_delay_alu instid0(VALU_DEP_1) | instskip(SKIP_3) | instid1(VALU_DEP_3)
	v_pk_fma_f16 v0, v6, v0, v8
	v_lshrrev_b32_e32 v8, 16, v1
	v_and_b32_e32 v1, 0xffff, v1
	v_pk_fma_f16 v6, v6, v10, v9
	v_mul_u32_u24_e32 v8, 0x10001, v8
	s_delay_alu instid0(VALU_DEP_3) | instskip(NEXT) | instid1(VALU_DEP_2)
	v_mul_u32_u24_e32 v1, 0x10001, v1
	v_pk_fma_f16 v6, v7, v8, v6
	s_delay_alu instid0(VALU_DEP_2) | instskip(SKIP_3) | instid1(VALU_DEP_2)
	v_pk_fma_f16 v9, v7, v1, v0
	ds_load_2addr_b32 v[0:1], v88 offset0:192 offset1:224
	v_lshrrev_b32_e32 v7, 16, v2
	v_and_b32_e32 v2, 0xffff, v2
	v_mul_u32_u24_e32 v7, 0x10001, v7
	s_delay_alu instid0(VALU_DEP_2) | instskip(SKIP_1) | instid1(VALU_DEP_1)
	v_mul_u32_u24_e32 v2, 0x10001, v2
	s_wait_dscnt 0x0
	v_pk_fma_f16 v2, v0, v2, v9
	s_delay_alu instid0(VALU_DEP_3) | instskip(SKIP_2) | instid1(VALU_DEP_2)
	v_pk_fma_f16 v0, v0, v7, v6
	v_lshrrev_b32_e32 v6, 16, v3
	v_and_b32_e32 v3, 0xffff, v3
	v_mul_u32_u24_e32 v6, 0x10001, v6
	s_delay_alu instid0(VALU_DEP_2) | instskip(NEXT) | instid1(VALU_DEP_2)
	v_mul_u32_u24_e32 v3, 0x10001, v3
	v_pk_fma_f16 v9, v1, v6, v0
	s_delay_alu instid0(VALU_DEP_2)
	v_pk_fma_f16 v8, v1, v3, v2
	ds_load_2addr_b32 v[6:7], v89 offset1:32
	ds_load_b128 v[0:3], v76 offset:160
	s_wait_dscnt 0x0
	v_lshrrev_b32_e32 v10, 16, v0
	v_and_b32_e32 v0, 0xffff, v0
	s_delay_alu instid0(VALU_DEP_2) | instskip(NEXT) | instid1(VALU_DEP_2)
	v_mul_u32_u24_e32 v10, 0x10001, v10
	v_mul_u32_u24_e32 v0, 0x10001, v0
	s_delay_alu instid0(VALU_DEP_1) | instskip(SKIP_3) | instid1(VALU_DEP_3)
	v_pk_fma_f16 v0, v6, v0, v8
	v_lshrrev_b32_e32 v8, 16, v1
	v_and_b32_e32 v1, 0xffff, v1
	v_pk_fma_f16 v6, v6, v10, v9
	v_mul_u32_u24_e32 v8, 0x10001, v8
	s_delay_alu instid0(VALU_DEP_3) | instskip(NEXT) | instid1(VALU_DEP_2)
	v_mul_u32_u24_e32 v1, 0x10001, v1
	v_pk_fma_f16 v6, v7, v8, v6
	s_delay_alu instid0(VALU_DEP_2) | instskip(SKIP_3) | instid1(VALU_DEP_2)
	v_pk_fma_f16 v9, v7, v1, v0
	ds_load_2addr_b32 v[0:1], v89 offset0:64 offset1:96
	v_lshrrev_b32_e32 v7, 16, v2
	v_and_b32_e32 v2, 0xffff, v2
	v_mul_u32_u24_e32 v7, 0x10001, v7
	s_delay_alu instid0(VALU_DEP_2) | instskip(SKIP_1) | instid1(VALU_DEP_1)
	v_mul_u32_u24_e32 v2, 0x10001, v2
	s_wait_dscnt 0x0
	v_pk_fma_f16 v2, v0, v2, v9
	s_delay_alu instid0(VALU_DEP_3) | instskip(SKIP_2) | instid1(VALU_DEP_2)
	v_pk_fma_f16 v0, v0, v7, v6
	v_lshrrev_b32_e32 v6, 16, v3
	v_and_b32_e32 v3, 0xffff, v3
	v_mul_u32_u24_e32 v6, 0x10001, v6
	s_delay_alu instid0(VALU_DEP_2) | instskip(NEXT) | instid1(VALU_DEP_2)
	v_mul_u32_u24_e32 v3, 0x10001, v3
	v_pk_fma_f16 v9, v1, v6, v0
	s_delay_alu instid0(VALU_DEP_2)
	v_pk_fma_f16 v8, v1, v3, v2
	ds_load_2addr_b32 v[6:7], v89 offset0:128 offset1:160
	ds_load_b128 v[0:3], v76 offset:176
	s_wait_dscnt 0x0
	v_lshrrev_b32_e32 v10, 16, v0
	v_and_b32_e32 v0, 0xffff, v0
	s_delay_alu instid0(VALU_DEP_2) | instskip(NEXT) | instid1(VALU_DEP_2)
	v_mul_u32_u24_e32 v10, 0x10001, v10
	v_mul_u32_u24_e32 v0, 0x10001, v0
	s_delay_alu instid0(VALU_DEP_1) | instskip(SKIP_3) | instid1(VALU_DEP_3)
	v_pk_fma_f16 v0, v6, v0, v8
	v_lshrrev_b32_e32 v8, 16, v1
	v_and_b32_e32 v1, 0xffff, v1
	v_pk_fma_f16 v6, v6, v10, v9
	v_mul_u32_u24_e32 v8, 0x10001, v8
	s_delay_alu instid0(VALU_DEP_3) | instskip(NEXT) | instid1(VALU_DEP_2)
	v_mul_u32_u24_e32 v1, 0x10001, v1
	v_pk_fma_f16 v6, v7, v8, v6
	s_delay_alu instid0(VALU_DEP_2) | instskip(SKIP_3) | instid1(VALU_DEP_2)
	v_pk_fma_f16 v9, v7, v1, v0
	ds_load_2addr_b32 v[0:1], v89 offset0:192 offset1:224
	v_lshrrev_b32_e32 v7, 16, v2
	v_and_b32_e32 v2, 0xffff, v2
	v_mul_u32_u24_e32 v7, 0x10001, v7
	s_delay_alu instid0(VALU_DEP_2) | instskip(SKIP_1) | instid1(VALU_DEP_1)
	v_mul_u32_u24_e32 v2, 0x10001, v2
	s_wait_dscnt 0x0
	v_pk_fma_f16 v2, v0, v2, v9
	s_delay_alu instid0(VALU_DEP_3) | instskip(SKIP_2) | instid1(VALU_DEP_2)
	v_pk_fma_f16 v0, v0, v7, v6
	v_lshrrev_b32_e32 v6, 16, v3
	v_and_b32_e32 v3, 0xffff, v3
	v_mul_u32_u24_e32 v6, 0x10001, v6
	s_delay_alu instid0(VALU_DEP_2) | instskip(NEXT) | instid1(VALU_DEP_2)
	v_mul_u32_u24_e32 v3, 0x10001, v3
	v_pk_fma_f16 v9, v1, v6, v0
	s_delay_alu instid0(VALU_DEP_2)
	v_pk_fma_f16 v8, v1, v3, v2
	ds_load_2addr_b32 v[6:7], v90 offset1:32
	ds_load_b128 v[0:3], v76 offset:192
	s_wait_dscnt 0x0
	v_lshrrev_b32_e32 v10, 16, v0
	v_and_b32_e32 v0, 0xffff, v0
	s_delay_alu instid0(VALU_DEP_2) | instskip(NEXT) | instid1(VALU_DEP_2)
	v_mul_u32_u24_e32 v10, 0x10001, v10
	v_mul_u32_u24_e32 v0, 0x10001, v0
	s_delay_alu instid0(VALU_DEP_1) | instskip(SKIP_3) | instid1(VALU_DEP_3)
	v_pk_fma_f16 v0, v6, v0, v8
	v_lshrrev_b32_e32 v8, 16, v1
	v_and_b32_e32 v1, 0xffff, v1
	v_pk_fma_f16 v6, v6, v10, v9
	v_mul_u32_u24_e32 v8, 0x10001, v8
	s_delay_alu instid0(VALU_DEP_3) | instskip(NEXT) | instid1(VALU_DEP_2)
	v_mul_u32_u24_e32 v1, 0x10001, v1
	v_pk_fma_f16 v6, v7, v8, v6
	s_delay_alu instid0(VALU_DEP_2) | instskip(SKIP_3) | instid1(VALU_DEP_2)
	v_pk_fma_f16 v9, v7, v1, v0
	ds_load_2addr_b32 v[0:1], v90 offset0:64 offset1:96
	v_lshrrev_b32_e32 v7, 16, v2
	v_and_b32_e32 v2, 0xffff, v2
	v_mul_u32_u24_e32 v7, 0x10001, v7
	s_delay_alu instid0(VALU_DEP_2) | instskip(SKIP_1) | instid1(VALU_DEP_1)
	v_mul_u32_u24_e32 v2, 0x10001, v2
	s_wait_dscnt 0x0
	v_pk_fma_f16 v2, v0, v2, v9
	s_delay_alu instid0(VALU_DEP_3) | instskip(SKIP_2) | instid1(VALU_DEP_2)
	v_pk_fma_f16 v0, v0, v7, v6
	v_lshrrev_b32_e32 v6, 16, v3
	v_and_b32_e32 v3, 0xffff, v3
	v_mul_u32_u24_e32 v6, 0x10001, v6
	s_delay_alu instid0(VALU_DEP_2) | instskip(NEXT) | instid1(VALU_DEP_2)
	v_mul_u32_u24_e32 v3, 0x10001, v3
	v_pk_fma_f16 v9, v1, v6, v0
	s_delay_alu instid0(VALU_DEP_2)
	v_pk_fma_f16 v8, v1, v3, v2
	ds_load_2addr_b32 v[6:7], v90 offset0:128 offset1:160
	ds_load_b128 v[0:3], v76 offset:208
	s_wait_dscnt 0x0
	v_lshrrev_b32_e32 v10, 16, v0
	v_and_b32_e32 v0, 0xffff, v0
	s_delay_alu instid0(VALU_DEP_2) | instskip(NEXT) | instid1(VALU_DEP_2)
	v_mul_u32_u24_e32 v10, 0x10001, v10
	v_mul_u32_u24_e32 v0, 0x10001, v0
	s_delay_alu instid0(VALU_DEP_1) | instskip(SKIP_3) | instid1(VALU_DEP_3)
	v_pk_fma_f16 v0, v6, v0, v8
	v_lshrrev_b32_e32 v8, 16, v1
	v_and_b32_e32 v1, 0xffff, v1
	v_pk_fma_f16 v6, v6, v10, v9
	v_mul_u32_u24_e32 v8, 0x10001, v8
	s_delay_alu instid0(VALU_DEP_3) | instskip(NEXT) | instid1(VALU_DEP_2)
	v_mul_u32_u24_e32 v1, 0x10001, v1
	v_pk_fma_f16 v6, v7, v8, v6
	s_delay_alu instid0(VALU_DEP_2) | instskip(SKIP_3) | instid1(VALU_DEP_2)
	v_pk_fma_f16 v9, v7, v1, v0
	ds_load_2addr_b32 v[0:1], v90 offset0:192 offset1:224
	v_lshrrev_b32_e32 v7, 16, v2
	v_and_b32_e32 v2, 0xffff, v2
	v_mul_u32_u24_e32 v7, 0x10001, v7
	s_delay_alu instid0(VALU_DEP_2) | instskip(SKIP_1) | instid1(VALU_DEP_1)
	v_mul_u32_u24_e32 v2, 0x10001, v2
	s_wait_dscnt 0x0
	v_pk_fma_f16 v2, v0, v2, v9
	s_delay_alu instid0(VALU_DEP_3) | instskip(SKIP_2) | instid1(VALU_DEP_2)
	v_pk_fma_f16 v0, v0, v7, v6
	v_lshrrev_b32_e32 v6, 16, v3
	v_and_b32_e32 v3, 0xffff, v3
	v_mul_u32_u24_e32 v6, 0x10001, v6
	s_delay_alu instid0(VALU_DEP_2) | instskip(NEXT) | instid1(VALU_DEP_2)
	v_mul_u32_u24_e32 v3, 0x10001, v3
	v_pk_fma_f16 v9, v1, v6, v0
	s_delay_alu instid0(VALU_DEP_2)
	v_pk_fma_f16 v8, v1, v3, v2
	ds_load_2addr_b32 v[6:7], v91 offset1:32
	ds_load_b128 v[0:3], v76 offset:224
	s_wait_dscnt 0x0
	v_lshrrev_b32_e32 v10, 16, v0
	v_and_b32_e32 v0, 0xffff, v0
	s_delay_alu instid0(VALU_DEP_2) | instskip(NEXT) | instid1(VALU_DEP_2)
	v_mul_u32_u24_e32 v10, 0x10001, v10
	v_mul_u32_u24_e32 v0, 0x10001, v0
	s_delay_alu instid0(VALU_DEP_1) | instskip(SKIP_3) | instid1(VALU_DEP_3)
	v_pk_fma_f16 v0, v6, v0, v8
	v_lshrrev_b32_e32 v8, 16, v1
	v_and_b32_e32 v1, 0xffff, v1
	v_pk_fma_f16 v6, v6, v10, v9
	v_mul_u32_u24_e32 v8, 0x10001, v8
	s_delay_alu instid0(VALU_DEP_3) | instskip(NEXT) | instid1(VALU_DEP_2)
	v_mul_u32_u24_e32 v1, 0x10001, v1
	v_pk_fma_f16 v6, v7, v8, v6
	s_delay_alu instid0(VALU_DEP_2) | instskip(SKIP_3) | instid1(VALU_DEP_2)
	v_pk_fma_f16 v9, v7, v1, v0
	ds_load_2addr_b32 v[0:1], v91 offset0:64 offset1:96
	v_lshrrev_b32_e32 v7, 16, v2
	v_and_b32_e32 v2, 0xffff, v2
	v_mul_u32_u24_e32 v7, 0x10001, v7
	s_delay_alu instid0(VALU_DEP_2) | instskip(SKIP_1) | instid1(VALU_DEP_1)
	v_mul_u32_u24_e32 v2, 0x10001, v2
	s_wait_dscnt 0x0
	v_pk_fma_f16 v2, v0, v2, v9
	s_delay_alu instid0(VALU_DEP_3) | instskip(SKIP_2) | instid1(VALU_DEP_2)
	v_pk_fma_f16 v0, v0, v7, v6
	v_lshrrev_b32_e32 v6, 16, v3
	v_and_b32_e32 v3, 0xffff, v3
	v_mul_u32_u24_e32 v6, 0x10001, v6
	s_delay_alu instid0(VALU_DEP_2) | instskip(NEXT) | instid1(VALU_DEP_2)
	v_mul_u32_u24_e32 v3, 0x10001, v3
	v_pk_fma_f16 v9, v1, v6, v0
	s_delay_alu instid0(VALU_DEP_2)
	v_pk_fma_f16 v8, v1, v3, v2
	ds_load_2addr_b32 v[6:7], v91 offset0:128 offset1:160
	ds_load_b128 v[0:3], v76 offset:240
	s_wait_dscnt 0x0
	v_lshrrev_b32_e32 v10, 16, v0
	v_and_b32_e32 v0, 0xffff, v0
	s_delay_alu instid0(VALU_DEP_2) | instskip(NEXT) | instid1(VALU_DEP_2)
	v_mul_u32_u24_e32 v10, 0x10001, v10
	v_mul_u32_u24_e32 v0, 0x10001, v0
	s_delay_alu instid0(VALU_DEP_1) | instskip(SKIP_3) | instid1(VALU_DEP_3)
	v_pk_fma_f16 v0, v6, v0, v8
	v_lshrrev_b32_e32 v8, 16, v1
	v_and_b32_e32 v1, 0xffff, v1
	v_pk_fma_f16 v6, v6, v10, v9
	v_mul_u32_u24_e32 v8, 0x10001, v8
	s_delay_alu instid0(VALU_DEP_3) | instskip(NEXT) | instid1(VALU_DEP_2)
	v_mul_u32_u24_e32 v1, 0x10001, v1
	v_pk_fma_f16 v6, v7, v8, v6
	s_delay_alu instid0(VALU_DEP_2) | instskip(SKIP_3) | instid1(VALU_DEP_2)
	v_pk_fma_f16 v9, v7, v1, v0
	ds_load_2addr_b32 v[0:1], v91 offset0:192 offset1:224
	v_lshrrev_b32_e32 v7, 16, v2
	v_and_b32_e32 v2, 0xffff, v2
	v_mul_u32_u24_e32 v7, 0x10001, v7
	s_delay_alu instid0(VALU_DEP_2) | instskip(SKIP_1) | instid1(VALU_DEP_1)
	v_mul_u32_u24_e32 v2, 0x10001, v2
	s_wait_dscnt 0x0
	v_pk_fma_f16 v2, v0, v2, v9
	s_delay_alu instid0(VALU_DEP_3) | instskip(SKIP_2) | instid1(VALU_DEP_2)
	v_pk_fma_f16 v0, v0, v7, v6
	v_lshrrev_b32_e32 v6, 16, v3
	v_and_b32_e32 v3, 0xffff, v3
	v_mul_u32_u24_e32 v6, 0x10001, v6
	s_delay_alu instid0(VALU_DEP_2) | instskip(NEXT) | instid1(VALU_DEP_2)
	v_mul_u32_u24_e32 v3, 0x10001, v3
	v_pk_fma_f16 v9, v1, v6, v0
	s_delay_alu instid0(VALU_DEP_2)
	v_pk_fma_f16 v8, v1, v3, v2
	ds_load_2addr_b32 v[6:7], v92 offset1:32
	ds_load_b128 v[0:3], v76 offset:256
	s_wait_dscnt 0x0
	v_lshrrev_b32_e32 v10, 16, v0
	v_and_b32_e32 v0, 0xffff, v0
	s_delay_alu instid0(VALU_DEP_2) | instskip(NEXT) | instid1(VALU_DEP_2)
	v_mul_u32_u24_e32 v10, 0x10001, v10
	v_mul_u32_u24_e32 v0, 0x10001, v0
	s_delay_alu instid0(VALU_DEP_1) | instskip(SKIP_3) | instid1(VALU_DEP_3)
	v_pk_fma_f16 v0, v6, v0, v8
	v_lshrrev_b32_e32 v8, 16, v1
	v_and_b32_e32 v1, 0xffff, v1
	v_pk_fma_f16 v6, v6, v10, v9
	v_mul_u32_u24_e32 v8, 0x10001, v8
	s_delay_alu instid0(VALU_DEP_3) | instskip(NEXT) | instid1(VALU_DEP_2)
	v_mul_u32_u24_e32 v1, 0x10001, v1
	v_pk_fma_f16 v6, v7, v8, v6
	s_delay_alu instid0(VALU_DEP_2) | instskip(SKIP_3) | instid1(VALU_DEP_2)
	v_pk_fma_f16 v9, v7, v1, v0
	ds_load_2addr_b32 v[0:1], v92 offset0:64 offset1:96
	v_lshrrev_b32_e32 v7, 16, v2
	v_and_b32_e32 v2, 0xffff, v2
	v_mul_u32_u24_e32 v7, 0x10001, v7
	s_delay_alu instid0(VALU_DEP_2) | instskip(SKIP_1) | instid1(VALU_DEP_1)
	v_mul_u32_u24_e32 v2, 0x10001, v2
	s_wait_dscnt 0x0
	v_pk_fma_f16 v2, v0, v2, v9
	s_delay_alu instid0(VALU_DEP_3) | instskip(SKIP_2) | instid1(VALU_DEP_2)
	v_pk_fma_f16 v0, v0, v7, v6
	v_lshrrev_b32_e32 v6, 16, v3
	v_and_b32_e32 v3, 0xffff, v3
	v_mul_u32_u24_e32 v6, 0x10001, v6
	s_delay_alu instid0(VALU_DEP_2) | instskip(NEXT) | instid1(VALU_DEP_2)
	v_mul_u32_u24_e32 v3, 0x10001, v3
	v_pk_fma_f16 v9, v1, v6, v0
	s_delay_alu instid0(VALU_DEP_2)
	v_pk_fma_f16 v8, v1, v3, v2
	ds_load_2addr_b32 v[6:7], v92 offset0:128 offset1:160
	ds_load_b128 v[0:3], v76 offset:272
	s_wait_dscnt 0x0
	v_lshrrev_b32_e32 v10, 16, v0
	v_and_b32_e32 v0, 0xffff, v0
	s_delay_alu instid0(VALU_DEP_2) | instskip(NEXT) | instid1(VALU_DEP_2)
	v_mul_u32_u24_e32 v10, 0x10001, v10
	v_mul_u32_u24_e32 v0, 0x10001, v0
	s_delay_alu instid0(VALU_DEP_1) | instskip(SKIP_3) | instid1(VALU_DEP_3)
	v_pk_fma_f16 v0, v6, v0, v8
	v_lshrrev_b32_e32 v8, 16, v1
	v_and_b32_e32 v1, 0xffff, v1
	v_pk_fma_f16 v6, v6, v10, v9
	v_mul_u32_u24_e32 v8, 0x10001, v8
	s_delay_alu instid0(VALU_DEP_3) | instskip(NEXT) | instid1(VALU_DEP_2)
	v_mul_u32_u24_e32 v1, 0x10001, v1
	v_pk_fma_f16 v6, v7, v8, v6
	s_delay_alu instid0(VALU_DEP_2) | instskip(SKIP_3) | instid1(VALU_DEP_2)
	v_pk_fma_f16 v9, v7, v1, v0
	ds_load_2addr_b32 v[0:1], v92 offset0:192 offset1:224
	v_lshrrev_b32_e32 v7, 16, v2
	v_and_b32_e32 v2, 0xffff, v2
	v_mul_u32_u24_e32 v7, 0x10001, v7
	s_delay_alu instid0(VALU_DEP_2) | instskip(SKIP_1) | instid1(VALU_DEP_1)
	v_mul_u32_u24_e32 v2, 0x10001, v2
	s_wait_dscnt 0x0
	v_pk_fma_f16 v2, v0, v2, v9
	s_delay_alu instid0(VALU_DEP_3) | instskip(SKIP_2) | instid1(VALU_DEP_2)
	v_pk_fma_f16 v0, v0, v7, v6
	v_lshrrev_b32_e32 v6, 16, v3
	v_and_b32_e32 v3, 0xffff, v3
	v_mul_u32_u24_e32 v6, 0x10001, v6
	s_delay_alu instid0(VALU_DEP_2) | instskip(NEXT) | instid1(VALU_DEP_2)
	v_mul_u32_u24_e32 v3, 0x10001, v3
	v_pk_fma_f16 v9, v1, v6, v0
	s_delay_alu instid0(VALU_DEP_2)
	v_pk_fma_f16 v8, v1, v3, v2
	ds_load_2addr_b32 v[6:7], v93 offset1:32
	ds_load_b128 v[0:3], v76 offset:288
	s_wait_dscnt 0x0
	v_lshrrev_b32_e32 v10, 16, v0
	v_and_b32_e32 v0, 0xffff, v0
	s_delay_alu instid0(VALU_DEP_2) | instskip(NEXT) | instid1(VALU_DEP_2)
	v_mul_u32_u24_e32 v10, 0x10001, v10
	v_mul_u32_u24_e32 v0, 0x10001, v0
	s_delay_alu instid0(VALU_DEP_1) | instskip(SKIP_3) | instid1(VALU_DEP_3)
	v_pk_fma_f16 v0, v6, v0, v8
	v_lshrrev_b32_e32 v8, 16, v1
	v_and_b32_e32 v1, 0xffff, v1
	v_pk_fma_f16 v6, v6, v10, v9
	v_mul_u32_u24_e32 v8, 0x10001, v8
	s_delay_alu instid0(VALU_DEP_3) | instskip(NEXT) | instid1(VALU_DEP_2)
	v_mul_u32_u24_e32 v1, 0x10001, v1
	v_pk_fma_f16 v6, v7, v8, v6
	s_delay_alu instid0(VALU_DEP_2) | instskip(SKIP_3) | instid1(VALU_DEP_2)
	v_pk_fma_f16 v9, v7, v1, v0
	ds_load_2addr_b32 v[0:1], v93 offset0:64 offset1:96
	v_lshrrev_b32_e32 v7, 16, v2
	v_and_b32_e32 v2, 0xffff, v2
	v_mul_u32_u24_e32 v7, 0x10001, v7
	s_delay_alu instid0(VALU_DEP_2) | instskip(SKIP_1) | instid1(VALU_DEP_1)
	v_mul_u32_u24_e32 v2, 0x10001, v2
	s_wait_dscnt 0x0
	v_pk_fma_f16 v2, v0, v2, v9
	s_delay_alu instid0(VALU_DEP_3) | instskip(SKIP_2) | instid1(VALU_DEP_2)
	v_pk_fma_f16 v0, v0, v7, v6
	v_lshrrev_b32_e32 v6, 16, v3
	v_and_b32_e32 v3, 0xffff, v3
	v_mul_u32_u24_e32 v6, 0x10001, v6
	s_delay_alu instid0(VALU_DEP_2) | instskip(NEXT) | instid1(VALU_DEP_2)
	v_mul_u32_u24_e32 v3, 0x10001, v3
	v_pk_fma_f16 v9, v1, v6, v0
	s_delay_alu instid0(VALU_DEP_2)
	v_pk_fma_f16 v8, v1, v3, v2
	ds_load_2addr_b32 v[6:7], v93 offset0:128 offset1:160
	ds_load_b128 v[0:3], v76 offset:304
	s_wait_dscnt 0x0
	v_lshrrev_b32_e32 v10, 16, v0
	v_and_b32_e32 v0, 0xffff, v0
	s_delay_alu instid0(VALU_DEP_2) | instskip(NEXT) | instid1(VALU_DEP_2)
	v_mul_u32_u24_e32 v10, 0x10001, v10
	v_mul_u32_u24_e32 v0, 0x10001, v0
	s_delay_alu instid0(VALU_DEP_1) | instskip(SKIP_3) | instid1(VALU_DEP_3)
	v_pk_fma_f16 v0, v6, v0, v8
	v_lshrrev_b32_e32 v8, 16, v1
	v_and_b32_e32 v1, 0xffff, v1
	v_pk_fma_f16 v6, v6, v10, v9
	v_mul_u32_u24_e32 v8, 0x10001, v8
	s_delay_alu instid0(VALU_DEP_3) | instskip(NEXT) | instid1(VALU_DEP_2)
	v_mul_u32_u24_e32 v1, 0x10001, v1
	v_pk_fma_f16 v6, v7, v8, v6
	s_delay_alu instid0(VALU_DEP_2) | instskip(SKIP_3) | instid1(VALU_DEP_2)
	v_pk_fma_f16 v9, v7, v1, v0
	ds_load_2addr_b32 v[0:1], v93 offset0:192 offset1:224
	v_lshrrev_b32_e32 v7, 16, v2
	v_and_b32_e32 v2, 0xffff, v2
	v_mul_u32_u24_e32 v7, 0x10001, v7
	s_delay_alu instid0(VALU_DEP_2) | instskip(SKIP_1) | instid1(VALU_DEP_1)
	v_mul_u32_u24_e32 v2, 0x10001, v2
	s_wait_dscnt 0x0
	v_pk_fma_f16 v2, v0, v2, v9
	s_delay_alu instid0(VALU_DEP_3) | instskip(SKIP_2) | instid1(VALU_DEP_2)
	v_pk_fma_f16 v0, v0, v7, v6
	v_lshrrev_b32_e32 v6, 16, v3
	v_and_b32_e32 v3, 0xffff, v3
	v_mul_u32_u24_e32 v6, 0x10001, v6
	s_delay_alu instid0(VALU_DEP_2) | instskip(NEXT) | instid1(VALU_DEP_2)
	v_mul_u32_u24_e32 v3, 0x10001, v3
	v_pk_fma_f16 v9, v1, v6, v0
	s_delay_alu instid0(VALU_DEP_2)
	v_pk_fma_f16 v8, v1, v3, v2
	ds_load_2addr_b32 v[6:7], v94 offset1:32
	ds_load_b128 v[0:3], v76 offset:320
	s_wait_dscnt 0x0
	v_lshrrev_b32_e32 v10, 16, v0
	v_and_b32_e32 v0, 0xffff, v0
	s_delay_alu instid0(VALU_DEP_2) | instskip(NEXT) | instid1(VALU_DEP_2)
	v_mul_u32_u24_e32 v10, 0x10001, v10
	v_mul_u32_u24_e32 v0, 0x10001, v0
	s_delay_alu instid0(VALU_DEP_1) | instskip(SKIP_3) | instid1(VALU_DEP_3)
	v_pk_fma_f16 v0, v6, v0, v8
	v_lshrrev_b32_e32 v8, 16, v1
	v_and_b32_e32 v1, 0xffff, v1
	v_pk_fma_f16 v6, v6, v10, v9
	v_mul_u32_u24_e32 v8, 0x10001, v8
	s_delay_alu instid0(VALU_DEP_3) | instskip(NEXT) | instid1(VALU_DEP_2)
	v_mul_u32_u24_e32 v1, 0x10001, v1
	v_pk_fma_f16 v6, v7, v8, v6
	s_delay_alu instid0(VALU_DEP_2) | instskip(SKIP_3) | instid1(VALU_DEP_2)
	v_pk_fma_f16 v9, v7, v1, v0
	ds_load_2addr_b32 v[0:1], v94 offset0:64 offset1:96
	v_lshrrev_b32_e32 v7, 16, v2
	v_and_b32_e32 v2, 0xffff, v2
	v_mul_u32_u24_e32 v7, 0x10001, v7
	s_delay_alu instid0(VALU_DEP_2) | instskip(SKIP_1) | instid1(VALU_DEP_1)
	v_mul_u32_u24_e32 v2, 0x10001, v2
	s_wait_dscnt 0x0
	v_pk_fma_f16 v2, v0, v2, v9
	s_delay_alu instid0(VALU_DEP_3) | instskip(SKIP_2) | instid1(VALU_DEP_2)
	v_pk_fma_f16 v0, v0, v7, v6
	v_lshrrev_b32_e32 v6, 16, v3
	v_and_b32_e32 v3, 0xffff, v3
	v_mul_u32_u24_e32 v6, 0x10001, v6
	s_delay_alu instid0(VALU_DEP_2) | instskip(NEXT) | instid1(VALU_DEP_2)
	v_mul_u32_u24_e32 v3, 0x10001, v3
	v_pk_fma_f16 v9, v1, v6, v0
	s_delay_alu instid0(VALU_DEP_2)
	v_pk_fma_f16 v8, v1, v3, v2
	ds_load_2addr_b32 v[6:7], v94 offset0:128 offset1:160
	ds_load_b128 v[0:3], v76 offset:336
	s_wait_dscnt 0x0
	v_lshrrev_b32_e32 v10, 16, v0
	v_and_b32_e32 v0, 0xffff, v0
	s_delay_alu instid0(VALU_DEP_2) | instskip(NEXT) | instid1(VALU_DEP_2)
	v_mul_u32_u24_e32 v10, 0x10001, v10
	v_mul_u32_u24_e32 v0, 0x10001, v0
	s_delay_alu instid0(VALU_DEP_1) | instskip(SKIP_3) | instid1(VALU_DEP_3)
	v_pk_fma_f16 v0, v6, v0, v8
	v_lshrrev_b32_e32 v8, 16, v1
	v_and_b32_e32 v1, 0xffff, v1
	v_pk_fma_f16 v6, v6, v10, v9
	v_mul_u32_u24_e32 v8, 0x10001, v8
	s_delay_alu instid0(VALU_DEP_3) | instskip(NEXT) | instid1(VALU_DEP_2)
	v_mul_u32_u24_e32 v1, 0x10001, v1
	v_pk_fma_f16 v6, v7, v8, v6
	s_delay_alu instid0(VALU_DEP_2) | instskip(SKIP_3) | instid1(VALU_DEP_2)
	v_pk_fma_f16 v9, v7, v1, v0
	ds_load_2addr_b32 v[0:1], v94 offset0:192 offset1:224
	v_lshrrev_b32_e32 v7, 16, v2
	v_and_b32_e32 v2, 0xffff, v2
	v_mul_u32_u24_e32 v7, 0x10001, v7
	s_delay_alu instid0(VALU_DEP_2) | instskip(SKIP_1) | instid1(VALU_DEP_1)
	v_mul_u32_u24_e32 v2, 0x10001, v2
	s_wait_dscnt 0x0
	v_pk_fma_f16 v2, v0, v2, v9
	s_delay_alu instid0(VALU_DEP_3) | instskip(SKIP_2) | instid1(VALU_DEP_2)
	v_pk_fma_f16 v0, v0, v7, v6
	v_lshrrev_b32_e32 v6, 16, v3
	v_and_b32_e32 v3, 0xffff, v3
	v_mul_u32_u24_e32 v6, 0x10001, v6
	s_delay_alu instid0(VALU_DEP_2) | instskip(NEXT) | instid1(VALU_DEP_2)
	v_mul_u32_u24_e32 v3, 0x10001, v3
	v_pk_fma_f16 v9, v1, v6, v0
	s_delay_alu instid0(VALU_DEP_2)
	v_pk_fma_f16 v8, v1, v3, v2
	ds_load_2addr_b32 v[6:7], v95 offset1:32
	ds_load_b128 v[0:3], v76 offset:352
	s_wait_dscnt 0x0
	v_lshrrev_b32_e32 v10, 16, v0
	v_and_b32_e32 v0, 0xffff, v0
	s_delay_alu instid0(VALU_DEP_2) | instskip(NEXT) | instid1(VALU_DEP_2)
	v_mul_u32_u24_e32 v10, 0x10001, v10
	v_mul_u32_u24_e32 v0, 0x10001, v0
	s_delay_alu instid0(VALU_DEP_1) | instskip(SKIP_3) | instid1(VALU_DEP_3)
	v_pk_fma_f16 v0, v6, v0, v8
	v_lshrrev_b32_e32 v8, 16, v1
	v_and_b32_e32 v1, 0xffff, v1
	v_pk_fma_f16 v6, v6, v10, v9
	v_mul_u32_u24_e32 v8, 0x10001, v8
	s_delay_alu instid0(VALU_DEP_3) | instskip(NEXT) | instid1(VALU_DEP_2)
	v_mul_u32_u24_e32 v1, 0x10001, v1
	v_pk_fma_f16 v6, v7, v8, v6
	s_delay_alu instid0(VALU_DEP_2) | instskip(SKIP_3) | instid1(VALU_DEP_2)
	v_pk_fma_f16 v9, v7, v1, v0
	ds_load_2addr_b32 v[0:1], v95 offset0:64 offset1:96
	v_lshrrev_b32_e32 v7, 16, v2
	v_and_b32_e32 v2, 0xffff, v2
	v_mul_u32_u24_e32 v7, 0x10001, v7
	s_delay_alu instid0(VALU_DEP_2) | instskip(SKIP_1) | instid1(VALU_DEP_1)
	v_mul_u32_u24_e32 v2, 0x10001, v2
	s_wait_dscnt 0x0
	v_pk_fma_f16 v2, v0, v2, v9
	s_delay_alu instid0(VALU_DEP_3) | instskip(SKIP_2) | instid1(VALU_DEP_2)
	v_pk_fma_f16 v0, v0, v7, v6
	v_lshrrev_b32_e32 v6, 16, v3
	v_and_b32_e32 v3, 0xffff, v3
	v_mul_u32_u24_e32 v6, 0x10001, v6
	s_delay_alu instid0(VALU_DEP_2) | instskip(NEXT) | instid1(VALU_DEP_2)
	v_mul_u32_u24_e32 v3, 0x10001, v3
	v_pk_fma_f16 v9, v1, v6, v0
	s_delay_alu instid0(VALU_DEP_2)
	v_pk_fma_f16 v8, v1, v3, v2
	ds_load_2addr_b32 v[6:7], v95 offset0:128 offset1:160
	ds_load_b128 v[0:3], v76 offset:368
	s_wait_dscnt 0x0
	v_lshrrev_b32_e32 v10, 16, v0
	v_and_b32_e32 v0, 0xffff, v0
	s_delay_alu instid0(VALU_DEP_2) | instskip(NEXT) | instid1(VALU_DEP_2)
	v_mul_u32_u24_e32 v10, 0x10001, v10
	v_mul_u32_u24_e32 v0, 0x10001, v0
	s_delay_alu instid0(VALU_DEP_1) | instskip(SKIP_3) | instid1(VALU_DEP_3)
	v_pk_fma_f16 v0, v6, v0, v8
	v_lshrrev_b32_e32 v8, 16, v1
	v_and_b32_e32 v1, 0xffff, v1
	v_pk_fma_f16 v6, v6, v10, v9
	v_mul_u32_u24_e32 v8, 0x10001, v8
	s_delay_alu instid0(VALU_DEP_3) | instskip(NEXT) | instid1(VALU_DEP_2)
	v_mul_u32_u24_e32 v1, 0x10001, v1
	v_pk_fma_f16 v6, v7, v8, v6
	s_delay_alu instid0(VALU_DEP_2) | instskip(SKIP_3) | instid1(VALU_DEP_2)
	v_pk_fma_f16 v9, v7, v1, v0
	ds_load_2addr_b32 v[0:1], v95 offset0:192 offset1:224
	v_lshrrev_b32_e32 v7, 16, v2
	v_and_b32_e32 v2, 0xffff, v2
	v_mul_u32_u24_e32 v7, 0x10001, v7
	s_delay_alu instid0(VALU_DEP_2) | instskip(SKIP_1) | instid1(VALU_DEP_1)
	v_mul_u32_u24_e32 v2, 0x10001, v2
	s_wait_dscnt 0x0
	v_pk_fma_f16 v2, v0, v2, v9
	s_delay_alu instid0(VALU_DEP_3) | instskip(SKIP_2) | instid1(VALU_DEP_2)
	v_pk_fma_f16 v0, v0, v7, v6
	v_lshrrev_b32_e32 v6, 16, v3
	v_and_b32_e32 v3, 0xffff, v3
	v_mul_u32_u24_e32 v6, 0x10001, v6
	s_delay_alu instid0(VALU_DEP_2) | instskip(NEXT) | instid1(VALU_DEP_2)
	v_mul_u32_u24_e32 v3, 0x10001, v3
	v_pk_fma_f16 v9, v1, v6, v0
	s_delay_alu instid0(VALU_DEP_2)
	v_pk_fma_f16 v8, v1, v3, v2
	ds_load_2addr_b32 v[6:7], v96 offset1:32
	ds_load_b128 v[0:3], v76 offset:384
	s_wait_dscnt 0x0
	v_lshrrev_b32_e32 v10, 16, v0
	v_and_b32_e32 v0, 0xffff, v0
	s_delay_alu instid0(VALU_DEP_2) | instskip(NEXT) | instid1(VALU_DEP_2)
	v_mul_u32_u24_e32 v10, 0x10001, v10
	v_mul_u32_u24_e32 v0, 0x10001, v0
	s_delay_alu instid0(VALU_DEP_1) | instskip(SKIP_3) | instid1(VALU_DEP_3)
	v_pk_fma_f16 v0, v6, v0, v8
	v_lshrrev_b32_e32 v8, 16, v1
	v_and_b32_e32 v1, 0xffff, v1
	v_pk_fma_f16 v6, v6, v10, v9
	v_mul_u32_u24_e32 v8, 0x10001, v8
	s_delay_alu instid0(VALU_DEP_3) | instskip(NEXT) | instid1(VALU_DEP_2)
	v_mul_u32_u24_e32 v1, 0x10001, v1
	v_pk_fma_f16 v6, v7, v8, v6
	s_delay_alu instid0(VALU_DEP_2) | instskip(SKIP_3) | instid1(VALU_DEP_2)
	v_pk_fma_f16 v9, v7, v1, v0
	ds_load_2addr_b32 v[0:1], v96 offset0:64 offset1:96
	v_lshrrev_b32_e32 v7, 16, v2
	v_and_b32_e32 v2, 0xffff, v2
	v_mul_u32_u24_e32 v7, 0x10001, v7
	s_delay_alu instid0(VALU_DEP_2) | instskip(SKIP_1) | instid1(VALU_DEP_1)
	v_mul_u32_u24_e32 v2, 0x10001, v2
	s_wait_dscnt 0x0
	v_pk_fma_f16 v2, v0, v2, v9
	s_delay_alu instid0(VALU_DEP_3) | instskip(SKIP_2) | instid1(VALU_DEP_2)
	v_pk_fma_f16 v0, v0, v7, v6
	v_lshrrev_b32_e32 v6, 16, v3
	v_and_b32_e32 v3, 0xffff, v3
	v_mul_u32_u24_e32 v6, 0x10001, v6
	s_delay_alu instid0(VALU_DEP_2) | instskip(NEXT) | instid1(VALU_DEP_2)
	v_mul_u32_u24_e32 v3, 0x10001, v3
	v_pk_fma_f16 v9, v1, v6, v0
	s_delay_alu instid0(VALU_DEP_2)
	v_pk_fma_f16 v8, v1, v3, v2
	ds_load_2addr_b32 v[6:7], v96 offset0:128 offset1:160
	ds_load_b128 v[0:3], v76 offset:400
	s_wait_dscnt 0x0
	v_lshrrev_b32_e32 v10, 16, v0
	v_and_b32_e32 v0, 0xffff, v0
	s_delay_alu instid0(VALU_DEP_2) | instskip(NEXT) | instid1(VALU_DEP_2)
	v_mul_u32_u24_e32 v10, 0x10001, v10
	v_mul_u32_u24_e32 v0, 0x10001, v0
	s_delay_alu instid0(VALU_DEP_1) | instskip(SKIP_3) | instid1(VALU_DEP_3)
	v_pk_fma_f16 v0, v6, v0, v8
	v_lshrrev_b32_e32 v8, 16, v1
	v_and_b32_e32 v1, 0xffff, v1
	v_pk_fma_f16 v6, v6, v10, v9
	v_mul_u32_u24_e32 v8, 0x10001, v8
	s_delay_alu instid0(VALU_DEP_3) | instskip(NEXT) | instid1(VALU_DEP_2)
	v_mul_u32_u24_e32 v1, 0x10001, v1
	v_pk_fma_f16 v6, v7, v8, v6
	s_delay_alu instid0(VALU_DEP_2) | instskip(SKIP_3) | instid1(VALU_DEP_2)
	v_pk_fma_f16 v9, v7, v1, v0
	ds_load_2addr_b32 v[0:1], v96 offset0:192 offset1:224
	v_lshrrev_b32_e32 v7, 16, v2
	v_and_b32_e32 v2, 0xffff, v2
	v_mul_u32_u24_e32 v7, 0x10001, v7
	s_delay_alu instid0(VALU_DEP_2) | instskip(SKIP_1) | instid1(VALU_DEP_1)
	v_mul_u32_u24_e32 v2, 0x10001, v2
	s_wait_dscnt 0x0
	v_pk_fma_f16 v2, v0, v2, v9
	s_delay_alu instid0(VALU_DEP_3) | instskip(SKIP_2) | instid1(VALU_DEP_2)
	v_pk_fma_f16 v0, v0, v7, v6
	v_lshrrev_b32_e32 v6, 16, v3
	v_and_b32_e32 v3, 0xffff, v3
	v_mul_u32_u24_e32 v6, 0x10001, v6
	s_delay_alu instid0(VALU_DEP_2) | instskip(NEXT) | instid1(VALU_DEP_2)
	v_mul_u32_u24_e32 v3, 0x10001, v3
	v_pk_fma_f16 v9, v1, v6, v0
	s_delay_alu instid0(VALU_DEP_2)
	v_pk_fma_f16 v8, v1, v3, v2
	ds_load_2addr_b32 v[6:7], v97 offset1:32
	ds_load_b128 v[0:3], v76 offset:416
	s_wait_dscnt 0x0
	v_lshrrev_b32_e32 v10, 16, v0
	v_and_b32_e32 v0, 0xffff, v0
	s_delay_alu instid0(VALU_DEP_2) | instskip(NEXT) | instid1(VALU_DEP_2)
	v_mul_u32_u24_e32 v10, 0x10001, v10
	v_mul_u32_u24_e32 v0, 0x10001, v0
	s_delay_alu instid0(VALU_DEP_1) | instskip(SKIP_3) | instid1(VALU_DEP_3)
	v_pk_fma_f16 v0, v6, v0, v8
	v_lshrrev_b32_e32 v8, 16, v1
	v_and_b32_e32 v1, 0xffff, v1
	v_pk_fma_f16 v6, v6, v10, v9
	v_mul_u32_u24_e32 v8, 0x10001, v8
	s_delay_alu instid0(VALU_DEP_3) | instskip(NEXT) | instid1(VALU_DEP_2)
	v_mul_u32_u24_e32 v1, 0x10001, v1
	v_pk_fma_f16 v6, v7, v8, v6
	s_delay_alu instid0(VALU_DEP_2) | instskip(SKIP_3) | instid1(VALU_DEP_2)
	v_pk_fma_f16 v9, v7, v1, v0
	ds_load_2addr_b32 v[0:1], v97 offset0:64 offset1:96
	v_lshrrev_b32_e32 v7, 16, v2
	v_and_b32_e32 v2, 0xffff, v2
	v_mul_u32_u24_e32 v7, 0x10001, v7
	s_delay_alu instid0(VALU_DEP_2) | instskip(SKIP_1) | instid1(VALU_DEP_1)
	v_mul_u32_u24_e32 v2, 0x10001, v2
	s_wait_dscnt 0x0
	v_pk_fma_f16 v2, v0, v2, v9
	s_delay_alu instid0(VALU_DEP_3) | instskip(SKIP_2) | instid1(VALU_DEP_2)
	v_pk_fma_f16 v0, v0, v7, v6
	v_lshrrev_b32_e32 v6, 16, v3
	v_and_b32_e32 v3, 0xffff, v3
	v_mul_u32_u24_e32 v6, 0x10001, v6
	s_delay_alu instid0(VALU_DEP_2) | instskip(NEXT) | instid1(VALU_DEP_2)
	v_mul_u32_u24_e32 v3, 0x10001, v3
	v_pk_fma_f16 v9, v1, v6, v0
	s_delay_alu instid0(VALU_DEP_2)
	v_pk_fma_f16 v8, v1, v3, v2
	ds_load_2addr_b32 v[6:7], v97 offset0:128 offset1:160
	ds_load_b128 v[0:3], v76 offset:432
	s_wait_dscnt 0x0
	v_lshrrev_b32_e32 v10, 16, v0
	v_and_b32_e32 v0, 0xffff, v0
	s_delay_alu instid0(VALU_DEP_2) | instskip(NEXT) | instid1(VALU_DEP_2)
	v_mul_u32_u24_e32 v10, 0x10001, v10
	v_mul_u32_u24_e32 v0, 0x10001, v0
	s_delay_alu instid0(VALU_DEP_1) | instskip(SKIP_3) | instid1(VALU_DEP_3)
	v_pk_fma_f16 v0, v6, v0, v8
	v_lshrrev_b32_e32 v8, 16, v1
	v_and_b32_e32 v1, 0xffff, v1
	v_pk_fma_f16 v6, v6, v10, v9
	v_mul_u32_u24_e32 v8, 0x10001, v8
	s_delay_alu instid0(VALU_DEP_3) | instskip(NEXT) | instid1(VALU_DEP_2)
	v_mul_u32_u24_e32 v1, 0x10001, v1
	v_pk_fma_f16 v6, v7, v8, v6
	s_delay_alu instid0(VALU_DEP_2) | instskip(SKIP_3) | instid1(VALU_DEP_2)
	v_pk_fma_f16 v9, v7, v1, v0
	ds_load_2addr_b32 v[0:1], v97 offset0:192 offset1:224
	v_lshrrev_b32_e32 v7, 16, v2
	v_and_b32_e32 v2, 0xffff, v2
	v_mul_u32_u24_e32 v7, 0x10001, v7
	s_delay_alu instid0(VALU_DEP_2) | instskip(SKIP_1) | instid1(VALU_DEP_1)
	v_mul_u32_u24_e32 v2, 0x10001, v2
	s_wait_dscnt 0x0
	v_pk_fma_f16 v2, v0, v2, v9
	s_delay_alu instid0(VALU_DEP_3) | instskip(SKIP_2) | instid1(VALU_DEP_2)
	v_pk_fma_f16 v0, v0, v7, v6
	v_lshrrev_b32_e32 v6, 16, v3
	v_and_b32_e32 v3, 0xffff, v3
	v_mul_u32_u24_e32 v6, 0x10001, v6
	s_delay_alu instid0(VALU_DEP_2) | instskip(NEXT) | instid1(VALU_DEP_2)
	v_mul_u32_u24_e32 v3, 0x10001, v3
	v_pk_fma_f16 v9, v1, v6, v0
	s_delay_alu instid0(VALU_DEP_2)
	v_pk_fma_f16 v8, v1, v3, v2
	ds_load_2addr_b32 v[6:7], v98 offset1:32
	ds_load_b128 v[0:3], v76 offset:448
	s_wait_dscnt 0x0
	v_lshrrev_b32_e32 v10, 16, v0
	v_and_b32_e32 v0, 0xffff, v0
	s_delay_alu instid0(VALU_DEP_2) | instskip(NEXT) | instid1(VALU_DEP_2)
	v_mul_u32_u24_e32 v10, 0x10001, v10
	v_mul_u32_u24_e32 v0, 0x10001, v0
	s_delay_alu instid0(VALU_DEP_1) | instskip(SKIP_3) | instid1(VALU_DEP_3)
	v_pk_fma_f16 v0, v6, v0, v8
	v_lshrrev_b32_e32 v8, 16, v1
	v_and_b32_e32 v1, 0xffff, v1
	v_pk_fma_f16 v6, v6, v10, v9
	v_mul_u32_u24_e32 v8, 0x10001, v8
	s_delay_alu instid0(VALU_DEP_3) | instskip(NEXT) | instid1(VALU_DEP_2)
	v_mul_u32_u24_e32 v1, 0x10001, v1
	v_pk_fma_f16 v6, v7, v8, v6
	s_delay_alu instid0(VALU_DEP_2) | instskip(SKIP_3) | instid1(VALU_DEP_2)
	v_pk_fma_f16 v9, v7, v1, v0
	ds_load_2addr_b32 v[0:1], v98 offset0:64 offset1:96
	v_lshrrev_b32_e32 v7, 16, v2
	v_and_b32_e32 v2, 0xffff, v2
	v_mul_u32_u24_e32 v7, 0x10001, v7
	s_delay_alu instid0(VALU_DEP_2) | instskip(SKIP_1) | instid1(VALU_DEP_1)
	v_mul_u32_u24_e32 v2, 0x10001, v2
	s_wait_dscnt 0x0
	v_pk_fma_f16 v2, v0, v2, v9
	s_delay_alu instid0(VALU_DEP_3) | instskip(SKIP_2) | instid1(VALU_DEP_2)
	v_pk_fma_f16 v0, v0, v7, v6
	v_lshrrev_b32_e32 v6, 16, v3
	v_and_b32_e32 v3, 0xffff, v3
	v_mul_u32_u24_e32 v6, 0x10001, v6
	s_delay_alu instid0(VALU_DEP_2) | instskip(NEXT) | instid1(VALU_DEP_2)
	v_mul_u32_u24_e32 v3, 0x10001, v3
	v_pk_fma_f16 v9, v1, v6, v0
	s_delay_alu instid0(VALU_DEP_2)
	v_pk_fma_f16 v8, v1, v3, v2
	ds_load_2addr_b32 v[6:7], v98 offset0:128 offset1:160
	ds_load_b128 v[0:3], v76 offset:464
	s_wait_dscnt 0x0
	v_lshrrev_b32_e32 v10, 16, v0
	v_and_b32_e32 v0, 0xffff, v0
	s_delay_alu instid0(VALU_DEP_2) | instskip(NEXT) | instid1(VALU_DEP_2)
	v_mul_u32_u24_e32 v10, 0x10001, v10
	v_mul_u32_u24_e32 v0, 0x10001, v0
	s_delay_alu instid0(VALU_DEP_1) | instskip(SKIP_3) | instid1(VALU_DEP_3)
	v_pk_fma_f16 v0, v6, v0, v8
	v_lshrrev_b32_e32 v8, 16, v1
	v_and_b32_e32 v1, 0xffff, v1
	v_pk_fma_f16 v6, v6, v10, v9
	v_mul_u32_u24_e32 v8, 0x10001, v8
	s_delay_alu instid0(VALU_DEP_3) | instskip(NEXT) | instid1(VALU_DEP_2)
	v_mul_u32_u24_e32 v1, 0x10001, v1
	v_pk_fma_f16 v6, v7, v8, v6
	s_delay_alu instid0(VALU_DEP_2) | instskip(SKIP_3) | instid1(VALU_DEP_2)
	v_pk_fma_f16 v9, v7, v1, v0
	ds_load_2addr_b32 v[0:1], v98 offset0:192 offset1:224
	v_lshrrev_b32_e32 v7, 16, v2
	v_and_b32_e32 v2, 0xffff, v2
	v_mul_u32_u24_e32 v7, 0x10001, v7
	s_delay_alu instid0(VALU_DEP_2) | instskip(SKIP_1) | instid1(VALU_DEP_1)
	v_mul_u32_u24_e32 v2, 0x10001, v2
	s_wait_dscnt 0x0
	v_pk_fma_f16 v2, v0, v2, v9
	s_delay_alu instid0(VALU_DEP_3) | instskip(SKIP_2) | instid1(VALU_DEP_2)
	v_pk_fma_f16 v0, v0, v7, v6
	v_lshrrev_b32_e32 v6, 16, v3
	v_and_b32_e32 v3, 0xffff, v3
	v_mul_u32_u24_e32 v6, 0x10001, v6
	s_delay_alu instid0(VALU_DEP_2) | instskip(NEXT) | instid1(VALU_DEP_1)
	v_mul_u32_u24_e32 v3, 0x10001, v3
	v_pk_fma_f16 v2, v1, v3, v2
	s_delay_alu instid0(VALU_DEP_3)
	v_pk_fma_f16 v3, v1, v6, v0
	ds_load_2addr_b32 v[0:1], v99 offset1:32
	ds_load_b128 v[6:9], v76 offset:480
	s_wait_dscnt 0x0
	v_lshrrev_b32_e32 v10, 16, v6
	v_and_b32_e32 v6, 0xffff, v6
	s_delay_alu instid0(VALU_DEP_2) | instskip(NEXT) | instid1(VALU_DEP_2)
	v_mul_u32_u24_e32 v10, 0x10001, v10
	v_mul_u32_u24_e32 v6, 0x10001, v6
	s_delay_alu instid0(VALU_DEP_1) | instskip(NEXT) | instid1(VALU_DEP_3)
	v_pk_fma_f16 v2, v0, v6, v2
	v_pk_fma_f16 v0, v0, v10, v3
	v_lshrrev_b32_e32 v3, 16, v7
	v_and_b32_e32 v6, 0xffff, v7
	v_and_b32_e32 v7, 0xffff, v8
	s_delay_alu instid0(VALU_DEP_3) | instskip(NEXT) | instid1(VALU_DEP_3)
	v_mul_u32_u24_e32 v3, 0x10001, v3
	v_mul_u32_u24_e32 v6, 0x10001, v6
	s_delay_alu instid0(VALU_DEP_3) | instskip(NEXT) | instid1(VALU_DEP_3)
	v_mul_u32_u24_e32 v7, 0x10001, v7
	v_pk_fma_f16 v3, v1, v3, v0
	s_delay_alu instid0(VALU_DEP_3) | instskip(SKIP_2) | instid1(VALU_DEP_1)
	v_pk_fma_f16 v2, v1, v6, v2
	ds_load_2addr_b32 v[0:1], v99 offset0:64 offset1:96
	v_lshrrev_b32_e32 v6, 16, v8
	v_mul_u32_u24_e32 v6, 0x10001, v6
	s_wait_dscnt 0x0
	v_pk_fma_f16 v2, v0, v7, v2
	s_delay_alu instid0(VALU_DEP_2) | instskip(SKIP_2) | instid1(VALU_DEP_2)
	v_pk_fma_f16 v0, v0, v6, v3
	v_lshrrev_b32_e32 v3, 16, v9
	v_and_b32_e32 v6, 0xffff, v9
	v_mul_u32_u24_e32 v3, 0x10001, v3
	s_delay_alu instid0(VALU_DEP_2) | instskip(NEXT) | instid1(VALU_DEP_2)
	v_mul_u32_u24_e32 v6, 0x10001, v6
	v_pk_fma_f16 v9, v1, v3, v0
	s_delay_alu instid0(VALU_DEP_2)
	v_pk_fma_f16 v8, v1, v6, v2
	ds_load_2addr_b32 v[6:7], v99 offset0:128 offset1:160
	ds_load_b128 v[0:3], v76 offset:496
	s_wait_dscnt 0x0
	v_lshrrev_b32_e32 v10, 16, v0
	v_and_b32_e32 v0, 0xffff, v0
	s_delay_alu instid0(VALU_DEP_2) | instskip(NEXT) | instid1(VALU_DEP_2)
	v_mul_u32_u24_e32 v10, 0x10001, v10
	v_mul_u32_u24_e32 v0, 0x10001, v0
	s_delay_alu instid0(VALU_DEP_1) | instskip(SKIP_3) | instid1(VALU_DEP_3)
	v_pk_fma_f16 v0, v6, v0, v8
	v_lshrrev_b32_e32 v8, 16, v1
	v_and_b32_e32 v1, 0xffff, v1
	v_pk_fma_f16 v6, v6, v10, v9
	v_mul_u32_u24_e32 v8, 0x10001, v8
	s_delay_alu instid0(VALU_DEP_3) | instskip(NEXT) | instid1(VALU_DEP_1)
	v_mul_u32_u24_e32 v1, 0x10001, v1
	v_pk_fma_f16 v0, v7, v1, v0
	s_delay_alu instid0(VALU_DEP_3)
	v_pk_fma_f16 v1, v7, v8, v6
	ds_load_2addr_b32 v[6:7], v99 offset0:192 offset1:224
	s_wait_dscnt 0x0
	s_barrier_signal -1
	s_barrier_wait -1
	s_load_b32 s3, s[20:21], 0x4
	v_lshrrev_b32_e32 v8, 16, v2
	v_and_b32_e32 v2, 0xffff, v2
	s_delay_alu instid0(VALU_DEP_2) | instskip(NEXT) | instid1(VALU_DEP_2)
	v_mul_u32_u24_e32 v8, 0x10001, v8
	v_mul_u32_u24_e32 v2, 0x10001, v2
	s_delay_alu instid0(VALU_DEP_1)
	v_pk_fma_f16 v0, v6, v2, v0
	v_lshrrev_b32_e32 v2, 16, v3
	v_and_b32_e32 v3, 0xffff, v3
	v_pk_fma_f16 v1, v6, v8, v1
	s_wait_kmcnt 0x0
	s_lshl_b32 s3, s3, 7
	v_mul_u32_u24_e32 v2, 0x10001, v2
	v_mul_u32_u24_e32 v3, 0x10001, v3
	s_add_co_i32 s4, s3, s4
	s_delay_alu instid0(SALU_CYCLE_1) | instskip(NEXT) | instid1(VALU_DEP_2)
	s_cmp_ge_i32 s4, s30
	v_pk_fma_f16 v100, v7, v2, v1
	s_delay_alu instid0(VALU_DEP_2)
	v_pk_fma_f16 v101, v7, v3, v0
	s_cbranch_scc0 .LBB43_9
; %bb.10:
	v_dual_mov_b32 v0, v63 :: v_dual_lshlrev_b32 v3, 1, v60
.LBB43_11:
	v_cmp_lt_i32_e32 vcc_lo, v71, v65
	s_cmp_lg_u64 s[12:13], 0
	s_cselect_b32 s3, -1, 0
	s_cmp_eq_u32 s31, 0
	v_cndmask_b32_e32 v1, v0, v71, vcc_lo
	v_cmp_lt_i32_e32 vcc_lo, v70, v65
	s_cselect_b32 s4, -1, 0
	s_delay_alu instid0(SALU_CYCLE_1) | instskip(NEXT) | instid1(VALU_DEP_2)
	s_and_b32 s3, s4, s3
	v_lshlrev_b32_e32 v1, 2, v1
	ds_bpermute_b32 v6, v1, v50
	ds_bpermute_b32 v7, v1, v51
	v_cndmask_b32_e32 v1, v0, v70, vcc_lo
	v_cmp_lt_i32_e32 vcc_lo, v69, v65
	s_delay_alu instid0(VALU_DEP_2)
	v_lshlrev_b32_e32 v1, 2, v1
	s_wait_dscnt 0x0
	v_pk_add_f32 v[6:7], v[50:51], v[6:7]
	ds_bpermute_b32 v8, v1, v6
	ds_bpermute_b32 v9, v1, v7
	v_cndmask_b32_e32 v1, v0, v69, vcc_lo
	v_cmp_lt_i32_e32 vcc_lo, v68, v65
	s_delay_alu instid0(VALU_DEP_2)
	v_lshlrev_b32_e32 v1, 2, v1
	s_wait_dscnt 0x0
	v_pk_add_f32 v[6:7], v[6:7], v[8:9]
	ds_bpermute_b32 v8, v1, v6
	ds_bpermute_b32 v9, v1, v7
	v_cndmask_b32_e32 v1, v0, v68, vcc_lo
	v_cmp_lt_i32_e32 vcc_lo, v67, v65
	s_delay_alu instid0(VALU_DEP_2) | instskip(SKIP_1) | instid1(VALU_DEP_1)
	v_dual_cndmask_b32 v0, v0, v67 :: v_dual_lshlrev_b32 v1, 2, v1
	s_and_b32 vcc_lo, exec_lo, s3
	v_lshlrev_b32_e32 v2, 2, v0
	s_wait_dscnt 0x0
	v_pk_add_f32 v[6:7], v[6:7], v[8:9]
	ds_bpermute_b32 v8, v1, v6
	ds_bpermute_b32 v9, v1, v7
	s_wait_dscnt 0x0
	v_pk_add_f32 v[0:1], v[6:7], v[8:9]
	ds_bpermute_b32 v6, v2, v0
	ds_bpermute_b32 v7, v2, v1
	s_wait_dscnt 0x0
	v_pk_add_f32 v[0:1], v[0:1], v[6:7]
	s_cbranch_vccz .LBB43_13
; %bb.12:
	s_ashr_i32 s29, s28, 31
	v_mov_b32_e32 v2, 0
	s_lshl_b64 s[4:5], s[28:29], 2
	v_max_num_f32_e32 v9, v5, v5
	s_add_nc_u64 s[4:5], s[12:13], s[4:5]
	global_load_b64 v[6:7], v2, s[4:5]
	s_wait_loadcnt 0x0
	v_dual_max_num_f32 v2, v4, v4 :: v_dual_max_num_f32 v8, v6, v6
	s_delay_alu instid0(VALU_DEP_1) | instskip(NEXT) | instid1(VALU_DEP_1)
	v_dual_max_num_f32 v10, v7, v7 :: v_dual_max_num_f32 v8, v2, v8
	v_dual_max_num_f32 v9, v9, v10 :: v_dual_sub_f32 v2, v4, v8
	s_delay_alu instid0(VALU_DEP_1) | instskip(NEXT) | instid1(VALU_DEP_2)
	v_dual_sub_f32 v6, v6, v8 :: v_dual_sub_f32 v5, v5, v9
	v_dual_sub_f32 v7, v7, v9 :: v_dual_mul_f32 v4, 0x3fb8aa3b, v2
	s_delay_alu instid0(VALU_DEP_2) | instskip(SKIP_1) | instid1(VALU_DEP_3)
	v_dual_mul_f32 v10, 0x3fb8aa3b, v6 :: v_dual_mul_f32 v11, 0x3fb8aa3b, v5
	v_cmp_ngt_f32_e32 vcc_lo, 0xc2ce8ed0, v2
	v_fma_f32 v13, 0x3fb8aa3b, v2, -v4
	v_rndne_f32_e32 v14, v4
	s_delay_alu instid0(VALU_DEP_4)
	v_rndne_f32_e32 v16, v10
	v_fma_f32 v17, 0x3fb8aa3b, v5, -v11
	v_rndne_f32_e32 v18, v11
	v_fmac_f32_e32 v13, 0x32a5705f, v2
	v_sub_f32_e32 v4, v4, v14
	v_mul_f32_e32 v12, 0x3fb8aa3b, v7
	v_fma_f32 v15, 0x3fb8aa3b, v6, -v10
	v_fmac_f32_e32 v17, 0x32a5705f, v5
	v_dual_sub_f32 v11, v11, v18 :: v_dual_sub_f32 v10, v10, v16
	s_delay_alu instid0(VALU_DEP_3) | instskip(SKIP_1) | instid1(VALU_DEP_3)
	v_dual_add_f32 v4, v4, v13 :: v_dual_fmac_f32 v15, 0x32a5705f, v6
	v_rndne_f32_e32 v20, v12
	v_add_f32_e32 v11, v11, v17
	v_cvt_i32_f32_e32 v14, v14
	s_delay_alu instid0(VALU_DEP_4)
	v_exp_f32_e32 v4, v4
	v_fma_f32 v19, 0x3fb8aa3b, v7, -v12
	v_sub_f32_e32 v12, v12, v20
	v_exp_f32_e32 v11, v11
	v_cvt_i32_f32_e32 v13, v16
	v_cvt_i32_f32_e32 v16, v18
	s_delay_alu instid0(TRANS32_DEP_2)
	v_ldexp_f32 v4, v4, v14
	v_fmac_f32_e32 v19, 0x32a5705f, v7
	s_delay_alu instid0(TRANS32_DEP_1) | instid1(VALU_DEP_3)
	v_ldexp_f32 v11, v11, v16
	s_delay_alu instid0(VALU_DEP_3) | instskip(SKIP_1) | instid1(VALU_DEP_3)
	v_cndmask_b32_e32 v4, 0, v4, vcc_lo
	v_cmp_ngt_f32_e32 vcc_lo, 0xc2ce8ed0, v5
	v_cndmask_b32_e32 v11, 0, v11, vcc_lo
	v_cmp_nlt_f32_e32 vcc_lo, 0x42b17218, v2
	s_delay_alu instid0(VALU_DEP_4) | instskip(SKIP_1) | instid1(VALU_DEP_4)
	v_cndmask_b32_e32 v4, 0x7f800000, v4, vcc_lo
	v_cmp_nlt_f32_e32 vcc_lo, 0x42b17218, v5
	v_cndmask_b32_e32 v5, 0x7f800000, v11, vcc_lo
	v_cmp_ngt_f32_e32 vcc_lo, 0xc2ce8ed0, v6
	v_add_f32_e32 v10, v10, v15
	v_cvt_i32_f32_e32 v15, v20
	v_cvt_f16_f32_e32 v11, v4
	s_delay_alu instid0(VALU_DEP_3) | instskip(NEXT) | instid1(VALU_DEP_1)
	v_exp_f32_e32 v10, v10
	v_and_b32_e32 v11, 0xffff, v11
	s_delay_alu instid0(TRANS32_DEP_1) | instskip(NEXT) | instid1(VALU_DEP_1)
	v_ldexp_f32 v2, v10, v13
	v_cndmask_b32_e32 v2, 0, v2, vcc_lo
	v_cmp_ngt_f32_e32 vcc_lo, 0xc2ce8ed0, v7
	v_add_f32_e32 v12, v12, v19
	s_delay_alu instid0(VALU_DEP_1) | instskip(SKIP_1) | instid1(TRANS32_DEP_1)
	v_exp_f32_e32 v12, v12
	v_nop
	v_ldexp_f32 v10, v12, v15
	v_cvt_f16_f32_e32 v12, v5
	s_delay_alu instid0(VALU_DEP_2) | instskip(SKIP_1) | instid1(VALU_DEP_3)
	v_cndmask_b32_e32 v10, 0, v10, vcc_lo
	v_cmp_nlt_f32_e32 vcc_lo, 0x42b17218, v6
	v_and_b32_e32 v12, 0xffff, v12
	v_cndmask_b32_e32 v6, 0x7f800000, v2, vcc_lo
	v_cmp_nlt_f32_e32 vcc_lo, 0x42b17218, v7
	v_mul_u32_u24_e32 v2, 0x10001, v11
	v_cndmask_b32_e32 v7, 0x7f800000, v10, vcc_lo
	v_mul_u32_u24_e32 v10, 0x10001, v12
	s_delay_alu instid0(VALU_DEP_3) | instskip(NEXT) | instid1(VALU_DEP_3)
	v_pk_mul_f16 v101, v101, v2
	v_pk_fma_f32 v[0:1], v[0:1], v[4:5], v[6:7]
	v_mov_b64_e32 v[4:5], v[8:9]
	s_delay_alu instid0(VALU_DEP_4)
	v_pk_mul_f16 v100, v100, v10
.LBB43_13:
	s_mov_b32 s3, exec_lo
	v_cmpx_gt_i32_e64 s22, v61
	s_cbranch_execz .LBB43_22
; %bb.14:
	s_load_b32 s0, s[0:1], 0xd4
	v_mov_b32_e32 v2, 1.0
	s_wait_kmcnt 0x0
	s_cmp_lg_u32 s0, 1
	s_cselect_b32 s3, -1, 0
	s_cmp_eq_u32 s0, 1
	s_cselect_b32 s1, -1, 0
	s_and_b32 vcc_lo, exec_lo, s3
	s_cbranch_vccnz .LBB43_16
; %bb.15:
	v_div_scale_f32 v2, null, v0, v0, 1.0
	s_delay_alu instid0(VALU_DEP_1) | instskip(SKIP_1) | instid1(TRANS32_DEP_1)
	v_rcp_f32_e32 v6, v2
	v_nop
	v_fma_f32 v7, -v2, v6, 1.0
	s_delay_alu instid0(VALU_DEP_1) | instskip(SKIP_1) | instid1(VALU_DEP_1)
	v_fmac_f32_e32 v6, v7, v6
	v_div_scale_f32 v7, vcc_lo, 1.0, v0, 1.0
	v_mul_f32_e32 v8, v7, v6
	s_delay_alu instid0(VALU_DEP_1) | instskip(NEXT) | instid1(VALU_DEP_1)
	v_fma_f32 v9, -v2, v8, v7
	v_fmac_f32_e32 v8, v9, v6
	s_delay_alu instid0(VALU_DEP_1) | instskip(NEXT) | instid1(VALU_DEP_1)
	v_fma_f32 v2, -v2, v8, v7
	v_div_fmas_f32 v2, v2, v6, v8
	s_delay_alu instid0(VALU_DEP_1)
	v_div_fixup_f32 v2, v2, v0, 1.0
.LBB43_16:
	v_mad_u32 v6, s2, s22, v61
	v_dual_lshrrev_b32 v7, 16, v101 :: v_dual_mov_b32 v9, 0
	v_cvt_f32_f16_e32 v10, v101
	v_cmp_eq_u32_e32 vcc_lo, 0, v60
	s_delay_alu instid0(VALU_DEP_3) | instskip(SKIP_1) | instid1(VALU_DEP_1)
	v_cvt_f32_f16_e32 v11, v7
	s_and_b32 s2, vcc_lo, s3
	v_pk_mul_f32 v[10:11], v[2:3], v[10:11] op_sel_hi:[0,1]
	v_mad_u32 v6, v6, s23, s28
	s_delay_alu instid0(VALU_DEP_1) | instskip(NEXT) | instid1(VALU_DEP_1)
	v_mad_u32 v6, s0, v6, s31
	v_lshl_add_u32 v8, v6, 6, v3
	s_delay_alu instid0(VALU_DEP_1)
	v_lshl_add_u64 v[8:9], v[8:9], 2, s[16:17]
	global_store_b64 v[8:9], v[10:11], off
	s_wait_xcnt 0x0
	s_and_saveexec_b32 s3, s2
	s_cbranch_execz .LBB43_18
; %bb.17:
	v_dual_mov_b32 v8, v4 :: v_dual_mov_b32 v9, v0
	global_store_b64 v6, v[8:9], s[18:19] scale_offset
.LBB43_18:
	s_wait_xcnt 0x0
	s_or_b32 exec_lo, exec_lo, s3
	v_mov_b32_e32 v0, 1.0
	s_and_not1_b32 vcc_lo, exec_lo, s1
	s_cbranch_vccnz .LBB43_20
; %bb.19:
	v_div_scale_f32 v0, null, v1, v1, 1.0
	s_delay_alu instid0(VALU_DEP_1) | instskip(SKIP_1) | instid1(TRANS32_DEP_1)
	v_rcp_f32_e32 v2, v0
	v_nop
	v_fma_f32 v4, -v0, v2, 1.0
	s_delay_alu instid0(VALU_DEP_1) | instskip(SKIP_1) | instid1(VALU_DEP_1)
	v_fmac_f32_e32 v2, v4, v2
	v_div_scale_f32 v4, vcc_lo, 1.0, v1, 1.0
	v_mul_f32_e32 v7, v4, v2
	s_delay_alu instid0(VALU_DEP_1) | instskip(NEXT) | instid1(VALU_DEP_1)
	v_fma_f32 v8, -v0, v7, v4
	v_fmac_f32_e32 v7, v8, v2
	s_delay_alu instid0(VALU_DEP_1) | instskip(NEXT) | instid1(VALU_DEP_1)
	v_fma_f32 v0, -v0, v7, v4
	v_div_fmas_f32 v0, v0, v2, v7
	s_delay_alu instid0(VALU_DEP_1)
	v_div_fixup_f32 v0, v0, v1, 1.0
.LBB43_20:
	v_dual_add_nc_u32 v2, s0, v6 :: v_dual_lshrrev_b32 v4, 16, v100
	v_mov_b32_e32 v7, 0
	v_cvt_f32_f16_e32 v8, v100
	s_delay_alu instid0(VALU_DEP_3) | instskip(NEXT) | instid1(VALU_DEP_4)
	v_lshl_add_u32 v6, v2, 6, v3
	v_cvt_f32_f16_e32 v9, v4
	s_delay_alu instid0(VALU_DEP_2) | instskip(NEXT) | instid1(VALU_DEP_2)
	v_lshl_add_u64 v[6:7], v[6:7], 2, s[16:17]
	v_pk_mul_f32 v[8:9], v[0:1], v[8:9] op_sel_hi:[0,1]
	global_store_b64 v[6:7], v[8:9], off
	s_wait_xcnt 0x0
	s_and_b32 exec_lo, exec_lo, s2
	s_cbranch_execz .LBB43_22
; %bb.21:
	v_mov_b32_e32 v0, v5
	global_store_b64 v2, v[0:1], s[18:19] scale_offset
.LBB43_22:
	s_sendmsg sendmsg(MSG_DEALLOC_VGPRS)
	s_endpgm
	.section	.rodata,"a",@progbits
	.p2align	6, 0x0
	.amdhsa_kernel _ZL15flash_attn_tileILi64ELi64ELi4ELi2ELb0EEvPKcS1_S1_S1_S1_PKiPfP15HIP_vector_typeIfLj2EEffffjfiS5_IjLj3EEiiiiiiiiiiiliiliiiiil
		.amdhsa_group_segment_fixed_size 21504
		.amdhsa_private_segment_fixed_size 0
		.amdhsa_kernarg_size 464
		.amdhsa_user_sgpr_count 2
		.amdhsa_user_sgpr_dispatch_ptr 0
		.amdhsa_user_sgpr_queue_ptr 0
		.amdhsa_user_sgpr_kernarg_segment_ptr 1
		.amdhsa_user_sgpr_dispatch_id 0
		.amdhsa_user_sgpr_kernarg_preload_length 0
		.amdhsa_user_sgpr_kernarg_preload_offset 0
		.amdhsa_user_sgpr_private_segment_size 0
		.amdhsa_wavefront_size32 1
		.amdhsa_uses_dynamic_stack 0
		.amdhsa_enable_private_segment 0
		.amdhsa_system_sgpr_workgroup_id_x 1
		.amdhsa_system_sgpr_workgroup_id_y 1
		.amdhsa_system_sgpr_workgroup_id_z 1
		.amdhsa_system_sgpr_workgroup_info 0
		.amdhsa_system_vgpr_workitem_id 1
		.amdhsa_next_free_vgpr 122
		.amdhsa_next_free_sgpr 43
		.amdhsa_named_barrier_count 0
		.amdhsa_reserve_vcc 1
		.amdhsa_float_round_mode_32 0
		.amdhsa_float_round_mode_16_64 0
		.amdhsa_float_denorm_mode_32 3
		.amdhsa_float_denorm_mode_16_64 3
		.amdhsa_fp16_overflow 0
		.amdhsa_memory_ordered 1
		.amdhsa_forward_progress 1
		.amdhsa_inst_pref_size 109
		.amdhsa_round_robin_scheduling 0
		.amdhsa_exception_fp_ieee_invalid_op 0
		.amdhsa_exception_fp_denorm_src 0
		.amdhsa_exception_fp_ieee_div_zero 0
		.amdhsa_exception_fp_ieee_overflow 0
		.amdhsa_exception_fp_ieee_underflow 0
		.amdhsa_exception_fp_ieee_inexact 0
		.amdhsa_exception_int_div_zero 0
	.end_amdhsa_kernel
	.section	.text._ZL15flash_attn_tileILi64ELi64ELi4ELi2ELb0EEvPKcS1_S1_S1_S1_PKiPfP15HIP_vector_typeIfLj2EEffffjfiS5_IjLj3EEiiiiiiiiiiiliiliiiiil,"axG",@progbits,_ZL15flash_attn_tileILi64ELi64ELi4ELi2ELb0EEvPKcS1_S1_S1_S1_PKiPfP15HIP_vector_typeIfLj2EEffffjfiS5_IjLj3EEiiiiiiiiiiiliiliiiiil,comdat
.Lfunc_end43:
	.size	_ZL15flash_attn_tileILi64ELi64ELi4ELi2ELb0EEvPKcS1_S1_S1_S1_PKiPfP15HIP_vector_typeIfLj2EEffffjfiS5_IjLj3EEiiiiiiiiiiiliiliiiiil, .Lfunc_end43-_ZL15flash_attn_tileILi64ELi64ELi4ELi2ELb0EEvPKcS1_S1_S1_S1_PKiPfP15HIP_vector_typeIfLj2EEffffjfiS5_IjLj3EEiiiiiiiiiiiliiliiiiil
                                        ; -- End function
	.set _ZL15flash_attn_tileILi64ELi64ELi4ELi2ELb0EEvPKcS1_S1_S1_S1_PKiPfP15HIP_vector_typeIfLj2EEffffjfiS5_IjLj3EEiiiiiiiiiiiliiliiiiil.num_vgpr, 122
	.set _ZL15flash_attn_tileILi64ELi64ELi4ELi2ELb0EEvPKcS1_S1_S1_S1_PKiPfP15HIP_vector_typeIfLj2EEffffjfiS5_IjLj3EEiiiiiiiiiiiliiliiiiil.num_agpr, 0
	.set _ZL15flash_attn_tileILi64ELi64ELi4ELi2ELb0EEvPKcS1_S1_S1_S1_PKiPfP15HIP_vector_typeIfLj2EEffffjfiS5_IjLj3EEiiiiiiiiiiiliiliiiiil.numbered_sgpr, 43
	.set _ZL15flash_attn_tileILi64ELi64ELi4ELi2ELb0EEvPKcS1_S1_S1_S1_PKiPfP15HIP_vector_typeIfLj2EEffffjfiS5_IjLj3EEiiiiiiiiiiiliiliiiiil.num_named_barrier, 0
	.set _ZL15flash_attn_tileILi64ELi64ELi4ELi2ELb0EEvPKcS1_S1_S1_S1_PKiPfP15HIP_vector_typeIfLj2EEffffjfiS5_IjLj3EEiiiiiiiiiiiliiliiiiil.private_seg_size, 0
	.set _ZL15flash_attn_tileILi64ELi64ELi4ELi2ELb0EEvPKcS1_S1_S1_S1_PKiPfP15HIP_vector_typeIfLj2EEffffjfiS5_IjLj3EEiiiiiiiiiiiliiliiiiil.uses_vcc, 1
	.set _ZL15flash_attn_tileILi64ELi64ELi4ELi2ELb0EEvPKcS1_S1_S1_S1_PKiPfP15HIP_vector_typeIfLj2EEffffjfiS5_IjLj3EEiiiiiiiiiiiliiliiiiil.uses_flat_scratch, 0
	.set _ZL15flash_attn_tileILi64ELi64ELi4ELi2ELb0EEvPKcS1_S1_S1_S1_PKiPfP15HIP_vector_typeIfLj2EEffffjfiS5_IjLj3EEiiiiiiiiiiiliiliiiiil.has_dyn_sized_stack, 0
	.set _ZL15flash_attn_tileILi64ELi64ELi4ELi2ELb0EEvPKcS1_S1_S1_S1_PKiPfP15HIP_vector_typeIfLj2EEffffjfiS5_IjLj3EEiiiiiiiiiiiliiliiiiil.has_recursion, 0
	.set _ZL15flash_attn_tileILi64ELi64ELi4ELi2ELb0EEvPKcS1_S1_S1_S1_PKiPfP15HIP_vector_typeIfLj2EEffffjfiS5_IjLj3EEiiiiiiiiiiiliiliiiiil.has_indirect_call, 0
	.section	.AMDGPU.csdata,"",@progbits
; Kernel info:
; codeLenInByte = 13888
; TotalNumSgprs: 45
; NumVgprs: 122
; ScratchSize: 0
; MemoryBound: 0
; FloatMode: 240
; IeeeMode: 1
; LDSByteSize: 21504 bytes/workgroup (compile time only)
; SGPRBlocks: 0
; VGPRBlocks: 7
; NumSGPRsForWavesPerEU: 45
; NumVGPRsForWavesPerEU: 122
; NamedBarCnt: 0
; Occupancy: 8
; WaveLimiterHint : 1
; COMPUTE_PGM_RSRC2:SCRATCH_EN: 0
; COMPUTE_PGM_RSRC2:USER_SGPR: 2
; COMPUTE_PGM_RSRC2:TRAP_HANDLER: 0
; COMPUTE_PGM_RSRC2:TGID_X_EN: 1
; COMPUTE_PGM_RSRC2:TGID_Y_EN: 1
; COMPUTE_PGM_RSRC2:TGID_Z_EN: 1
; COMPUTE_PGM_RSRC2:TIDIG_COMP_CNT: 1
	.section	.text._ZL33flash_attn_stream_k_fixup_uniformILi64ELi4ELi2EEvPfPK15HIP_vector_typeIfLj2EEiiiiiiS1_IjLj3EES5_S5_,"axG",@progbits,_ZL33flash_attn_stream_k_fixup_uniformILi64ELi4ELi2EEvPfPK15HIP_vector_typeIfLj2EEiiiiiiS1_IjLj3EES5_S5_,comdat
	.globl	_ZL33flash_attn_stream_k_fixup_uniformILi64ELi4ELi2EEvPfPK15HIP_vector_typeIfLj2EEiiiiiiS1_IjLj3EES5_S5_ ; -- Begin function _ZL33flash_attn_stream_k_fixup_uniformILi64ELi4ELi2EEvPfPK15HIP_vector_typeIfLj2EEiiiiiiS1_IjLj3EES5_S5_
	.p2align	8
	.type	_ZL33flash_attn_stream_k_fixup_uniformILi64ELi4ELi2EEvPfPK15HIP_vector_typeIfLj2EEiiiiiiS1_IjLj3EES5_S5_,@function
_ZL33flash_attn_stream_k_fixup_uniformILi64ELi4ELi2EEvPfPK15HIP_vector_typeIfLj2EEiiiiiiS1_IjLj3EES5_S5_: ; @_ZL33flash_attn_stream_k_fixup_uniformILi64ELi4ELi2EEvPfPK15HIP_vector_typeIfLj2EEiiiiiiS1_IjLj3EES5_S5_
; %bb.0:
	s_load_b256 s[4:11], s[0:1], 0x1c
	s_bfe_u32 s2, ttmp6, 0x40014
	s_lshr_b32 s3, ttmp7, 16
	s_add_co_i32 s2, s2, 1
	s_bfe_u32 s13, ttmp6, 0x40010
	s_mul_i32 s2, s3, s2
	s_bfe_u32 s12, ttmp6, 0x40008
	s_and_b32 s15, ttmp7, 0xffff
	s_add_co_i32 s13, s13, 1
	s_bfe_u32 s14, ttmp6, 0x4000c
	s_add_co_i32 s12, s12, s2
	s_mul_i32 s2, s15, s13
	s_bfe_u32 s13, ttmp6, 0x40004
	s_add_co_i32 s14, s14, 1
	s_add_co_i32 s13, s13, s2
	s_and_b32 s2, ttmp6, 15
	s_mul_i32 s14, ttmp9, s14
	s_getreg_b32 s20, hwreg(HW_REG_IB_STS2, 6, 4)
	s_add_co_i32 s2, s2, s14
	s_load_b128 s[16:19], s[0:1], 0x3c
	s_cmp_eq_u32 s20, 0
	s_cselect_b32 s14, ttmp9, s2
	s_cselect_b32 s13, s15, s13
	s_wait_kmcnt 0x0
	s_mul_hi_u32 s2, s7, s14
	s_cselect_b32 s12, s3, s12
	s_add_co_i32 s2, s14, s2
	s_delay_alu instid0(SALU_CYCLE_1) | instskip(NEXT) | instid1(SALU_CYCLE_1)
	s_lshr_b32 s7, s2, s8
	s_mul_i32 s2, s7, s9
	s_delay_alu instid0(SALU_CYCLE_1) | instskip(NEXT) | instid1(SALU_CYCLE_1)
	s_sub_co_i32 s8, s14, s2
	s_mul_hi_u32 s2, s8, s10
	s_delay_alu instid0(SALU_CYCLE_1) | instskip(SKIP_2) | instid1(SALU_CYCLE_1)
	s_add_co_i32 s9, s8, s2
	s_load_b64 s[2:3], s[0:1], 0x10
	s_lshr_b32 s15, s9, s11
	s_mul_i32 s9, s15, s16
	s_delay_alu instid0(SALU_CYCLE_1) | instskip(NEXT) | instid1(SALU_CYCLE_1)
	s_sub_co_i32 s8, s8, s9
	s_mul_hi_u32 s9, s8, s17
	s_delay_alu instid0(SALU_CYCLE_1) | instskip(NEXT) | instid1(SALU_CYCLE_1)
	s_add_co_i32 s9, s8, s9
	s_lshr_b32 s9, s9, s18
	s_delay_alu instid0(SALU_CYCLE_1) | instskip(SKIP_2) | instid1(SALU_CYCLE_1)
	s_mul_i32 s10, s9, s19
	s_lshl_b32 s17, s9, 1
	s_sub_co_i32 s16, s8, s10
	s_lshl_b32 s8, s16, 2
	s_delay_alu instid0(SALU_CYCLE_1) | instskip(SKIP_4) | instid1(SALU_CYCLE_1)
	s_add_co_i32 s8, s8, s13
	s_wait_kmcnt 0x0
	s_cmp_lt_i32 s8, s2
	s_cselect_b32 s8, -1, 0
	s_add_co_i32 s9, s17, s12
	s_cmp_lt_i32 s9, s5
	s_cselect_b32 s9, -1, 0
	s_delay_alu instid0(SALU_CYCLE_1) | instskip(NEXT) | instid1(SALU_CYCLE_1)
	s_and_b32 s8, s8, s9
	s_and_not1_b32 vcc_lo, exec_lo, s8
	s_cbranch_vccnz .LBB44_6
; %bb.1:
	s_mul_i32 s2, s7, s2
	s_load_b128 s[8:11], s[0:1], 0x0
	s_wait_xcnt 0x0
	s_add_co_i32 s0, s2, s13
	s_mul_i32 s15, s15, s5
	s_mul_i32 s0, s0, s3
	;; [unrolled: 1-line block ×3, first 2 shown]
	s_add_co_i32 s0, s0, s12
	s_lshl_b32 s1, s1, 8
	s_add_co_i32 s0, s0, s15
	s_mul_i32 s7, s6, s14
	s_add_co_i32 s0, s0, s17
	s_lshl_b32 s5, s13, 1
	s_lshl_b32 s0, s0, 6
	s_add_co_i32 s15, s7, s6
	s_add_co_i32 s1, s1, s0
	;; [unrolled: 1-line block ×3, first 2 shown]
	v_or_b32_e32 v4, s1, v0
	s_lshl_b32 s1, s15, 3
	s_add_co_i32 s2, s15, -2
	s_add_co_i32 s0, s0, s1
	s_delay_alu instid0(SALU_CYCLE_1)
	s_add_co_i32 s0, s0, -8
	s_wait_kmcnt 0x0
	global_load_b32 v3, v4, s[8:9] scale_offset
	s_ashr_i32 s1, s0, 31
	v_ashrrev_i32_e32 v5, 31, v4
	s_lshl_b64 s[0:1], s[0:1], 3
	s_cmp_lt_i32 s2, s7
	s_add_nc_u64 s[0:1], s[10:11], s[0:1]
	s_load_b32 s16, s[0:1], 0x4
	s_cbranch_scc1 .LBB44_4
; %bb.2:
	s_wait_xcnt 0x0
	s_load_b32 s0, s[0:1], 0x0
	s_add_co_i32 s14, s14, 1
	s_lshl_b32 s3, s13, 7
	s_wait_xcnt 0x0
	s_mul_i32 s1, s6, s14
	s_lshl_b32 s6, s12, 6
	s_lshl_b32 s13, s1, 9
	s_add_co_i32 s6, s6, s3
	s_lshl_b32 s1, s1, 3
	s_add_co_i32 s6, s6, s13
	s_lshl_b32 s2, s4, 5
	s_wait_kmcnt 0x0
	v_dual_mov_b32 v2, s16 :: v_dual_bitop2_b32 v0, s6, v0 bitop3:0x54
	s_add_co_i32 s1, s12, s1
	s_lshl_b32 s4, s4, 3
	s_ashr_i32 s3, s2, 31
	s_add_co_i32 s1, s1, s4
	v_add_nc_u32_e32 v0, 0xfffffc00, v0
	s_lshl_b64 s[2:3], s[2:3], 2
	s_add_co_i32 s4, s1, s5
	s_add_nc_u64 s[2:3], s[10:11], s[2:3]
	s_add_co_i32 s1, s15, -1
	s_add_co_i32 s4, s4, -16
.LBB44_3:                               ; =>This Inner Loop Header: Depth=1
	global_load_b32 v7, v0, s[2:3] scale_offset
	s_ashr_i32 s5, s4, 31
	v_max_num_f32_e64 v1, s0, s0
	s_lshl_b64 s[12:13], s[4:5], 3
	s_delay_alu instid0(SALU_CYCLE_1) | instskip(SKIP_1) | instid1(VALU_DEP_1)
	s_add_nc_u64 s[12:13], s[10:11], s[12:13]
	s_load_b64 s[12:13], s[12:13], 0x0
	v_readfirstlane_b32 s5, v1
	v_add_nc_u32_e32 v0, 0xfffffe00, v0
	s_wait_kmcnt 0x0
	v_max_num_f32_e64 v1, s12, s12
	s_delay_alu instid0(VALU_DEP_1) | instskip(SKIP_1) | instid1(SALU_CYCLE_3)
	v_readfirstlane_b32 s6, v1
	s_max_num_f32 s5, s5, s6
	s_sub_f32 s0, s0, s5
	s_sub_f32 s6, s12, s5
	s_delay_alu instid0(SALU_CYCLE_2) | instskip(NEXT) | instid1(SALU_CYCLE_2)
	s_mul_f32 s12, s0, 0x3fb8aa3b
	s_mul_f32 s14, s6, 0x3fb8aa3b
	s_delay_alu instid0(SALU_CYCLE_2)
	s_xor_b32 s15, s12, 0x80000000
	s_rndne_f32 s16, s12
	s_fmamk_f32 s15, s0, 0x3fb8aa3b, s15
	s_cmp_nlt_f32 s0, 0xc2ce8ed0
	s_rndne_f32 s17, s14
	s_sub_f32 s12, s12, s16
	s_fmamk_f32 s15, s0, 0x32a5705f, s15
	s_cselect_b32 vcc_lo, -1, 0
	s_cmp_ngt_f32 s0, 0x42b17218
	s_delay_alu instid0(SALU_CYCLE_1) | instskip(SKIP_2) | instid1(SALU_CYCLE_1)
	s_add_f32 s12, s12, s15
	s_cvt_i32_f32 s15, s16
	s_sub_f32 s16, s14, s17
	v_s_exp_f32 s12, s12
	v_nop
	s_delay_alu instid0(TRANS32_DEP_1) | instskip(SKIP_1) | instid1(VALU_DEP_1)
	v_ldexp_f32 v1, s12, s15
	s_cvt_i32_f32 s12, s17
	v_cndmask_b32_e32 v1, 0, v1, vcc_lo
	s_cselect_b32 vcc_lo, -1, 0
	s_cmp_ge_f32 s0, 0xc1a00000
	s_delay_alu instid0(VALU_DEP_1)
	v_cndmask_b32_e32 v1, 0x7f800000, v1, vcc_lo
	s_cselect_b32 vcc_lo, -1, 0
	s_xor_b32 s0, s14, 0x80000000
	s_cmp_nlt_f32 s6, 0xc2ce8ed0
	s_fmamk_f32 s0, s6, 0x3fb8aa3b, s0
	v_cndmask_b32_e32 v10, 0, v1, vcc_lo
	s_delay_alu instid0(SALU_CYCLE_2) | instskip(NEXT) | instid1(SALU_CYCLE_3)
	s_fmamk_f32 s0, s6, 0x32a5705f, s0
	s_add_f32 s0, s16, s0
	s_delay_alu instid0(SALU_CYCLE_3) | instskip(SKIP_1) | instid1(TRANS32_DEP_1)
	v_s_exp_f32 s0, s0
	v_nop
	v_ldexp_f32 v6, s0, s12
	s_cselect_b32 s0, -1, 0
	s_cmp_ngt_f32 s6, 0x42b17218
	s_delay_alu instid0(VALU_DEP_1) | instskip(SKIP_2) | instid1(VALU_DEP_1)
	v_cndmask_b32_e64 v6, 0, v6, s0
	s_cselect_b32 s0, -1, 0
	s_cmp_ge_f32 s6, 0xc1a00000
	v_cndmask_b32_e64 v8, 0x7f800000, v6, s0
	s_cselect_b32 s0, -1, 0
	v_mov_b32_e32 v6, s13
	s_add_co_i32 s1, s1, -1
	s_add_co_i32 s4, s4, -8
	v_cndmask_b32_e64 v8, 0, v8, s0
	s_cmp_le_i32 s1, s7
	s_mov_b32 s0, s5
	s_wait_loadcnt 0x0
	s_delay_alu instid0(VALU_DEP_1) | instskip(NEXT) | instid1(VALU_DEP_1)
	v_pk_mul_f32 v[6:7], v[6:7], v[8:9] op_sel_hi:[1,0]
	v_pk_fma_f32 v[2:3], v[2:3], v[10:11], v[6:7] op_sel_hi:[1,0,1]
	s_cbranch_scc0 .LBB44_3
	s_branch .LBB44_5
.LBB44_4:
	s_wait_kmcnt 0x0
	v_mov_b32_e32 v2, s16
.LBB44_5:
	v_lshl_add_u64 v[0:1], v[4:5], 2, s[8:9]
	s_wait_loadcnt 0x0
	s_delay_alu instid0(VALU_DEP_2) | instskip(NEXT) | instid1(VALU_DEP_1)
	v_div_scale_f32 v4, null, v2, v2, v3
	v_rcp_f32_e32 v5, v4
	v_nop
	s_delay_alu instid0(TRANS32_DEP_1) | instskip(NEXT) | instid1(VALU_DEP_1)
	v_fma_f32 v6, -v4, v5, 1.0
	v_fmac_f32_e32 v5, v6, v5
	v_div_scale_f32 v6, vcc_lo, v3, v2, v3
	s_delay_alu instid0(VALU_DEP_1) | instskip(NEXT) | instid1(VALU_DEP_1)
	v_mul_f32_e32 v7, v6, v5
	v_fma_f32 v8, -v4, v7, v6
	s_delay_alu instid0(VALU_DEP_1) | instskip(NEXT) | instid1(VALU_DEP_1)
	v_fmac_f32_e32 v7, v8, v5
	v_fma_f32 v4, -v4, v7, v6
	s_delay_alu instid0(VALU_DEP_1) | instskip(NEXT) | instid1(VALU_DEP_1)
	v_div_fmas_f32 v4, v4, v5, v7
	v_div_fixup_f32 v2, v4, v2, v3
	global_store_b32 v[0:1], v2, off
.LBB44_6:
	s_endpgm
	.section	.rodata,"a",@progbits
	.p2align	6, 0x0
	.amdhsa_kernel _ZL33flash_attn_stream_k_fixup_uniformILi64ELi4ELi2EEvPfPK15HIP_vector_typeIfLj2EEiiiiiiS1_IjLj3EES5_S5_
		.amdhsa_group_segment_fixed_size 0
		.amdhsa_private_segment_fixed_size 0
		.amdhsa_kernarg_size 76
		.amdhsa_user_sgpr_count 2
		.amdhsa_user_sgpr_dispatch_ptr 0
		.amdhsa_user_sgpr_queue_ptr 0
		.amdhsa_user_sgpr_kernarg_segment_ptr 1
		.amdhsa_user_sgpr_dispatch_id 0
		.amdhsa_user_sgpr_kernarg_preload_length 0
		.amdhsa_user_sgpr_kernarg_preload_offset 0
		.amdhsa_user_sgpr_private_segment_size 0
		.amdhsa_wavefront_size32 1
		.amdhsa_uses_dynamic_stack 0
		.amdhsa_enable_private_segment 0
		.amdhsa_system_sgpr_workgroup_id_x 1
		.amdhsa_system_sgpr_workgroup_id_y 1
		.amdhsa_system_sgpr_workgroup_id_z 1
		.amdhsa_system_sgpr_workgroup_info 0
		.amdhsa_system_vgpr_workitem_id 0
		.amdhsa_next_free_vgpr 12
		.amdhsa_next_free_sgpr 21
		.amdhsa_named_barrier_count 0
		.amdhsa_reserve_vcc 1
		.amdhsa_float_round_mode_32 0
		.amdhsa_float_round_mode_16_64 0
		.amdhsa_float_denorm_mode_32 3
		.amdhsa_float_denorm_mode_16_64 3
		.amdhsa_fp16_overflow 0
		.amdhsa_memory_ordered 1
		.amdhsa_forward_progress 1
		.amdhsa_inst_pref_size 9
		.amdhsa_round_robin_scheduling 0
		.amdhsa_exception_fp_ieee_invalid_op 0
		.amdhsa_exception_fp_denorm_src 0
		.amdhsa_exception_fp_ieee_div_zero 0
		.amdhsa_exception_fp_ieee_overflow 0
		.amdhsa_exception_fp_ieee_underflow 0
		.amdhsa_exception_fp_ieee_inexact 0
		.amdhsa_exception_int_div_zero 0
	.end_amdhsa_kernel
	.section	.text._ZL33flash_attn_stream_k_fixup_uniformILi64ELi4ELi2EEvPfPK15HIP_vector_typeIfLj2EEiiiiiiS1_IjLj3EES5_S5_,"axG",@progbits,_ZL33flash_attn_stream_k_fixup_uniformILi64ELi4ELi2EEvPfPK15HIP_vector_typeIfLj2EEiiiiiiS1_IjLj3EES5_S5_,comdat
.Lfunc_end44:
	.size	_ZL33flash_attn_stream_k_fixup_uniformILi64ELi4ELi2EEvPfPK15HIP_vector_typeIfLj2EEiiiiiiS1_IjLj3EES5_S5_, .Lfunc_end44-_ZL33flash_attn_stream_k_fixup_uniformILi64ELi4ELi2EEvPfPK15HIP_vector_typeIfLj2EEiiiiiiS1_IjLj3EES5_S5_
                                        ; -- End function
	.set _ZL33flash_attn_stream_k_fixup_uniformILi64ELi4ELi2EEvPfPK15HIP_vector_typeIfLj2EEiiiiiiS1_IjLj3EES5_S5_.num_vgpr, 12
	.set _ZL33flash_attn_stream_k_fixup_uniformILi64ELi4ELi2EEvPfPK15HIP_vector_typeIfLj2EEiiiiiiS1_IjLj3EES5_S5_.num_agpr, 0
	.set _ZL33flash_attn_stream_k_fixup_uniformILi64ELi4ELi2EEvPfPK15HIP_vector_typeIfLj2EEiiiiiiS1_IjLj3EES5_S5_.numbered_sgpr, 21
	.set _ZL33flash_attn_stream_k_fixup_uniformILi64ELi4ELi2EEvPfPK15HIP_vector_typeIfLj2EEiiiiiiS1_IjLj3EES5_S5_.num_named_barrier, 0
	.set _ZL33flash_attn_stream_k_fixup_uniformILi64ELi4ELi2EEvPfPK15HIP_vector_typeIfLj2EEiiiiiiS1_IjLj3EES5_S5_.private_seg_size, 0
	.set _ZL33flash_attn_stream_k_fixup_uniformILi64ELi4ELi2EEvPfPK15HIP_vector_typeIfLj2EEiiiiiiS1_IjLj3EES5_S5_.uses_vcc, 1
	.set _ZL33flash_attn_stream_k_fixup_uniformILi64ELi4ELi2EEvPfPK15HIP_vector_typeIfLj2EEiiiiiiS1_IjLj3EES5_S5_.uses_flat_scratch, 0
	.set _ZL33flash_attn_stream_k_fixup_uniformILi64ELi4ELi2EEvPfPK15HIP_vector_typeIfLj2EEiiiiiiS1_IjLj3EES5_S5_.has_dyn_sized_stack, 0
	.set _ZL33flash_attn_stream_k_fixup_uniformILi64ELi4ELi2EEvPfPK15HIP_vector_typeIfLj2EEiiiiiiS1_IjLj3EES5_S5_.has_recursion, 0
	.set _ZL33flash_attn_stream_k_fixup_uniformILi64ELi4ELi2EEvPfPK15HIP_vector_typeIfLj2EEiiiiiiS1_IjLj3EES5_S5_.has_indirect_call, 0
	.section	.AMDGPU.csdata,"",@progbits
; Kernel info:
; codeLenInByte = 1092
; TotalNumSgprs: 23
; NumVgprs: 12
; ScratchSize: 0
; MemoryBound: 0
; FloatMode: 240
; IeeeMode: 1
; LDSByteSize: 0 bytes/workgroup (compile time only)
; SGPRBlocks: 0
; VGPRBlocks: 0
; NumSGPRsForWavesPerEU: 23
; NumVGPRsForWavesPerEU: 12
; NamedBarCnt: 0
; Occupancy: 16
; WaveLimiterHint : 0
; COMPUTE_PGM_RSRC2:SCRATCH_EN: 0
; COMPUTE_PGM_RSRC2:USER_SGPR: 2
; COMPUTE_PGM_RSRC2:TRAP_HANDLER: 0
; COMPUTE_PGM_RSRC2:TGID_X_EN: 1
; COMPUTE_PGM_RSRC2:TGID_Y_EN: 1
; COMPUTE_PGM_RSRC2:TGID_Z_EN: 1
; COMPUTE_PGM_RSRC2:TIDIG_COMP_CNT: 0
	.section	.text._ZL33flash_attn_stream_k_fixup_generalILi64ELi4ELi2EEvPfPK15HIP_vector_typeIfLj2EEiiiiS1_IjLj3EES5_S5_S5_,"axG",@progbits,_ZL33flash_attn_stream_k_fixup_generalILi64ELi4ELi2EEvPfPK15HIP_vector_typeIfLj2EEiiiiS1_IjLj3EES5_S5_S5_,comdat
	.globl	_ZL33flash_attn_stream_k_fixup_generalILi64ELi4ELi2EEvPfPK15HIP_vector_typeIfLj2EEiiiiS1_IjLj3EES5_S5_S5_ ; -- Begin function _ZL33flash_attn_stream_k_fixup_generalILi64ELi4ELi2EEvPfPK15HIP_vector_typeIfLj2EEiiiiS1_IjLj3EES5_S5_S5_
	.p2align	8
	.type	_ZL33flash_attn_stream_k_fixup_generalILi64ELi4ELi2EEvPfPK15HIP_vector_typeIfLj2EEiiiiS1_IjLj3EES5_S5_S5_,@function
_ZL33flash_attn_stream_k_fixup_generalILi64ELi4ELi2EEvPfPK15HIP_vector_typeIfLj2EEiiiiS1_IjLj3EES5_S5_S5_: ; @_ZL33flash_attn_stream_k_fixup_generalILi64ELi4ELi2EEvPfPK15HIP_vector_typeIfLj2EEiiiiS1_IjLj3EES5_S5_S5_
; %bb.0:
	s_clause 0x1
	s_load_b128 s[4:7], s[0:1], 0x10
	s_load_b32 s16, s[0:1], 0x50
	s_bfe_u32 s2, ttmp6, 0x4000c
	s_and_b32 s3, ttmp6, 15
	s_add_co_i32 s2, s2, 1
	s_getreg_b32 s15, hwreg(HW_REG_IB_STS2, 6, 4)
	s_mul_i32 s2, ttmp9, s2
	s_mov_b32 s17, 0
	s_add_co_i32 s3, s3, s2
	s_cmp_eq_u32 s15, 0
	s_cselect_b32 s2, ttmp9, s3
	s_delay_alu instid0(SALU_CYCLE_1) | instskip(SKIP_3) | instid1(SALU_CYCLE_1)
	s_ashr_i32 s3, s2, 31
	s_wait_kmcnt 0x0
	s_ashr_i32 s19, s7, 31
	s_mov_b32 s18, s7
	s_mul_u64 s[8:9], s[18:19], s[2:3]
	s_delay_alu instid0(SALU_CYCLE_1) | instskip(NEXT) | instid1(SALU_CYCLE_1)
	s_and_b64 s[10:11], s[8:9], 0xffffffff00000000
	s_cmp_lg_u64 s[10:11], 0
	s_cbranch_scc0 .LBB45_21
; %bb.1:
	s_add_nc_u64 s[10:11], s[16:17], 0
	s_mov_b32 s23, s17
	s_xor_b64 s[10:11], s[10:11], 0
	s_mov_b32 s27, s17
	s_cvt_f32_u32 s3, s10
	s_cvt_f32_u32 s7, s11
	s_sub_nc_u64 s[20:21], 0, s[10:11]
	s_delay_alu instid0(SALU_CYCLE_2) | instskip(NEXT) | instid1(SALU_CYCLE_3)
	s_fmamk_f32 s3, s7, 0x4f800000, s3
	v_s_rcp_f32 s3, s3
	s_delay_alu instid0(TRANS32_DEP_1) | instskip(NEXT) | instid1(SALU_CYCLE_3)
	s_mul_f32 s3, s3, 0x5f7ffffc
	s_mul_f32 s7, s3, 0x2f800000
	s_delay_alu instid0(SALU_CYCLE_3) | instskip(NEXT) | instid1(SALU_CYCLE_3)
	s_trunc_f32 s7, s7
	s_fmamk_f32 s3, s7, 0xcf800000, s3
	s_cvt_u32_f32 s13, s7
	s_delay_alu instid0(SALU_CYCLE_2) | instskip(NEXT) | instid1(SALU_CYCLE_3)
	s_cvt_u32_f32 s12, s3
	s_mul_u64 s[24:25], s[20:21], s[12:13]
	s_delay_alu instid0(SALU_CYCLE_1)
	s_mul_hi_u32 s29, s12, s25
	s_mul_i32 s28, s12, s25
	s_mul_hi_u32 s22, s12, s24
	s_mul_i32 s7, s13, s24
	s_add_nc_u64 s[22:23], s[22:23], s[28:29]
	s_mul_hi_u32 s3, s13, s24
	s_mul_hi_u32 s14, s13, s25
	s_add_co_u32 s7, s22, s7
	s_add_co_ci_u32 s26, s23, s3
	s_mul_i32 s24, s13, s25
	s_add_co_ci_u32 s25, s14, 0
	s_delay_alu instid0(SALU_CYCLE_1) | instskip(SKIP_3) | instid1(SALU_CYCLE_1)
	s_add_nc_u64 s[22:23], s[26:27], s[24:25]
	s_mov_b32 s25, s17
	s_add_co_u32 s12, s12, s22
	s_cselect_b32 s3, -1, 0
	s_cmp_lg_u32 s3, 0
	s_add_co_ci_u32 s13, s13, s23
	s_mov_b32 s23, s17
	s_mul_u64 s[20:21], s[20:21], s[12:13]
	s_delay_alu instid0(SALU_CYCLE_1)
	s_mul_hi_u32 s27, s12, s21
	s_mul_i32 s26, s12, s21
	s_mul_hi_u32 s22, s12, s20
	s_mul_i32 s7, s13, s20
	s_add_nc_u64 s[22:23], s[22:23], s[26:27]
	s_mul_hi_u32 s3, s13, s20
	s_mul_hi_u32 s14, s13, s21
	s_add_co_u32 s7, s22, s7
	s_add_co_ci_u32 s24, s23, s3
	s_mul_i32 s20, s13, s21
	s_add_co_ci_u32 s21, s14, 0
	s_mov_b32 s23, s17
	s_add_nc_u64 s[20:21], s[24:25], s[20:21]
	s_delay_alu instid0(SALU_CYCLE_1) | instskip(SKIP_1) | instid1(SALU_CYCLE_1)
	s_add_co_u32 s3, s12, s20
	s_cselect_b32 s7, -1, 0
	s_cmp_lg_u32 s7, 0
	s_add_co_ci_u32 s7, s13, s21
	s_ashr_i32 s12, s9, 31
	s_delay_alu instid0(SALU_CYCLE_1) | instskip(NEXT) | instid1(SALU_CYCLE_1)
	s_mov_b32 s13, s12
	s_add_nc_u64 s[20:21], s[8:9], s[12:13]
	s_delay_alu instid0(SALU_CYCLE_1) | instskip(NEXT) | instid1(SALU_CYCLE_1)
	s_xor_b64 s[20:21], s[20:21], s[12:13]
	s_mul_hi_u32 s27, s20, s7
	s_mul_i32 s26, s20, s7
	s_mul_hi_u32 s22, s20, s3
	s_mul_hi_u32 s14, s21, s3
	s_mul_i32 s3, s21, s3
	s_add_nc_u64 s[22:23], s[22:23], s[26:27]
	s_mul_hi_u32 s9, s21, s7
	s_add_co_u32 s3, s22, s3
	s_add_co_ci_u32 s24, s23, s14
	s_mul_i32 s26, s21, s7
	s_add_co_ci_u32 s27, s9, 0
	s_delay_alu instid0(SALU_CYCLE_1) | instskip(NEXT) | instid1(SALU_CYCLE_1)
	s_add_nc_u64 s[22:23], s[24:25], s[26:27]
	s_and_b64 s[24:25], s[22:23], 0xffffffff00000000
	s_delay_alu instid0(SALU_CYCLE_1) | instskip(NEXT) | instid1(SALU_CYCLE_1)
	s_or_b32 s24, s24, s22
	s_mul_u64 s[22:23], s[10:11], s[24:25]
	s_add_nc_u64 s[26:27], s[24:25], 1
	s_sub_co_u32 s3, s20, s22
	s_cselect_b32 s7, -1, 0
	s_sub_co_i32 s9, s21, s23
	s_cmp_lg_u32 s7, 0
	s_add_nc_u64 s[28:29], s[24:25], 2
	s_sub_co_ci_u32 s9, s9, s11
	s_sub_co_u32 s14, s3, s10
	s_cselect_b32 s20, -1, 0
	s_delay_alu instid0(SALU_CYCLE_1) | instskip(SKIP_1) | instid1(SALU_CYCLE_1)
	s_cmp_lg_u32 s20, 0
	s_sub_co_ci_u32 s9, s9, 0
	s_cmp_ge_u32 s9, s11
	s_cselect_b32 s20, -1, 0
	s_cmp_ge_u32 s14, s10
	s_cselect_b32 s14, -1, 0
	s_cmp_eq_u32 s9, s11
	s_cselect_b32 s9, s14, s20
	s_delay_alu instid0(SALU_CYCLE_1) | instskip(SKIP_4) | instid1(SALU_CYCLE_1)
	s_cmp_lg_u32 s9, 0
	s_cselect_b32 s9, s28, s26
	s_cselect_b32 s14, s29, s27
	s_cmp_lg_u32 s7, 0
	s_sub_co_ci_u32 s7, s21, s23
	s_cmp_ge_u32 s7, s11
	s_cselect_b32 s20, -1, 0
	s_cmp_ge_u32 s3, s10
	s_cselect_b32 s3, -1, 0
	s_cmp_eq_u32 s7, s11
	s_cselect_b32 s3, s3, s20
	s_delay_alu instid0(SALU_CYCLE_1) | instskip(SKIP_4) | instid1(SALU_CYCLE_1)
	s_cmp_lg_u32 s3, 0
	s_mov_b32 s3, s17
	s_cselect_b32 s11, s14, s25
	s_cselect_b32 s10, s9, s24
	s_xor_b64 s[12:13], s[12:13], 0
	s_xor_b64 s[10:11], s[10:11], s[12:13]
	s_delay_alu instid0(SALU_CYCLE_1)
	s_sub_nc_u64 s[20:21], s[10:11], s[12:13]
	s_and_not1_b32 vcc_lo, exec_lo, s3
	s_cbranch_vccnz .LBB45_3
.LBB45_2:
	v_cvt_f32_u32_e32 v1, s16
	s_sub_co_i32 s7, 0, s16
	s_mov_b32 s21, 0
	s_delay_alu instid0(VALU_DEP_1) | instskip(SKIP_1) | instid1(TRANS32_DEP_1)
	v_rcp_iflag_f32_e32 v1, v1
	v_nop
	v_mul_f32_e32 v1, 0x4f7ffffe, v1
	s_delay_alu instid0(VALU_DEP_1) | instskip(NEXT) | instid1(VALU_DEP_1)
	v_cvt_u32_f32_e32 v1, v1
	v_readfirstlane_b32 s3, v1
	s_mul_i32 s7, s7, s3
	s_delay_alu instid0(SALU_CYCLE_1) | instskip(NEXT) | instid1(SALU_CYCLE_1)
	s_mul_hi_u32 s7, s3, s7
	s_add_co_i32 s3, s3, s7
	s_delay_alu instid0(SALU_CYCLE_1) | instskip(NEXT) | instid1(SALU_CYCLE_1)
	s_mul_hi_u32 s3, s8, s3
	s_mul_i32 s7, s3, s16
	s_delay_alu instid0(SALU_CYCLE_1)
	s_sub_co_i32 s7, s8, s7
	s_add_co_i32 s8, s3, 1
	s_sub_co_i32 s9, s7, s16
	s_cmp_ge_u32 s7, s16
	s_cselect_b32 s3, s8, s3
	s_cselect_b32 s7, s9, s7
	s_add_co_i32 s8, s3, 1
	s_cmp_ge_u32 s7, s16
	s_cselect_b32 s20, s8, s3
.LBB45_3:
	s_add_co_i32 s8, s2, 1
	s_delay_alu instid0(SALU_CYCLE_1) | instskip(NEXT) | instid1(SALU_CYCLE_1)
	s_ashr_i32 s9, s8, 31
	s_mul_u64 s[8:9], s[18:19], s[8:9]
	s_delay_alu instid0(SALU_CYCLE_1) | instskip(NEXT) | instid1(SALU_CYCLE_1)
	s_and_b64 s[10:11], s[8:9], 0xffffffff00000000
	s_cmp_lg_u64 s[10:11], 0
	s_cbranch_scc0 .LBB45_22
; %bb.4:
	s_add_nc_u64 s[10:11], s[16:17], 0
	s_delay_alu instid0(SALU_CYCLE_1) | instskip(SKIP_4) | instid1(SALU_CYCLE_2)
	s_xor_b64 s[12:13], s[10:11], 0
	s_mov_b32 s11, 0
	s_cvt_f32_u32 s3, s12
	s_cvt_f32_u32 s7, s13
	s_sub_nc_u64 s[24:25], 0, s[12:13]
	s_fmamk_f32 s3, s7, 0x4f800000, s3
	s_delay_alu instid0(SALU_CYCLE_3) | instskip(NEXT) | instid1(TRANS32_DEP_1)
	v_s_rcp_f32 s3, s3
	s_mul_f32 s3, s3, 0x5f7ffffc
	s_delay_alu instid0(SALU_CYCLE_3) | instskip(NEXT) | instid1(SALU_CYCLE_3)
	s_mul_f32 s7, s3, 0x2f800000
	s_trunc_f32 s7, s7
	s_delay_alu instid0(SALU_CYCLE_3) | instskip(SKIP_1) | instid1(SALU_CYCLE_2)
	s_fmamk_f32 s3, s7, 0xcf800000, s3
	s_cvt_u32_f32 s23, s7
	s_cvt_u32_f32 s22, s3
	s_delay_alu instid0(SALU_CYCLE_3) | instskip(NEXT) | instid1(SALU_CYCLE_1)
	s_mul_u64 s[26:27], s[24:25], s[22:23]
	s_mul_hi_u32 s29, s22, s27
	s_mul_i32 s28, s22, s27
	s_mul_hi_u32 s10, s22, s26
	s_mul_i32 s7, s23, s26
	s_add_nc_u64 s[28:29], s[10:11], s[28:29]
	s_mul_hi_u32 s3, s23, s26
	s_mul_hi_u32 s14, s23, s27
	s_add_co_u32 s7, s28, s7
	s_add_co_ci_u32 s10, s29, s3
	s_mul_i32 s26, s23, s27
	s_add_co_ci_u32 s27, s14, 0
	s_delay_alu instid0(SALU_CYCLE_1) | instskip(NEXT) | instid1(SALU_CYCLE_1)
	s_add_nc_u64 s[26:27], s[10:11], s[26:27]
	s_add_co_u32 s22, s22, s26
	s_cselect_b32 s3, -1, 0
	s_delay_alu instid0(SALU_CYCLE_1) | instskip(SKIP_1) | instid1(SALU_CYCLE_1)
	s_cmp_lg_u32 s3, 0
	s_add_co_ci_u32 s23, s23, s27
	s_mul_u64 s[24:25], s[24:25], s[22:23]
	s_delay_alu instid0(SALU_CYCLE_1)
	s_mul_hi_u32 s27, s22, s25
	s_mul_i32 s26, s22, s25
	s_mul_hi_u32 s10, s22, s24
	s_mul_i32 s7, s23, s24
	s_add_nc_u64 s[26:27], s[10:11], s[26:27]
	s_mul_hi_u32 s3, s23, s24
	s_mul_hi_u32 s14, s23, s25
	s_add_co_u32 s7, s26, s7
	s_add_co_ci_u32 s10, s27, s3
	s_mul_i32 s24, s23, s25
	s_add_co_ci_u32 s25, s14, 0
	s_delay_alu instid0(SALU_CYCLE_1) | instskip(NEXT) | instid1(SALU_CYCLE_1)
	s_add_nc_u64 s[24:25], s[10:11], s[24:25]
	s_add_co_u32 s3, s22, s24
	s_cselect_b32 s7, -1, 0
	s_delay_alu instid0(SALU_CYCLE_1) | instskip(SKIP_2) | instid1(SALU_CYCLE_1)
	s_cmp_lg_u32 s7, 0
	s_add_co_ci_u32 s7, s23, s25
	s_ashr_i32 s22, s9, 31
	s_mov_b32 s23, s22
	s_delay_alu instid0(SALU_CYCLE_1) | instskip(NEXT) | instid1(SALU_CYCLE_1)
	s_add_nc_u64 s[24:25], s[8:9], s[22:23]
	s_xor_b64 s[24:25], s[24:25], s[22:23]
	s_delay_alu instid0(SALU_CYCLE_1)
	s_mul_hi_u32 s27, s24, s7
	s_mul_i32 s26, s24, s7
	s_mul_hi_u32 s10, s24, s3
	s_mul_hi_u32 s14, s25, s3
	s_mul_i32 s3, s25, s3
	s_add_nc_u64 s[26:27], s[10:11], s[26:27]
	s_mul_hi_u32 s9, s25, s7
	s_add_co_u32 s3, s26, s3
	s_add_co_ci_u32 s10, s27, s14
	s_mul_i32 s28, s25, s7
	s_add_co_ci_u32 s29, s9, 0
	s_delay_alu instid0(SALU_CYCLE_1) | instskip(NEXT) | instid1(SALU_CYCLE_1)
	s_add_nc_u64 s[26:27], s[10:11], s[28:29]
	s_and_b64 s[28:29], s[26:27], 0xffffffff00000000
	s_delay_alu instid0(SALU_CYCLE_1) | instskip(NEXT) | instid1(SALU_CYCLE_1)
	s_or_b32 s28, s28, s26
	s_mul_u64 s[26:27], s[12:13], s[28:29]
	s_add_nc_u64 s[30:31], s[28:29], 1
	s_sub_co_u32 s3, s24, s26
	s_cselect_b32 s7, -1, 0
	s_sub_co_i32 s9, s25, s27
	s_cmp_lg_u32 s7, 0
	s_add_nc_u64 s[34:35], s[28:29], 2
	s_sub_co_ci_u32 s9, s9, s13
	s_sub_co_u32 s10, s3, s12
	s_cselect_b32 s14, -1, 0
	s_delay_alu instid0(SALU_CYCLE_1) | instskip(SKIP_1) | instid1(SALU_CYCLE_1)
	s_cmp_lg_u32 s14, 0
	s_sub_co_ci_u32 s9, s9, 0
	s_cmp_ge_u32 s9, s13
	s_cselect_b32 s14, -1, 0
	s_cmp_ge_u32 s10, s12
	s_cselect_b32 s10, -1, 0
	s_cmp_eq_u32 s9, s13
	s_cselect_b32 s9, s10, s14
	s_delay_alu instid0(SALU_CYCLE_1) | instskip(SKIP_4) | instid1(SALU_CYCLE_1)
	s_cmp_lg_u32 s9, 0
	s_cselect_b32 s9, s34, s30
	s_cselect_b32 s10, s35, s31
	s_cmp_lg_u32 s7, 0
	s_sub_co_ci_u32 s7, s25, s27
	s_cmp_ge_u32 s7, s13
	s_cselect_b32 s14, -1, 0
	s_cmp_ge_u32 s3, s12
	s_cselect_b32 s3, -1, 0
	s_cmp_eq_u32 s7, s13
	s_cselect_b32 s3, s3, s14
	s_delay_alu instid0(SALU_CYCLE_1) | instskip(SKIP_3) | instid1(SALU_CYCLE_1)
	s_cmp_lg_u32 s3, 0
	s_cselect_b32 s13, s10, s29
	s_cselect_b32 s12, s9, s28
	s_xor_b64 s[22:23], s[22:23], 0
	s_xor_b64 s[12:13], s[12:13], s[22:23]
	s_delay_alu instid0(SALU_CYCLE_1)
	s_sub_nc_u64 s[24:25], s[12:13], s[22:23]
	s_load_b96 s[12:14], s[0:1], 0x44
	s_cbranch_execnz .LBB45_6
.LBB45_5:
	v_cvt_f32_u32_e32 v1, s16
	s_sub_co_i32 s7, 0, s16
	s_delay_alu instid0(VALU_DEP_1) | instskip(SKIP_1) | instid1(TRANS32_DEP_1)
	v_rcp_iflag_f32_e32 v1, v1
	v_nop
	v_mul_f32_e32 v1, 0x4f7ffffe, v1
	s_delay_alu instid0(VALU_DEP_1) | instskip(NEXT) | instid1(VALU_DEP_1)
	v_cvt_u32_f32_e32 v1, v1
	v_readfirstlane_b32 s3, v1
	s_mul_i32 s7, s7, s3
	s_delay_alu instid0(SALU_CYCLE_1) | instskip(NEXT) | instid1(SALU_CYCLE_1)
	s_mul_hi_u32 s7, s3, s7
	s_add_co_i32 s3, s3, s7
	s_delay_alu instid0(SALU_CYCLE_1) | instskip(NEXT) | instid1(SALU_CYCLE_1)
	s_mul_hi_u32 s3, s8, s3
	s_mul_i32 s7, s3, s16
	s_delay_alu instid0(SALU_CYCLE_1)
	s_sub_co_i32 s7, s8, s7
	s_add_co_i32 s8, s3, 1
	s_sub_co_i32 s9, s7, s16
	s_cmp_ge_u32 s7, s16
	s_cselect_b32 s3, s8, s3
	s_cselect_b32 s7, s9, s7
	s_add_co_i32 s8, s3, 1
	s_cmp_ge_u32 s7, s16
	s_cselect_b32 s24, s8, s3
.LBB45_6:
	s_delay_alu instid0(SALU_CYCLE_1)
	s_cmp_eq_u32 s20, s24
	s_mov_b64 s[8:9], 0xffffffff
	s_cselect_b32 s3, -1, 0
	s_and_b64 s[8:9], s[20:21], s[8:9]
	s_mov_b32 s23, 0
	s_wait_kmcnt 0x0
	s_mov_b32 s22, s12
	s_mov_b32 s25, s23
	s_mul_u64 s[10:11], s[8:9], s[22:23]
	s_delay_alu instid0(SALU_CYCLE_1) | instskip(SKIP_2) | instid1(SALU_CYCLE_1)
	s_add_co_i32 s7, s11, s20
	s_mul_u64 s[10:11], s[24:25], s[22:23]
	s_lshr_b32 s12, s7, s13
	s_mul_i32 s7, s12, s14
	s_delay_alu instid0(SALU_CYCLE_1) | instskip(SKIP_2) | instid1(SALU_CYCLE_1)
	s_cmp_eq_u32 s7, s20
	s_cselect_b32 s7, -1, 0
	s_add_co_i32 s10, s11, s24
	s_lshr_b32 s10, s10, s13
	s_delay_alu instid0(SALU_CYCLE_1)
	s_cmp_eq_u32 s12, s10
	s_mul_i32 s10, s10, s14
	s_cselect_b32 s11, -1, 0
	s_cmp_lg_u32 s10, s24
	s_cselect_b32 s10, -1, 0
	s_or_b32 s3, s3, s7
	s_and_b32 s10, s11, s10
	s_delay_alu instid0(SALU_CYCLE_1) | instskip(NEXT) | instid1(SALU_CYCLE_1)
	s_or_b32 s3, s3, s10
	s_and_b32 vcc_lo, exec_lo, s3
	s_cbranch_vccnz .LBB45_24
; %bb.7:
	s_load_b256 s[24:31], s[0:1], 0x20
	s_bfe_u32 s7, ttmp6, 0x40014
	s_bfe_u32 s33, ttmp6, 0x40010
	s_lshr_b32 s3, ttmp7, 16
	s_add_co_i32 s7, s7, 1
	s_and_b32 s21, ttmp7, 0xffff
	s_add_co_i32 s33, s33, 1
	s_bfe_u32 s10, ttmp6, 0x40008
	s_mul_i32 s7, s3, s7
	s_bfe_u32 s34, ttmp6, 0x40004
	s_mul_i32 s33, s21, s33
	s_mov_b32 s11, s23
	s_add_co_i32 s35, s10, s7
	s_add_co_i32 s34, s34, s33
	s_cmp_eq_u32 s15, 0
	s_cselect_b32 s7, s21, s34
	s_cselect_b32 s3, s3, s35
	s_wait_kmcnt 0x0
	s_mov_b32 s10, s24
	s_delay_alu instid0(SALU_CYCLE_1) | instskip(NEXT) | instid1(SALU_CYCLE_1)
	s_mul_u64 s[8:9], s[8:9], s[10:11]
	s_add_co_i32 s8, s9, s20
	s_load_b32 s9, s[0:1], 0x40
	s_lshr_b32 s8, s8, s25
	s_delay_alu instid0(SALU_CYCLE_1) | instskip(NEXT) | instid1(SALU_CYCLE_1)
	s_mul_i32 s10, s8, s26
	s_sub_co_i32 s10, s20, s10
	s_delay_alu instid0(SALU_CYCLE_1) | instskip(NEXT) | instid1(SALU_CYCLE_1)
	s_mul_hi_u32 s11, s10, s27
	s_add_co_i32 s11, s10, s11
	s_delay_alu instid0(SALU_CYCLE_1) | instskip(NEXT) | instid1(SALU_CYCLE_1)
	s_lshr_b32 s15, s11, s28
	s_mul_i32 s11, s15, s29
	s_delay_alu instid0(SALU_CYCLE_1) | instskip(NEXT) | instid1(SALU_CYCLE_1)
	s_sub_co_i32 s10, s10, s11
	s_mul_hi_u32 s11, s10, s30
	s_delay_alu instid0(SALU_CYCLE_1) | instskip(NEXT) | instid1(SALU_CYCLE_1)
	s_add_co_i32 s11, s10, s11
	s_lshr_b32 s26, s11, s31
	s_mov_b32 s11, s23
	s_wait_kmcnt 0x0
	s_mul_i32 s9, s26, s9
	s_delay_alu instid0(SALU_CYCLE_1) | instskip(NEXT) | instid1(SALU_CYCLE_1)
	s_sub_co_i32 s10, s10, s9
	s_mul_u64 s[24:25], s[10:11], s[22:23]
	s_lshl_b32 s24, s26, 1
	s_add_co_i32 s9, s10, s25
	s_delay_alu instid0(SALU_CYCLE_1) | instskip(NEXT) | instid1(SALU_CYCLE_1)
	s_lshr_b32 s21, s9, s13
	s_lshl_b32 s9, s21, 2
	s_delay_alu instid0(SALU_CYCLE_1) | instskip(NEXT) | instid1(SALU_CYCLE_1)
	s_add_co_i32 s9, s9, s7
	s_cmp_lt_i32 s9, s4
	s_cselect_b32 s9, -1, 0
	s_add_co_i32 s10, s24, s3
	s_delay_alu instid0(SALU_CYCLE_1) | instskip(SKIP_1) | instid1(SALU_CYCLE_1)
	s_cmp_lt_i32 s10, s6
	s_cselect_b32 s10, -1, 0
	s_and_b32 s9, s9, s10
	s_delay_alu instid0(SALU_CYCLE_1)
	s_and_not1_b32 vcc_lo, exec_lo, s9
	s_cbranch_vccnz .LBB45_24
; %bb.8:
	s_mul_i32 s4, s8, s4
	s_load_b128 s[8:11], s[0:1], 0x0
	s_wait_xcnt 0x0
	s_add_co_i32 s0, s4, s7
	s_mul_i32 s15, s15, s6
	s_mul_i32 s0, s0, s5
	;; [unrolled: 1-line block ×3, first 2 shown]
	s_add_co_i32 s0, s0, s3
	s_lshl_b32 s1, s1, 8
	s_add_co_i32 s0, s0, s15
	s_lshl_b32 s15, s7, 1
	s_add_co_i32 s0, s0, s24
	s_add_co_i32 s15, s15, s3
	s_lshl_b32 s0, s0, 6
	v_lshl_or_b32 v6, s15, 6, v0
	s_add_co_i32 s1, s1, s0
	v_cvt_f32_u32_e32 v4, s16
	v_or_b32_e32 v2, s1, v0
	s_add_nc_u64 s[0:1], s[16:17], 0
	s_lshl_b32 s24, s16, 5
	s_xor_b64 s[6:7], s[0:1], 0
	s_lshl_b32 s0, s2, 3
	s_cvt_f32_u32 s3, s6
	s_add_co_i32 s0, s15, s0
	s_cvt_f32_u32 s4, s7
	s_ashr_i32 s1, s0, 31
	v_rcp_iflag_f32_e32 v4, v4
	s_lshl_b64 s[0:1], s[0:1], 3
	s_fmamk_f32 s3, s4, 0x4f800000, s3
	s_wait_kmcnt 0x0
	s_add_nc_u64 s[0:1], s[10:11], s[0:1]
	s_mov_b32 s25, 0
	s_load_b64 s[28:29], s[0:1], 0x0
	v_s_rcp_f32 s3, s3
	s_wait_xcnt 0x0
	s_lshl_b64 s[0:1], s[24:25], 2
	s_add_co_i32 s36, s2, -1
	s_add_nc_u64 s[26:27], s[10:11], s[0:1]
	s_sub_nc_u64 s[34:35], 0, s[6:7]
	v_mul_f32_e32 v4, 0x4f7ffffe, v4
	s_delay_alu instid0(TRANS32_DEP_1) | instskip(NEXT) | instid1(VALU_DEP_1)
	s_mul_f32 s3, s3, 0x5f7ffffc
	v_cvt_u32_f32_e32 v7, v4
	s_delay_alu instid0(SALU_CYCLE_2) | instskip(NEXT) | instid1(SALU_CYCLE_3)
	s_mul_f32 s4, s3, 0x2f800000
	s_trunc_f32 s4, s4
	s_wait_kmcnt 0x0
	v_mov_b32_e32 v0, s29
	global_load_b32 v1, v2, s[8:9] scale_offset
	v_ashrrev_i32_e32 v3, 31, v2
	s_fmamk_f32 s0, s4, 0xcf800000, s3
	s_cvt_u32_f32 s31, s4
	s_wait_xcnt 0x0
	s_delay_alu instid0(VALU_DEP_1)
	v_lshl_add_u64 v[2:3], v[2:3], 2, s[8:9]
	s_cvt_u32_f32 s30, s0
	s_mov_b64 s[8:9], 0xffffffff
.LBB45_9:                               ; =>This Inner Loop Header: Depth=1
	s_ashr_i32 s37, s36, 31
                                        ; implicit-def: $sgpr40_sgpr41
	s_delay_alu instid0(SALU_CYCLE_1) | instskip(NEXT) | instid1(SALU_CYCLE_1)
	s_mul_u64 s[0:1], s[36:37], s[18:19]
	s_and_b64 s[2:3], s[0:1], 0xffffffff00000000
	s_delay_alu instid0(SALU_CYCLE_1)
	s_cmp_lg_u64 s[2:3], 0
	s_mov_b32 s2, -1
	s_cbranch_scc0 .LBB45_11
; %bb.10:                               ;   in Loop: Header=BB45_9 Depth=1
	s_mul_u64 s[2:3], s[34:35], s[30:31]
	s_delay_alu instid0(SALU_CYCLE_1)
	s_mul_hi_u32 s5, s30, s3
	s_mul_i32 s4, s30, s3
	s_mul_hi_u32 s24, s30, s2
	s_mul_hi_u32 s17, s31, s2
	s_add_nc_u64 s[4:5], s[24:25], s[4:5]
	s_mul_i32 s2, s31, s2
	s_mul_hi_u32 s21, s31, s3
	s_add_co_u32 s2, s4, s2
	s_add_co_ci_u32 s24, s5, s17
	s_add_co_ci_u32 s5, s21, 0
	s_mul_i32 s4, s31, s3
	s_delay_alu instid0(SALU_CYCLE_1) | instskip(NEXT) | instid1(SALU_CYCLE_1)
	s_add_nc_u64 s[2:3], s[24:25], s[4:5]
	s_add_co_u32 s2, s30, s2
	s_cselect_b32 s4, -1, 0
	s_delay_alu instid0(SALU_CYCLE_1) | instskip(SKIP_1) | instid1(SALU_CYCLE_1)
	s_cmp_lg_u32 s4, 0
	s_add_co_ci_u32 s3, s31, s3
	s_mul_u64 s[4:5], s[34:35], s[2:3]
	s_delay_alu instid0(SALU_CYCLE_1)
	s_mul_hi_u32 s39, s2, s5
	s_mul_i32 s38, s2, s5
	s_mul_hi_u32 s24, s2, s4
	s_mul_hi_u32 s17, s3, s4
	s_mul_i32 s4, s3, s4
	s_add_nc_u64 s[38:39], s[24:25], s[38:39]
	s_mul_hi_u32 s21, s3, s5
	s_add_co_u32 s4, s38, s4
	s_add_co_ci_u32 s24, s39, s17
	s_mul_i32 s4, s3, s5
	s_add_co_ci_u32 s5, s21, 0
	s_delay_alu instid0(SALU_CYCLE_1) | instskip(NEXT) | instid1(SALU_CYCLE_1)
	s_add_nc_u64 s[4:5], s[24:25], s[4:5]
	s_add_co_u32 s17, s2, s4
	s_cselect_b32 s2, -1, 0
	s_delay_alu instid0(SALU_CYCLE_1) | instskip(SKIP_2) | instid1(SALU_CYCLE_1)
	s_cmp_lg_u32 s2, 0
	s_add_co_ci_u32 s21, s3, s5
	s_ashr_i32 s2, s1, 31
	s_mov_b32 s3, s2
	s_delay_alu instid0(SALU_CYCLE_1) | instskip(NEXT) | instid1(SALU_CYCLE_1)
	s_add_nc_u64 s[4:5], s[0:1], s[2:3]
	s_xor_b64 s[4:5], s[4:5], s[2:3]
	s_delay_alu instid0(SALU_CYCLE_1)
	s_mul_hi_u32 s39, s4, s21
	s_mul_i32 s38, s4, s21
	s_mul_hi_u32 s24, s4, s17
	s_mul_hi_u32 s29, s5, s17
	s_mul_i32 s17, s5, s17
	s_add_nc_u64 s[38:39], s[24:25], s[38:39]
	s_mul_hi_u32 s1, s5, s21
	s_add_co_u32 s17, s38, s17
	s_add_co_ci_u32 s24, s39, s29
	s_mul_i32 s40, s5, s21
	s_add_co_ci_u32 s41, s1, 0
	s_delay_alu instid0(SALU_CYCLE_1) | instskip(NEXT) | instid1(SALU_CYCLE_1)
	s_add_nc_u64 s[38:39], s[24:25], s[40:41]
	s_and_b64 s[40:41], s[38:39], 0xffffffff00000000
	s_delay_alu instid0(SALU_CYCLE_1) | instskip(NEXT) | instid1(SALU_CYCLE_1)
	s_or_b32 s40, s40, s38
	s_mul_u64 s[38:39], s[6:7], s[40:41]
	s_add_nc_u64 s[42:43], s[40:41], 1
	s_sub_co_u32 s1, s4, s38
	s_cselect_b32 s4, -1, 0
	s_sub_co_i32 s17, s5, s39
	s_cmp_lg_u32 s4, 0
	s_add_nc_u64 s[44:45], s[40:41], 2
	s_sub_co_ci_u32 s17, s17, s7
	s_sub_co_u32 s21, s1, s6
	s_cselect_b32 s24, -1, 0
	s_delay_alu instid0(SALU_CYCLE_1) | instskip(SKIP_1) | instid1(SALU_CYCLE_1)
	s_cmp_lg_u32 s24, 0
	s_sub_co_ci_u32 s17, s17, 0
	s_cmp_ge_u32 s17, s7
	s_cselect_b32 s24, -1, 0
	s_cmp_ge_u32 s21, s6
	s_cselect_b32 s21, -1, 0
	s_cmp_eq_u32 s17, s7
	s_cselect_b32 s17, s21, s24
	s_delay_alu instid0(SALU_CYCLE_1) | instskip(SKIP_4) | instid1(SALU_CYCLE_1)
	s_cmp_lg_u32 s17, 0
	s_cselect_b32 s17, s44, s42
	s_cselect_b32 s21, s45, s43
	s_cmp_lg_u32 s4, 0
	s_sub_co_ci_u32 s4, s5, s39
	s_cmp_ge_u32 s4, s7
	s_cselect_b32 s5, -1, 0
	s_cmp_ge_u32 s1, s6
	s_cselect_b32 s1, -1, 0
	s_cmp_eq_u32 s4, s7
	s_cselect_b32 s1, s1, s5
	s_delay_alu instid0(SALU_CYCLE_1) | instskip(SKIP_3) | instid1(SALU_CYCLE_1)
	s_cmp_lg_u32 s1, 0
	s_cselect_b32 s5, s21, s41
	s_cselect_b32 s4, s17, s40
	s_xor_b64 s[2:3], s[2:3], 0
	s_xor_b64 s[4:5], s[4:5], s[2:3]
	s_delay_alu instid0(SALU_CYCLE_1)
	s_sub_nc_u64 s[40:41], s[4:5], s[2:3]
	s_mov_b32 s2, 0
.LBB45_11:                              ;   in Loop: Header=BB45_9 Depth=1
	s_delay_alu instid0(SALU_CYCLE_1)
	s_and_not1_b32 vcc_lo, exec_lo, s2
	s_cbranch_vccnz .LBB45_13
; %bb.12:                               ;   in Loop: Header=BB45_9 Depth=1
	v_readfirstlane_b32 s1, v7
	s_sub_co_i32 s2, 0, s16
	s_delay_alu instid0(SALU_CYCLE_1) | instskip(NEXT) | instid1(SALU_CYCLE_1)
	s_mul_i32 s2, s2, s1
	s_mul_hi_u32 s2, s1, s2
	s_delay_alu instid0(SALU_CYCLE_1) | instskip(NEXT) | instid1(SALU_CYCLE_1)
	s_add_co_i32 s1, s1, s2
	s_mul_hi_u32 s1, s0, s1
	s_delay_alu instid0(SALU_CYCLE_1) | instskip(NEXT) | instid1(SALU_CYCLE_1)
	s_mul_i32 s2, s1, s16
	s_sub_co_i32 s0, s0, s2
	s_add_co_i32 s2, s1, 1
	s_sub_co_i32 s3, s0, s16
	s_cmp_ge_u32 s0, s16
	s_cselect_b32 s1, s2, s1
	s_cselect_b32 s0, s3, s0
	s_add_co_i32 s2, s1, 1
	s_cmp_ge_u32 s0, s16
	s_cselect_b32 s24, s2, s1
	s_delay_alu instid0(SALU_CYCLE_1)
	s_mov_b64 s[40:41], s[24:25]
.LBB45_13:                              ;   in Loop: Header=BB45_9 Depth=1
	s_delay_alu instid0(SALU_CYCLE_1)
	s_cmp_lg_u32 s20, s40
	s_mov_b32 s0, -1
                                        ; implicit-def: $vgpr4_vgpr5
                                        ; implicit-def: $sgpr24
                                        ; implicit-def: $sgpr17
                                        ; implicit-def: $sgpr21
                                        ; implicit-def: $sgpr29
	s_cbranch_scc0 .LBB45_18
; %bb.14:                               ;   in Loop: Header=BB45_9 Depth=1
	s_add_co_i32 s0, s36, s16
	v_max_num_f32_e64 v4, s28, s28
	s_lshl_b32 s0, s0, 3
	s_mov_b32 s29, s20
	s_add_co_i32 s0, s0, s15
	s_load_b64 s[38:39], s[10:11], s0 offset:0x0 scale_offset
	s_wait_xcnt 0x0
	v_readfirstlane_b32 s0, v4
	s_wait_kmcnt 0x0
	v_max_num_f32_e64 v5, s38, s38
	s_delay_alu instid0(VALU_DEP_1) | instskip(SKIP_1) | instid1(SALU_CYCLE_3)
	v_readfirstlane_b32 s1, v5
	s_max_num_f32 s17, s0, s1
	s_sub_f32 s33, s28, s17
	s_sub_f32 s37, s38, s17
	s_delay_alu instid0(SALU_CYCLE_2)
	s_cmp_nlt_f32 s33, 0xc2ce8ed0
	s_cselect_b32 s1, -1, 0
	s_cmp_ngt_f32 s33, 0x42b17218
	s_cselect_b32 s2, -1, 0
	s_cmp_ge_f32 s33, 0xc1a00000
	s_cselect_b32 s0, -1, 0
	s_cmp_nlt_f32 s37, 0xc2ce8ed0
	s_cselect_b32 s3, -1, 0
	s_cmp_ngt_f32 s37, 0x42b17218
	s_cselect_b32 s4, -1, 0
	s_cmp_ge_f32 s37, 0xc1a00000
	s_cselect_b32 s5, -1, 0
	s_and_b64 s[42:43], s[40:41], s[8:9]
	s_delay_alu instid0(SALU_CYCLE_1) | instskip(NEXT) | instid1(SALU_CYCLE_1)
	s_mul_u64 s[42:43], s[42:43], s[22:23]
	s_add_co_i32 s21, s43, s40
	s_delay_alu instid0(SALU_CYCLE_1) | instskip(NEXT) | instid1(SALU_CYCLE_1)
	s_lshr_b32 s21, s21, s13
	s_mul_i32 s24, s21, s14
	s_delay_alu instid0(SALU_CYCLE_1) | instskip(SKIP_3) | instid1(SALU_CYCLE_1)
	s_cmp_eq_u32 s24, s40
	s_cselect_b32 s24, -1, 0
	s_cmp_lt_u32 s21, s12
	s_cselect_b32 s21, -1, 0
	s_or_b32 s21, s21, s24
	s_mov_b32 s24, -1
	s_and_b32 vcc_lo, exec_lo, s21
	s_mov_b32 s21, s36
	s_cbranch_vccnz .LBB45_16
; %bb.15:                               ;   in Loop: Header=BB45_9 Depth=1
	s_add_co_i32 s21, s36, -1
	s_mov_b32 s24, 0
	s_mov_b32 s29, s40
.LBB45_16:                              ;   in Loop: Header=BB45_9 Depth=1
	v_lshl_add_u32 v4, s36, 9, v6
	s_mul_f32 s40, s33, 0x3fb8aa3b
	s_mul_f32 s38, s37, 0x3fb8aa3b
	s_delay_alu instid0(SALU_CYCLE_2)
	s_xor_b32 s42, s40, 0x80000000
	global_load_b32 v5, v4, s[26:27] scale_offset
	s_fmamk_f32 s42, s33, 0x3fb8aa3b, s42
	s_rndne_f32 s44, s40
	s_xor_b32 s41, s38, 0x80000000
	s_rndne_f32 s43, s38
	s_fmamk_f32 s33, s33, 0x32a5705f, s42
	s_sub_f32 s40, s40, s44
	s_fmamk_f32 s41, s37, 0x3fb8aa3b, s41
	s_sub_f32 s38, s38, s43
	s_delay_alu instid0(SALU_CYCLE_1) | instskip(NEXT) | instid1(SALU_CYCLE_1)
	s_add_f32 s33, s40, s33
	s_fmamk_f32 s37, s37, 0x32a5705f, s41
	s_cvt_i32_f32 s40, s44
	s_delay_alu instid0(SALU_CYCLE_1) | instskip(NEXT) | instid1(SALU_CYCLE_1)
	v_s_exp_f32 s33, s33
	s_add_f32 s37, s38, s37
	s_cvt_i32_f32 s38, s43
	s_delay_alu instid0(SALU_CYCLE_2) | instskip(NEXT) | instid1(TRANS32_DEP_2)
	v_s_exp_f32 s37, s37
	v_ldexp_f32 v8, s33, s40
	s_wait_xcnt 0x0
	s_delay_alu instid0(TRANS32_DEP_1) | instskip(NEXT) | instid1(VALU_DEP_2)
	v_ldexp_f32 v4, s37, s38
	v_cndmask_b32_e64 v8, 0, v8, s1
	s_delay_alu instid0(VALU_DEP_1) | instskip(NEXT) | instid1(VALU_DEP_1)
	v_cndmask_b32_e64 v9, 0x7f800000, v8, s2
	v_dual_cndmask_b32 v4, 0, v4, s3 :: v_dual_cndmask_b32 v10, 0, v9, s0
	s_delay_alu instid0(VALU_DEP_1) | instskip(NEXT) | instid1(VALU_DEP_1)
	v_cndmask_b32_e64 v4, 0x7f800000, v4, s4
	v_dual_cndmask_b32 v8, 0, v4, s5 :: v_dual_mov_b32 v4, s39
	s_wait_loadcnt 0x0
	s_delay_alu instid0(VALU_DEP_1) | instskip(NEXT) | instid1(VALU_DEP_1)
	v_pk_mul_f32 v[4:5], v[4:5], v[8:9] op_sel_hi:[1,0]
	v_pk_fma_f32 v[4:5], v[0:1], v[10:11], v[4:5] op_sel_hi:[1,0,1]
	s_cbranch_execz .LBB45_19
.LBB45_17:                              ;   in Loop: Header=BB45_9 Depth=1
	s_and_not1_b32 vcc_lo, exec_lo, s24
	s_cbranch_vccnz .LBB45_20
	s_branch .LBB45_23
.LBB45_18:                              ;   in Loop: Header=BB45_9 Depth=1
	s_and_not1_b32 vcc_lo, exec_lo, s0
	s_cbranch_vccnz .LBB45_17
.LBB45_19:                              ;   in Loop: Header=BB45_9 Depth=1
	s_wait_loadcnt 0x0
	v_mov_b64_e32 v[4:5], v[0:1]
	s_add_co_i32 s21, s36, -1
	s_mov_b32 s29, s20
	s_mov_b32 s17, s28
	s_cbranch_execz .LBB45_23
.LBB45_20:                              ;   in Loop: Header=BB45_9 Depth=1
	s_wait_loadcnt 0x0
	s_delay_alu instid0(VALU_DEP_1)
	v_mov_b64_e32 v[0:1], v[4:5]
	s_mov_b32 s20, s29
	s_mov_b32 s36, s21
	;; [unrolled: 1-line block ×3, first 2 shown]
	s_branch .LBB45_9
.LBB45_21:
                                        ; implicit-def: $sgpr20_sgpr21
	s_branch .LBB45_2
.LBB45_22:
                                        ; implicit-def: $sgpr24_sgpr25
	s_load_b96 s[12:14], s[0:1], 0x44
	s_branch .LBB45_5
.LBB45_23:
	s_delay_alu instid0(VALU_DEP_1) | instskip(SKIP_1) | instid1(VALU_DEP_1)
	v_div_scale_f32 v0, null, v4, v4, v5
	s_wait_loadcnt 0x0
	v_rcp_f32_e32 v1, v0
	v_nop
	s_delay_alu instid0(TRANS32_DEP_1) | instskip(NEXT) | instid1(VALU_DEP_1)
	v_fma_f32 v6, -v0, v1, 1.0
	v_fmac_f32_e32 v1, v6, v1
	v_div_scale_f32 v6, vcc_lo, v5, v4, v5
	s_delay_alu instid0(VALU_DEP_1) | instskip(NEXT) | instid1(VALU_DEP_1)
	v_mul_f32_e32 v7, v6, v1
	v_fma_f32 v8, -v0, v7, v6
	s_delay_alu instid0(VALU_DEP_1) | instskip(NEXT) | instid1(VALU_DEP_1)
	v_fmac_f32_e32 v7, v8, v1
	v_fma_f32 v0, -v0, v7, v6
	s_delay_alu instid0(VALU_DEP_1) | instskip(NEXT) | instid1(VALU_DEP_1)
	v_div_fmas_f32 v0, v0, v1, v7
	v_div_fixup_f32 v0, v0, v4, v5
	global_store_b32 v[2:3], v0, off
.LBB45_24:
	s_endpgm
	.section	.rodata,"a",@progbits
	.p2align	6, 0x0
	.amdhsa_kernel _ZL33flash_attn_stream_k_fixup_generalILi64ELi4ELi2EEvPfPK15HIP_vector_typeIfLj2EEiiiiS1_IjLj3EES5_S5_S5_
		.amdhsa_group_segment_fixed_size 0
		.amdhsa_private_segment_fixed_size 0
		.amdhsa_kernarg_size 336
		.amdhsa_user_sgpr_count 2
		.amdhsa_user_sgpr_dispatch_ptr 0
		.amdhsa_user_sgpr_queue_ptr 0
		.amdhsa_user_sgpr_kernarg_segment_ptr 1
		.amdhsa_user_sgpr_dispatch_id 0
		.amdhsa_user_sgpr_kernarg_preload_length 0
		.amdhsa_user_sgpr_kernarg_preload_offset 0
		.amdhsa_user_sgpr_private_segment_size 0
		.amdhsa_wavefront_size32 1
		.amdhsa_uses_dynamic_stack 0
		.amdhsa_enable_private_segment 0
		.amdhsa_system_sgpr_workgroup_id_x 1
		.amdhsa_system_sgpr_workgroup_id_y 1
		.amdhsa_system_sgpr_workgroup_id_z 1
		.amdhsa_system_sgpr_workgroup_info 0
		.amdhsa_system_vgpr_workitem_id 0
		.amdhsa_next_free_vgpr 12
		.amdhsa_next_free_sgpr 46
		.amdhsa_named_barrier_count 0
		.amdhsa_reserve_vcc 1
		.amdhsa_float_round_mode_32 0
		.amdhsa_float_round_mode_16_64 0
		.amdhsa_float_denorm_mode_32 3
		.amdhsa_float_denorm_mode_16_64 3
		.amdhsa_fp16_overflow 0
		.amdhsa_memory_ordered 1
		.amdhsa_forward_progress 1
		.amdhsa_inst_pref_size 27
		.amdhsa_round_robin_scheduling 0
		.amdhsa_exception_fp_ieee_invalid_op 0
		.amdhsa_exception_fp_denorm_src 0
		.amdhsa_exception_fp_ieee_div_zero 0
		.amdhsa_exception_fp_ieee_overflow 0
		.amdhsa_exception_fp_ieee_underflow 0
		.amdhsa_exception_fp_ieee_inexact 0
		.amdhsa_exception_int_div_zero 0
	.end_amdhsa_kernel
	.section	.text._ZL33flash_attn_stream_k_fixup_generalILi64ELi4ELi2EEvPfPK15HIP_vector_typeIfLj2EEiiiiS1_IjLj3EES5_S5_S5_,"axG",@progbits,_ZL33flash_attn_stream_k_fixup_generalILi64ELi4ELi2EEvPfPK15HIP_vector_typeIfLj2EEiiiiS1_IjLj3EES5_S5_S5_,comdat
.Lfunc_end45:
	.size	_ZL33flash_attn_stream_k_fixup_generalILi64ELi4ELi2EEvPfPK15HIP_vector_typeIfLj2EEiiiiS1_IjLj3EES5_S5_S5_, .Lfunc_end45-_ZL33flash_attn_stream_k_fixup_generalILi64ELi4ELi2EEvPfPK15HIP_vector_typeIfLj2EEiiiiS1_IjLj3EES5_S5_S5_
                                        ; -- End function
	.set _ZL33flash_attn_stream_k_fixup_generalILi64ELi4ELi2EEvPfPK15HIP_vector_typeIfLj2EEiiiiS1_IjLj3EES5_S5_S5_.num_vgpr, 12
	.set _ZL33flash_attn_stream_k_fixup_generalILi64ELi4ELi2EEvPfPK15HIP_vector_typeIfLj2EEiiiiS1_IjLj3EES5_S5_S5_.num_agpr, 0
	.set _ZL33flash_attn_stream_k_fixup_generalILi64ELi4ELi2EEvPfPK15HIP_vector_typeIfLj2EEiiiiS1_IjLj3EES5_S5_S5_.numbered_sgpr, 46
	.set _ZL33flash_attn_stream_k_fixup_generalILi64ELi4ELi2EEvPfPK15HIP_vector_typeIfLj2EEiiiiS1_IjLj3EES5_S5_S5_.num_named_barrier, 0
	.set _ZL33flash_attn_stream_k_fixup_generalILi64ELi4ELi2EEvPfPK15HIP_vector_typeIfLj2EEiiiiS1_IjLj3EES5_S5_S5_.private_seg_size, 0
	.set _ZL33flash_attn_stream_k_fixup_generalILi64ELi4ELi2EEvPfPK15HIP_vector_typeIfLj2EEiiiiS1_IjLj3EES5_S5_S5_.uses_vcc, 1
	.set _ZL33flash_attn_stream_k_fixup_generalILi64ELi4ELi2EEvPfPK15HIP_vector_typeIfLj2EEiiiiS1_IjLj3EES5_S5_S5_.uses_flat_scratch, 0
	.set _ZL33flash_attn_stream_k_fixup_generalILi64ELi4ELi2EEvPfPK15HIP_vector_typeIfLj2EEiiiiS1_IjLj3EES5_S5_S5_.has_dyn_sized_stack, 0
	.set _ZL33flash_attn_stream_k_fixup_generalILi64ELi4ELi2EEvPfPK15HIP_vector_typeIfLj2EEiiiiS1_IjLj3EES5_S5_S5_.has_recursion, 0
	.set _ZL33flash_attn_stream_k_fixup_generalILi64ELi4ELi2EEvPfPK15HIP_vector_typeIfLj2EEiiiiS1_IjLj3EES5_S5_S5_.has_indirect_call, 0
	.section	.AMDGPU.csdata,"",@progbits
; Kernel info:
; codeLenInByte = 3360
; TotalNumSgprs: 48
; NumVgprs: 12
; ScratchSize: 0
; MemoryBound: 0
; FloatMode: 240
; IeeeMode: 1
; LDSByteSize: 0 bytes/workgroup (compile time only)
; SGPRBlocks: 0
; VGPRBlocks: 0
; NumSGPRsForWavesPerEU: 48
; NumVGPRsForWavesPerEU: 12
; NamedBarCnt: 0
; Occupancy: 16
; WaveLimiterHint : 0
; COMPUTE_PGM_RSRC2:SCRATCH_EN: 0
; COMPUTE_PGM_RSRC2:USER_SGPR: 2
; COMPUTE_PGM_RSRC2:TRAP_HANDLER: 0
; COMPUTE_PGM_RSRC2:TGID_X_EN: 1
; COMPUTE_PGM_RSRC2:TGID_Y_EN: 1
; COMPUTE_PGM_RSRC2:TGID_Z_EN: 1
; COMPUTE_PGM_RSRC2:TIDIG_COMP_CNT: 0
	.section	.text._ZL15flash_attn_tileILi64ELi64ELi2ELi2ELb0EEvPKcS1_S1_S1_S1_PKiPfP15HIP_vector_typeIfLj2EEffffjfiS5_IjLj3EEiiiiiiiiiiiliiliiiiil,"axG",@progbits,_ZL15flash_attn_tileILi64ELi64ELi2ELi2ELb0EEvPKcS1_S1_S1_S1_PKiPfP15HIP_vector_typeIfLj2EEffffjfiS5_IjLj3EEiiiiiiiiiiiliiliiiiil,comdat
	.globl	_ZL15flash_attn_tileILi64ELi64ELi2ELi2ELb0EEvPKcS1_S1_S1_S1_PKiPfP15HIP_vector_typeIfLj2EEffffjfiS5_IjLj3EEiiiiiiiiiiiliiliiiiil ; -- Begin function _ZL15flash_attn_tileILi64ELi64ELi2ELi2ELb0EEvPKcS1_S1_S1_S1_PKiPfP15HIP_vector_typeIfLj2EEffffjfiS5_IjLj3EEiiiiiiiiiiiliiliiiiil
	.p2align	8
	.type	_ZL15flash_attn_tileILi64ELi64ELi2ELi2ELb0EEvPKcS1_S1_S1_S1_PKiPfP15HIP_vector_typeIfLj2EEffffjfiS5_IjLj3EEiiiiiiiiiiiliiliiiiil,@function
_ZL15flash_attn_tileILi64ELi64ELi2ELi2ELb0EEvPKcS1_S1_S1_S1_PKiPfP15HIP_vector_typeIfLj2EEffffjfiS5_IjLj3EEiiiiiiiiiiiliiliiiiil: ; @_ZL15flash_attn_tileILi64ELi64ELi2ELi2ELb0EEvPKcS1_S1_S1_S1_PKiPfP15HIP_vector_typeIfLj2EEffffjfiS5_IjLj3EEiiiiiiiiiiiliiliiiiil
; %bb.0:
	s_clause 0x1
	s_load_b128 s[20:23], s[0:1], 0x5c
	s_load_b64 s[34:35], s[0:1], 0x80
	s_bfe_u32 s5, ttmp6, 0x40014
	s_lshr_b32 s4, ttmp7, 16
	s_add_co_i32 s5, s5, 1
	s_bfe_u32 s6, ttmp6, 0x40008
	s_mul_i32 s5, s4, s5
	s_getreg_b32 s24, hwreg(HW_REG_IB_STS2, 6, 4)
	s_add_co_i32 s6, s6, s5
	s_load_b64 s[38:39], s[0:1], 0xb8
	s_mov_b64 s[36:37], 0
	s_wait_kmcnt 0x0
	s_lshr_b32 s2, s23, 31
	s_delay_alu instid0(SALU_CYCLE_1) | instskip(NEXT) | instid1(SALU_CYCLE_1)
	s_add_co_i32 s2, s23, s2
	s_ashr_i32 s2, s2, 1
	s_delay_alu instid0(SALU_CYCLE_1) | instskip(SKIP_1) | instid1(SALU_CYCLE_2)
	s_cvt_f32_u32 s3, s2
	s_sub_co_i32 s7, 0, s2
	v_rcp_iflag_f32_e32 v1, s3
	v_nop
	s_delay_alu instid0(TRANS32_DEP_1) | instskip(SKIP_1) | instid1(SALU_CYCLE_3)
	v_readfirstlane_b32 s3, v1
	s_mul_f32 s3, s3, 0x4f7ffffe
	s_cvt_u32_f32 s3, s3
	s_delay_alu instid0(SALU_CYCLE_3) | instskip(NEXT) | instid1(SALU_CYCLE_1)
	s_mul_i32 s7, s7, s3
	s_mul_hi_u32 s7, s3, s7
	s_delay_alu instid0(SALU_CYCLE_1) | instskip(SKIP_2) | instid1(SALU_CYCLE_1)
	s_add_co_i32 s3, s3, s7
	s_cmp_eq_u32 s24, 0
	s_cselect_b32 s4, s4, s6
	s_mul_hi_u32 s3, s4, s3
	s_delay_alu instid0(SALU_CYCLE_1) | instskip(SKIP_2) | instid1(SALU_CYCLE_1)
	s_mul_i32 s5, s3, s2
	s_add_co_i32 s6, s3, 1
	s_sub_co_i32 s5, s4, s5
	s_sub_co_i32 s7, s5, s2
	s_cmp_ge_u32 s5, s2
	s_cselect_b32 s3, s6, s3
	s_cselect_b32 s5, s7, s5
	s_add_co_i32 s6, s3, 1
	s_cmp_ge_u32 s5, s2
	s_cselect_b32 s28, s6, s3
	s_abs_i32 s2, s35
	s_abs_i32 s7, s23
	s_cvt_f32_u32 s3, s2
	s_sub_co_i32 s5, 0, s2
	s_lshl_b32 s4, s4, 1
	s_mul_i32 s6, s28, s23
	v_rcp_iflag_f32_e32 v1, s3
	s_sub_co_i32 s30, s4, s6
	s_xor_b32 s4, s23, s35
	s_delay_alu instid0(SALU_CYCLE_1) | instskip(SKIP_1) | instid1(TRANS32_DEP_1)
	s_ashr_i32 s25, s4, 31
	v_nop
	v_readfirstlane_b32 s3, v1
	s_mul_f32 s3, s3, 0x4f7ffffe
	s_delay_alu instid0(SALU_CYCLE_3) | instskip(NEXT) | instid1(SALU_CYCLE_3)
	s_cvt_u32_f32 s3, s3
	s_mul_i32 s5, s5, s3
	s_delay_alu instid0(SALU_CYCLE_1) | instskip(NEXT) | instid1(SALU_CYCLE_1)
	s_mul_hi_u32 s5, s3, s5
	s_add_co_i32 s3, s3, s5
	s_delay_alu instid0(SALU_CYCLE_1) | instskip(NEXT) | instid1(SALU_CYCLE_1)
	s_mul_hi_u32 s3, s7, s3
	s_mul_i32 s5, s3, s2
	s_delay_alu instid0(SALU_CYCLE_1)
	s_sub_co_i32 s4, s7, s5
	s_add_co_i32 s5, s3, 1
	s_sub_co_i32 s6, s4, s2
	s_cmp_ge_u32 s4, s2
	s_cselect_b32 s3, s5, s3
	s_cselect_b32 s4, s6, s4
	s_add_co_i32 s5, s3, 1
	s_cmp_ge_u32 s4, s2
	s_cselect_b32 s2, s5, s3
	s_load_b512 s[4:19], s[0:1], 0x0
	s_xor_b32 s2, s2, s25
	s_mov_b32 s3, 0
	s_sub_co_i32 s29, s2, s25
	s_delay_alu instid0(SALU_CYCLE_1) | instskip(NEXT) | instid1(SALU_CYCLE_1)
	s_abs_i32 s31, s29
	s_cvt_f32_u32 s2, s31
	s_delay_alu instid0(SALU_CYCLE_3) | instskip(SKIP_1) | instid1(TRANS32_DEP_1)
	v_rcp_iflag_f32_e32 v1, s2
	v_nop
	v_readfirstlane_b32 s2, v1
	s_wait_kmcnt 0x0
	s_cmp_eq_u64 s[10:11], 0
	s_cbranch_scc1 .LBB46_2
; %bb.1:
	s_abs_i32 s25, s38
	s_abs_i32 s33, s28
	s_cvt_f32_u32 s26, s25
	s_sub_co_i32 s27, 0, s25
	s_delay_alu instid0(SALU_CYCLE_2) | instskip(SKIP_1) | instid1(TRANS32_DEP_1)
	v_rcp_iflag_f32_e32 v1, s26
	v_nop
	v_readfirstlane_b32 s26, v1
	s_mul_f32 s26, s26, 0x4f7ffffe
	s_delay_alu instid0(SALU_CYCLE_3) | instskip(NEXT) | instid1(SALU_CYCLE_3)
	s_cvt_u32_f32 s26, s26
	s_mul_i32 s27, s27, s26
	s_delay_alu instid0(SALU_CYCLE_1) | instskip(NEXT) | instid1(SALU_CYCLE_1)
	s_mul_hi_u32 s27, s26, s27
	s_add_co_i32 s26, s26, s27
	s_delay_alu instid0(SALU_CYCLE_1) | instskip(SKIP_2) | instid1(SALU_CYCLE_1)
	s_mul_hi_u32 s35, s33, s26
	s_load_b64 s[26:27], s[0:1], 0xc8
	s_mul_i32 s35, s35, s25
	s_sub_co_i32 s33, s33, s35
	s_ashr_i32 s35, s28, 31
	s_sub_co_i32 s36, s33, s25
	s_cmp_ge_u32 s33, s25
	s_cselect_b32 s33, s36, s33
	s_delay_alu instid0(SALU_CYCLE_1) | instskip(SKIP_2) | instid1(SALU_CYCLE_1)
	s_sub_co_i32 s36, s33, s25
	s_cmp_ge_u32 s33, s25
	s_cselect_b32 s25, s36, s33
	s_xor_b32 s25, s25, s35
	s_delay_alu instid0(SALU_CYCLE_1) | instskip(NEXT) | instid1(SALU_CYCLE_1)
	s_sub_co_i32 s36, s25, s35
	s_ashr_i32 s37, s36, 31
	s_wait_kmcnt 0x0
	s_mul_u64 s[26:27], s[26:27], s[36:37]
	s_delay_alu instid0(SALU_CYCLE_1)
	s_add_nc_u64 s[36:37], s[10:11], s[26:27]
.LBB46_2:
	s_bfe_u32 s10, ttmp6, 0x4000c
	s_and_b32 s11, ttmp6, 15
	s_add_co_i32 s10, s10, 1
	v_bfe_u32 v1, v0, 10, 10
	s_mul_i32 s10, ttmp9, s10
	s_load_b96 s[40:42], s[0:1], 0x70
	s_add_co_i32 s11, s11, s10
	s_cmp_eq_u32 s24, 0
	v_and_b32_e32 v60, 0x3ff, v0
	s_cselect_b32 s10, ttmp9, s11
	v_lshl_add_u32 v62, v1, 8, 0x1200
	v_lshl_add_u32 v61, s10, 1, v1
	s_delay_alu instid0(VALU_DEP_3) | instskip(NEXT) | instid1(VALU_DEP_2)
	v_dual_mov_b32 v3, 0 :: v_dual_lshlrev_b32 v6, 3, v60
	v_mul_hi_u32 v2, s20, v61
	s_delay_alu instid0(VALU_DEP_2) | instskip(SKIP_3) | instid1(VALU_DEP_2)
	v_mov_b32_e32 v7, v3
	s_wait_kmcnt 0x0
	s_mul_i32 s20, s30, s41
	s_ashr_i32 s27, s41, 31
	v_add_nc_u32_e32 v2, v61, v2
	s_mov_b32 s26, s41
	s_ashr_i32 s41, s40, 31
	s_delay_alu instid0(SALU_CYCLE_1) | instskip(NEXT) | instid1(VALU_DEP_1)
	s_lshr_b64 s[40:41], s[40:41], 2
	v_lshrrev_b32_e32 v2, s21, v2
	s_ashr_i32 s21, s20, 31
	s_delay_alu instid0(VALU_DEP_1) | instskip(NEXT) | instid1(VALU_DEP_1)
	v_mul_lo_u32 v2, v2, s22
	v_sub_nc_u32_e32 v2, v61, v2
	s_delay_alu instid0(VALU_DEP_1) | instskip(SKIP_1) | instid1(SALU_CYCLE_1)
	v_mul_u64_e32 v[4:5], s[40:41], v[2:3]
	s_mul_i32 s40, s28, s42
	s_ashr_i32 s41, s40, 31
	s_delay_alu instid0(SALU_CYCLE_1) | instskip(NEXT) | instid1(SALU_CYCLE_1)
	s_add_nc_u64 s[4:5], s[4:5], s[40:41]
	s_add_nc_u64 s[4:5], s[4:5], s[20:21]
	s_delay_alu instid0(VALU_DEP_1) | instid1(SALU_CYCLE_1)
	v_lshl_add_u64 v[4:5], v[4:5], 2, s[4:5]
	s_and_b64 s[4:5], s[26:27], -4
	s_cmp_eq_u64 s[14:15], 0
	s_delay_alu instid0(VALU_DEP_1) | instskip(NEXT) | instid1(VALU_DEP_1)
	v_add_nc_u64_e32 v[4:5], v[4:5], v[6:7]
	v_add_nc_u64_e32 v[6:7], s[4:5], v[4:5]
	s_load_b32 s4, s[0:1], 0x40
	s_clause 0x1
	global_load_b64 v[8:9], v[4:5], off
	global_load_b64 v[10:11], v[6:7], off
	s_wait_xcnt 0x0
	v_lshl_add_u32 v6, v60, 2, v62
	s_wait_loadcnt 0x1
	s_wait_kmcnt 0x0
	v_fma_mixlo_f16 v0, s4, v9, 0
	v_fma_mixlo_f16 v3, s4, v8, 0
	s_wait_loadcnt 0x0
	v_fma_mixlo_f16 v4, s4, v11, 0
	v_fma_mixlo_f16 v5, s4, v10, 0
	s_delay_alu instid0(VALU_DEP_3) | instskip(NEXT) | instid1(VALU_DEP_3)
	v_and_b32_e32 v3, 0xffff, v3
	v_lshlrev_b32_e32 v4, 16, v4
	s_delay_alu instid0(VALU_DEP_3) | instskip(SKIP_1) | instid1(VALU_DEP_1)
	v_and_b32_e32 v5, 0xffff, v5
	v_lshlrev_b32_e32 v0, 16, v0
	v_or_b32_e32 v0, v0, v3
	s_delay_alu instid0(VALU_DEP_3)
	v_or_b32_e32 v3, v4, v5
	ds_store_2addr_b32 v6, v0, v3 offset1:32
	s_wait_dscnt 0x0
	s_barrier_signal -1
	s_barrier_wait -1
	s_cbranch_scc1 .LBB46_4
; %bb.3:
	s_load_b32 s4, s[0:1], 0xd0
	s_wait_kmcnt 0x0
	s_mul_i32 s4, s4, s28
	s_delay_alu instid0(SALU_CYCLE_1)
	s_add_co_i32 s4, s4, s10
	s_load_b32 s34, s[14:15], s4 offset:0x0 scale_offset
.LBB46_4:
	s_wait_xcnt 0x0
	s_bfe_u32 s4, ttmp6, 0x40010
	s_and_b32 s5, ttmp7, 0xffff
	s_add_co_i32 s4, s4, 1
	s_bfe_u32 s10, ttmp6, 0x40004
	s_mul_i32 s4, s5, s4
	v_mbcnt_lo_u32_b32 v63, -1, 0
	s_add_co_i32 s10, s10, s4
	s_cmp_eq_u32 s24, 0
	s_mov_b32 s4, 0
	s_cselect_b32 s5, s5, s10
	s_delay_alu instid0(SALU_CYCLE_1)
	s_lshl_b32 s10, s5, 5
	s_wait_kmcnt 0x0
	s_cmp_lt_i32 s10, s34
	s_cbranch_scc1 .LBB46_7
; %bb.5:
	v_mbcnt_lo_u32_b32 v0, -1, 0
	s_delay_alu instid0(VALU_DEP_1)
	v_dual_mov_b32 v64, 32 :: v_dual_bitop2_b32 v70, 16, v0 bitop3:0x14
	v_xor_b32_e32 v68, 8, v0
	v_xor_b32_e32 v67, 4, v0
	;; [unrolled: 1-line block ×4, first 2 shown]
	s_and_not1_b32 vcc_lo, exec_lo, s4
	s_cbranch_vccz .LBB46_8
; %bb.6:
	v_dual_mov_b32 v23, 0 :: v_dual_mov_b32 v43, 0
	v_mov_b32_e32 v17, 0xfeffffff
	v_dual_mov_b32 v42, 0 :: v_dual_lshlrev_b32 v3, 1, v60
	s_delay_alu instid0(VALU_DEP_2)
	v_dual_mov_b32 v22, v23 :: v_dual_mov_b32 v16, v17
	s_branch .LBB46_11
.LBB46_7:
                                        ; implicit-def: $vgpr0
                                        ; implicit-def: $vgpr64
                                        ; implicit-def: $vgpr70
                                        ; implicit-def: $vgpr68
                                        ; implicit-def: $vgpr67
                                        ; implicit-def: $vgpr66
                                        ; implicit-def: $vgpr65
.LBB46_8:
	s_clause 0x1
	s_load_b64 s[20:21], s[0:1], 0x8c
	s_load_b128 s[24:27], s[0:1], 0x98
	s_mul_f32 s2, s2, 0x4f7ffffe
	s_sub_co_i32 s4, 0, s31
	s_mov_b32 s15, s3
	s_load_b64 s[40:41], s[0:1], 0xa8
	s_cvt_u32_f32 s11, s2
	s_abs_i32 s2, s30
	s_ashr_i32 s33, s30, 31
	s_ashr_i32 s35, s29, 31
	s_mul_i32 s4, s4, s11
	s_ashr_i32 s29, s28, 31
	s_mul_hi_u32 s4, s11, s4
	v_dual_lshrrev_b32 v0, 3, v60 :: v_dual_lshlrev_b32 v69, 2, v60
	s_add_co_i32 s14, s11, s4
	s_ashr_i32 s4, s39, 1
	s_mul_u64 s[14:15], s[2:3], s[14:15]
	s_xor_b32 s11, s33, s35
	s_mul_i32 s3, s15, s31
	s_wait_kmcnt 0x0
	s_ashr_i32 s20, s20, 2
	s_sub_co_i32 s2, s2, s3
	s_ashr_i32 s14, s26, 2
	s_add_co_i32 s3, s15, 1
	s_sub_co_i32 s26, s2, s31
	s_cmp_ge_u32 s2, s31
	v_lshl_add_u32 v3, v1, 2, v0
	s_cselect_b32 s15, s3, s15
	s_cselect_b32 s2, s26, s2
	s_add_co_i32 s26, s15, 1
	s_cmp_ge_u32 s2, s31
	s_mul_u64 s[2:3], s[24:25], s[28:29]
	s_cselect_b32 s15, s26, s15
	v_mul_lo_u32 v24, s14, v3
	s_xor_b32 s15, s15, s11
	s_add_nc_u64 s[2:3], s[6:7], s[2:3]
	s_sub_co_i32 s11, s15, s11
	s_mul_u64 s[24:25], s[40:41], s[28:29]
	s_mul_i32 s6, s11, s21
	v_mul_lo_u32 v18, s20, v3
	s_ashr_i32 s7, s6, 31
	v_mad_u32 v77, v2, s4, v60
	s_add_nc_u64 s[6:7], s[2:3], s[6:7]
	s_add_nc_u64 s[2:3], s[8:9], s[24:25]
	s_mul_i32 s8, s11, s27
	s_lshl_b32 s11, s20, 3
	s_ashr_i32 s9, s8, 31
	v_and_b32_e32 v0, 28, v69
	s_add_nc_u64 s[8:9], s[2:3], s[8:9]
	s_lshl_b32 s2, s14, 3
	s_delay_alu instid0(SALU_CYCLE_1) | instskip(SKIP_2) | instid1(VALU_DEP_3)
	v_dual_add_nc_u32 v20, s11, v18 :: v_dual_add_nc_u32 v32, s2, v24
	v_ashrrev_i32_e32 v25, 31, v24
	v_dual_mov_b32 v27, 0 :: v_dual_lshlrev_b32 v4, 2, v0
	v_dual_add_nc_u32 v28, s11, v20 :: v_dual_ashrrev_i32 v19, 31, v18
	s_delay_alu instid0(VALU_DEP_4) | instskip(NEXT) | instid1(VALU_DEP_3)
	v_dual_add_nc_u32 v34, s2, v32 :: v_dual_ashrrev_i32 v33, 31, v32
	v_mad_u32_u24 v71, 0x90, v3, v4
	s_delay_alu instid0(VALU_DEP_3) | instskip(NEXT) | instid1(VALU_DEP_3)
	v_dual_add_nc_u32 v30, s11, v28 :: v_dual_ashrrev_i32 v29, 31, v28
	v_dual_add_nc_u32 v36, s2, v34 :: v_dual_ashrrev_i32 v35, 31, v34
	v_lshl_or_b32 v76, v3, 7, v4
	v_lshl_add_u32 v78, v1, 7, 0x1400
	s_delay_alu instid0(VALU_DEP_3) | instskip(SKIP_3) | instid1(VALU_DEP_4)
	v_dual_mov_b32 v16, 0xfeffffff :: v_dual_ashrrev_i32 v37, 31, v36
	v_dual_mov_b32 v43, v27 :: v_dual_add_nc_u32 v72, 0x480, v71
	v_dual_ashrrev_i32 v21, 31, v20 :: v_dual_ashrrev_i32 v31, 31, v30
	v_dual_mov_b32 v64, 32 :: v_dual_add_nc_u32 v73, 0x900, v71
	v_dual_mov_b32 v17, v16 :: v_dual_add_nc_u32 v74, 0xd80, v71
	v_mul_u32_u24_e32 v75, 0x90, v60
	v_dual_mov_b32 v42, v27 :: v_dual_add_nc_u32 v79, 0x400, v76
	v_dual_mov_b32 v23, v27 :: v_dual_add_nc_u32 v80, 0x800, v76
	;; [unrolled: 1-line block ×3, first 2 shown]
	v_dual_lshlrev_b32 v26, 2, v0 :: v_dual_bitop2_b32 v70, 16, v63 bitop3:0x14
	v_dual_add_nc_u32 v82, v78, v69 :: v_dual_bitop2_b32 v68, 8, v63 bitop3:0x14
	v_xor_b32_e32 v67, 4, v63
	v_xor_b32_e32 v66, 2, v63
	;; [unrolled: 1-line block ×3, first 2 shown]
	v_add_nc_u32_e32 v83, 0x400, v69
	v_add_nc_u32_e32 v84, 0x800, v69
	v_add_nc_u32_e32 v85, 0xc00, v69
	s_ashr_i32 s21, s20, 31
	s_ashr_i32 s15, s14, 31
	s_add_nc_u64 s[24:25], s[0:1], 0xd0
.LBB46_9:                               ; =>This Inner Loop Header: Depth=1
	s_ashr_i32 s11, s10, 31
	v_dual_mov_b32 v49, 0 :: v_dual_mov_b32 v48, 0
	s_mul_u64 s[2:3], s[10:11], s[20:21]
	v_dual_mov_b32 v41, v16 :: v_dual_add_nc_u32 v38, s10, v77
	s_lshl_b64 s[2:3], s[2:3], 2
	v_cmp_gt_i32_e32 vcc_lo, 32, v70
	s_add_nc_u64 s[2:3], s[6:7], s[2:3]
	s_delay_alu instid0(SALU_CYCLE_1)
	v_lshl_add_u64 v[0:1], v[18:19], 2, s[2:3]
	v_lshl_add_u64 v[2:3], v[20:21], 2, s[2:3]
	;; [unrolled: 1-line block ×4, first 2 shown]
	s_mul_u64 s[2:3], s[10:11], s[14:15]
	v_add_nc_u64_e32 v[0:1], v[0:1], v[26:27]
	v_add_nc_u64_e32 v[8:9], v[2:3], v[26:27]
	;; [unrolled: 1-line block ×4, first 2 shown]
	s_lshl_b64 s[2:3], s[2:3], 2
	s_clause 0x3
	global_load_b128 v[0:3], v[0:1], off
	global_load_b128 v[4:7], v[8:9], off
	global_load_b128 v[8:11], v[10:11], off
	global_load_b128 v[12:15], v[12:13], off
	s_add_nc_u64 s[2:3], s[8:9], s[2:3]
	s_wait_loadcnt 0x3
	ds_store_b128 v71, v[0:3]
	s_wait_loadcnt 0x2
	ds_store_b128 v72, v[4:7]
	;; [unrolled: 2-line block ×4, first 2 shown]
	s_wait_dscnt 0x0
	s_barrier_signal -1
	s_barrier_wait -1
	ds_load_b128 v[0:3], v75
	ds_load_b128 v[4:7], v62
	ds_load_b128 v[8:11], v62 offset:128
	s_wait_dscnt 0x1
	;;#ASMSTART
	v_dot2_f32_f16 v49, v0, v4, v49
	;;#ASMEND
	;;#ASMSTART
	v_dot2_f32_f16 v49, v1, v5, v49
	;;#ASMEND
	;;#ASMSTART
	v_dot2_f32_f16 v49, v2, v6, v49
	;;#ASMEND
	;;#ASMSTART
	v_dot2_f32_f16 v49, v3, v7, v49
	;;#ASMEND
	s_wait_dscnt 0x0
	;;#ASMSTART
	v_dot2_f32_f16 v48, v0, v8, v48
	;;#ASMEND
	;;#ASMSTART
	v_dot2_f32_f16 v48, v1, v9, v48
	;;#ASMEND
	;;#ASMSTART
	v_dot2_f32_f16 v48, v2, v10, v48
	;;#ASMEND
	;;#ASMSTART
	v_dot2_f32_f16 v48, v3, v11, v48
	;;#ASMEND
	ds_load_b128 v[0:3], v75 offset:16
	ds_load_b128 v[4:7], v62 offset:16
	ds_load_b128 v[8:11], v62 offset:144
	s_wait_dscnt 0x1
	;;#ASMSTART
	v_dot2_f32_f16 v49, v0, v4, v49
	;;#ASMEND
	;;#ASMSTART
	v_dot2_f32_f16 v49, v1, v5, v49
	;;#ASMEND
	;;#ASMSTART
	v_dot2_f32_f16 v49, v2, v6, v49
	;;#ASMEND
	;;#ASMSTART
	v_dot2_f32_f16 v49, v3, v7, v49
	;;#ASMEND
	s_wait_dscnt 0x0
	;;#ASMSTART
	v_dot2_f32_f16 v48, v0, v8, v48
	;;#ASMEND
	;;#ASMSTART
	v_dot2_f32_f16 v48, v1, v9, v48
	;;#ASMEND
	;;#ASMSTART
	v_dot2_f32_f16 v48, v2, v10, v48
	;;#ASMEND
	;;#ASMSTART
	v_dot2_f32_f16 v48, v3, v11, v48
	;;#ASMEND
	ds_load_b128 v[0:3], v75 offset:32
	ds_load_b128 v[4:7], v62 offset:32
	;; [unrolled: 29-line block ×7, first 2 shown]
	ds_load_b128 v[8:11], v62 offset:240
	s_wait_dscnt 0x1
	;;#ASMSTART
	v_dot2_f32_f16 v49, v0, v4, v49
	;;#ASMEND
	;;#ASMSTART
	v_dot2_f32_f16 v49, v1, v5, v49
	;;#ASMEND
	;; [unrolled: 3-line block ×4, first 2 shown]
	s_wait_dscnt 0x0
	;;#ASMSTART
	v_dot2_f32_f16 v48, v0, v8, v48
	;;#ASMEND
	;;#ASMSTART
	v_dot2_f32_f16 v48, v1, v9, v48
	;;#ASMEND
	;; [unrolled: 3-line block ×4, first 2 shown]
	global_load_u16 v39, v38, s[36:37] scale_offset
	s_wait_xcnt 0x0
	v_dual_mov_b32 v38, v17 :: v_dual_cndmask_b32 v0, v63, v70, vcc_lo
	v_cmp_gt_i32_e32 vcc_lo, 32, v68
	v_max_num_f32_e32 v16, v41, v41
	v_lshl_add_u64 v[6:7], v[36:37], 2, s[2:3]
	s_delay_alu instid0(VALU_DEP_4)
	v_max_num_f32_e32 v17, v38, v38
	s_wait_loadcnt 0x0
	v_cndmask_b32_e32 v1, v63, v68, vcc_lo
	v_cmp_gt_i32_e32 vcc_lo, 32, v67
	v_add_nc_u64_e32 v[12:13], v[6:7], v[26:27]
	s_barrier_signal -1
	s_barrier_wait -1
	v_cndmask_b32_e32 v2, v63, v67, vcc_lo
	v_cmp_gt_i32_e32 vcc_lo, 32, v66
	v_dual_lshlrev_b32 v40, 2, v0 :: v_dual_lshlrev_b32 v44, 2, v1
	v_lshl_add_u64 v[0:1], v[24:25], 2, s[2:3]
	v_cndmask_b32_e32 v3, v63, v66, vcc_lo
	v_cmp_gt_i32_e32 vcc_lo, 32, v65
	s_delay_alu instid0(VALU_DEP_3) | instskip(SKIP_1) | instid1(VALU_DEP_4)
	v_add_nc_u64_e32 v[0:1], v[0:1], v[26:27]
	v_dual_cndmask_b32 v4, v63, v65 :: v_dual_lshlrev_b32 v45, 2, v2
	v_lshlrev_b32_e32 v46, 2, v3
	v_lshl_add_u64 v[2:3], v[32:33], 2, s[2:3]
	s_delay_alu instid0(VALU_DEP_1) | instskip(SKIP_3) | instid1(VALU_DEP_3)
	v_add_nc_u64_e32 v[8:9], v[2:3], v[26:27]
	v_cvt_f32_f16_e32 v39, v39
	v_lshlrev_b32_e32 v47, 2, v4
	v_lshl_add_u64 v[4:5], v[34:35], 2, s[2:3]
	v_dual_add_f32 v48, v48, v39 :: v_dual_add_f32 v39, v49, v39
	s_delay_alu instid0(VALU_DEP_2)
	v_add_nc_u64_e32 v[10:11], v[4:5], v[26:27]
	s_clause 0x3
	global_load_b128 v[0:3], v[0:1], off
	global_load_b128 v[4:7], v[8:9], off
	;; [unrolled: 1-line block ×4, first 2 shown]
	v_dual_add_f32 v49, 0x40051340, v48 :: v_dual_add_f32 v50, 0x40051340, v39
	s_delay_alu instid0(VALU_DEP_1) | instskip(SKIP_4) | instid1(VALU_DEP_1)
	v_dual_max_num_f32 v17, v17, v49 :: v_dual_max_num_f32 v16, v16, v50
	ds_bpermute_b32 v49, v40, v17
	ds_bpermute_b32 v40, v40, v16
	s_wait_dscnt 0x0
	v_dual_max_num_f32 v40, v40, v40 :: v_dual_max_num_f32 v49, v49, v49
	v_dual_max_num_f32 v16, v16, v40 :: v_dual_max_num_f32 v17, v17, v49
	ds_bpermute_b32 v40, v44, v17
	ds_bpermute_b32 v44, v44, v16
	s_wait_dscnt 0x1
	v_max_num_f32_e32 v40, v40, v40
	s_delay_alu instid0(VALU_DEP_1) | instskip(SKIP_3) | instid1(VALU_DEP_1)
	v_max_num_f32_e32 v17, v17, v40
	ds_bpermute_b32 v40, v45, v17
	s_wait_dscnt 0x0
	v_max_num_f32_e32 v40, v40, v40
	v_max_num_f32_e32 v17, v17, v40
	ds_bpermute_b32 v40, v46, v17
	s_wait_dscnt 0x0
	v_max_num_f32_e32 v40, v40, v40
	s_delay_alu instid0(VALU_DEP_1) | instskip(SKIP_3) | instid1(VALU_DEP_1)
	v_max_num_f32_e32 v17, v17, v40
	ds_bpermute_b32 v40, v47, v17
	s_wait_dscnt 0x0
	v_max_num_f32_e32 v40, v40, v40
	v_max_num_f32_e32 v17, v17, v40
	s_delay_alu instid0(VALU_DEP_1) | instskip(NEXT) | instid1(VALU_DEP_1)
	v_dual_max_num_f32 v44, v44, v44 :: v_dual_sub_f32 v38, v38, v17
	v_max_num_f32_e32 v16, v16, v44
	s_delay_alu instid0(VALU_DEP_2) | instskip(SKIP_3) | instid1(VALU_DEP_1)
	v_cmp_ngt_f32_e64 s3, 0xc2ce8ed0, v38
	ds_bpermute_b32 v44, v45, v16
	s_wait_dscnt 0x0
	v_max_num_f32_e32 v44, v44, v44
	v_max_num_f32_e32 v16, v16, v44
	ds_bpermute_b32 v44, v46, v16
	s_wait_dscnt 0x0
	v_max_num_f32_e32 v44, v44, v44
	s_delay_alu instid0(VALU_DEP_1) | instskip(SKIP_2) | instid1(VALU_DEP_1)
	v_max_num_f32_e32 v16, v16, v44
	ds_bpermute_b32 v44, v47, v16
	v_mul_f32_e32 v47, 0x3fb8aa3b, v38
	v_rndne_f32_e32 v55, v47
	v_fma_f32 v54, 0x3fb8aa3b, v38, -v47
	s_delay_alu instid0(VALU_DEP_1) | instskip(SKIP_2) | instid1(VALU_DEP_2)
	v_dual_sub_f32 v47, v47, v55 :: v_dual_fmac_f32 v54, 0x32a5705f, v38
	v_cvt_i32_f32_e32 v55, v55
	s_wait_dscnt 0x0
	v_dual_add_f32 v47, v47, v54 :: v_dual_max_num_f32 v44, v44, v44
	s_delay_alu instid0(VALU_DEP_1) | instskip(NEXT) | instid1(VALU_DEP_1)
	v_exp_f32_e32 v47, v47
	v_max_num_f32_e32 v16, v16, v44
	v_sub_f32_e32 v40, v48, v17
	s_delay_alu instid0(TRANS32_DEP_1) | instskip(NEXT) | instid1(VALU_DEP_3)
	v_ldexp_f32 v47, v47, v55
	v_sub_f32_e32 v39, v39, v16
	s_delay_alu instid0(VALU_DEP_3) | instskip(SKIP_1) | instid1(VALU_DEP_3)
	v_mul_f32_e32 v44, 0x3fb8aa3b, v40
	v_cmp_ngt_f32_e64 s4, 0xc2ce8ed0, v40
	v_mul_f32_e32 v45, 0x3fb8aa3b, v39
	s_delay_alu instid0(VALU_DEP_3) | instskip(SKIP_2) | instid1(VALU_DEP_4)
	v_fma_f32 v48, 0x3fb8aa3b, v40, -v44
	v_rndne_f32_e32 v51, v44
	v_cmp_ngt_f32_e32 vcc_lo, 0xc2ce8ed0, v39
	v_fma_f32 v49, 0x3fb8aa3b, v39, -v45
	v_rndne_f32_e32 v50, v45
	v_fmac_f32_e32 v48, 0x32a5705f, v40
	v_sub_f32_e32 v44, v44, v51
	v_cvt_i32_f32_e32 v51, v51
	v_fmac_f32_e32 v49, 0x32a5705f, v39
	v_sub_f32_e32 v45, v45, v50
	v_cvt_i32_f32_e32 v50, v50
	s_delay_alu instid0(VALU_DEP_2) | instskip(SKIP_1) | instid1(VALU_DEP_2)
	v_add_f32_e32 v45, v45, v49
	v_sub_f32_e32 v41, v41, v16
	v_exp_f32_e32 v45, v45
	s_delay_alu instid0(VALU_DEP_1) | instskip(SKIP_1) | instid1(VALU_DEP_2)
	v_mul_f32_e32 v46, 0x3fb8aa3b, v41
	v_cmp_ngt_f32_e64 s2, 0xc2ce8ed0, v41
	v_fma_f32 v52, 0x3fb8aa3b, v41, -v46
	s_delay_alu instid0(TRANS32_DEP_1) | instskip(SKIP_2) | instid1(VALU_DEP_4)
	v_ldexp_f32 v45, v45, v50
	v_add_f32_e32 v44, v44, v48
	v_rndne_f32_e32 v53, v46
	v_fmac_f32_e32 v52, 0x32a5705f, v41
	s_delay_alu instid0(VALU_DEP_3) | instskip(NEXT) | instid1(VALU_DEP_2)
	v_exp_f32_e32 v44, v44
	v_sub_f32_e32 v46, v46, v53
	v_cvt_i32_f32_e32 v53, v53
	s_delay_alu instid0(VALU_DEP_2) | instskip(NEXT) | instid1(TRANS32_DEP_1)
	v_add_f32_e32 v46, v46, v52
	v_ldexp_f32 v44, v44, v51
	s_delay_alu instid0(VALU_DEP_1)
	v_cndmask_b32_e64 v44, 0, v44, s4
	v_cmp_nlt_f32_e64 s4, 0x42b17218, v40
	v_cndmask_b32_e32 v40, 0, v45, vcc_lo
	v_cmp_nlt_f32_e32 vcc_lo, 0x42b17218, v41
	v_cndmask_b32_e64 v41, 0, v47, s3
	v_exp_f32_e32 v46, v46
	v_cmp_nlt_f32_e64 s3, 0x42b17218, v39
	s_delay_alu instid0(TRANS32_DEP_1) | instskip(NEXT) | instid1(VALU_DEP_1)
	v_ldexp_f32 v46, v46, v53
	v_cndmask_b32_e64 v45, 0, v46, s2
	v_cmp_nlt_f32_e64 s2, 0x42b17218, v38
	s_delay_alu instid0(VALU_DEP_4) | instskip(SKIP_1) | instid1(VALU_DEP_3)
	v_cndmask_b32_e64 v38, 0x7f800000, v40, s3
	v_cndmask_b32_e64 v39, 0x7f800000, v44, s4
	;; [unrolled: 1-line block ×3, first 2 shown]
	s_delay_alu instid0(VALU_DEP_2)
	v_cvt_pk_f16_f32 v44, v38, v39
	ds_store_b32 v82, v44
	s_wait_loadcnt 0x3
	ds_store_b128 v76, v[0:3]
	s_wait_loadcnt 0x2
	ds_store_b128 v79, v[4:7]
	;; [unrolled: 2-line block ×4, first 2 shown]
	s_wait_dscnt 0x0
	s_barrier_signal -1
	s_barrier_wait -1
	ds_load_b128 v[4:7], v78
	ds_load_b128 v[8:11], v78 offset:16
	ds_load_b128 v[12:15], v78 offset:32
	ds_load_b128 v[48:51], v78 offset:48
	ds_load_b128 v[52:55], v78 offset:64
	ds_load_b128 v[0:3], v78 offset:80
	ds_load_2addr_b32 v[56:57], v69 offset1:32
	v_cndmask_b32_e32 v40, 0x7f800000, v45, vcc_lo
	v_cvt_f16_f32_e32 v46, v41
	s_delay_alu instid0(VALU_DEP_2) | instskip(NEXT) | instid1(VALU_DEP_2)
	v_cvt_f16_f32_e32 v45, v40
	v_and_b32_e32 v59, 0xffff, v46
	s_delay_alu instid0(VALU_DEP_2)
	v_and_b32_e32 v58, 0xffff, v45
	ds_load_2addr_b32 v[46:47], v69 offset0:64 offset1:96
	ds_load_2addr_b32 v[44:45], v69 offset0:128 offset1:160
	s_wait_dscnt 0x8
	v_dual_lshrrev_b32 v92, 16, v4 :: v_dual_lshrrev_b32 v94, 16, v6
	v_and_b32_e32 v4, 0xffff, v4
	v_and_b32_e32 v95, 0xffff, v6
	s_wait_dscnt 0x7
	v_dual_lshrrev_b32 v96, 16, v7 :: v_dual_lshrrev_b32 v98, 16, v8
	v_and_b32_e32 v97, 0xffff, v7
	v_mul_u32_u24_e32 v4, 0x10001, v4
	v_mul_u32_u24_e32 v6, 0x10001, v58
	;; [unrolled: 1-line block ×3, first 2 shown]
	v_lshrrev_b32_e32 v93, 16, v5
	v_and_b32_e32 v5, 0xffff, v5
	s_wait_dscnt 0x2
	v_pk_mul_f16 v4, v56, v4
	v_dual_lshrrev_b32 v104, 16, v11 :: v_dual_lshrrev_b32 v106, 16, v12
	v_pk_mul_f16 v7, v56, v7
	v_and_b32_e32 v107, 0xffff, v12
	s_delay_alu instid0(VALU_DEP_4) | instskip(SKIP_4) | instid1(VALU_DEP_4)
	v_pk_fma_f16 v4, v43, v6, v4
	v_mul_u32_u24_e32 v6, 0x10001, v59
	v_dual_lshrrev_b32 v108, 16, v13 :: v_dual_lshrrev_b32 v110, 16, v14
	v_and_b32_e32 v111, 0xffff, v14
	v_mul_u32_u24_e32 v5, 0x10001, v5
	v_pk_fma_f16 v12, v42, v6, v7
	v_mul_u32_u24_e32 v14, 0x10001, v93
	v_and_b32_e32 v109, 0xffff, v13
	v_dual_lshrrev_b32 v112, 16, v15 :: v_dual_lshrrev_b32 v114, 16, v48
	v_pk_fma_f16 v13, v57, v5, v4
	s_delay_alu instid0(VALU_DEP_4)
	v_pk_fma_f16 v42, v57, v14, v12
	v_mul_u32_u24_e32 v12, 0x10001, v95
	v_and_b32_e32 v115, 0xffff, v48
	v_dual_lshrrev_b32 v116, 16, v49 :: v_dual_lshrrev_b32 v118, 16, v50
	v_and_b32_e32 v117, 0xffff, v49
	s_wait_dscnt 0x1
	v_pk_fma_f16 v43, v46, v12, v13
	v_mul_u32_u24_e32 v48, 0x10001, v94
	v_mul_u32_u24_e32 v49, 0x10001, v97
	v_and_b32_e32 v99, 0xffff, v8
	v_and_b32_e32 v101, 0xffff, v9
	;; [unrolled: 1-line block ×3, first 2 shown]
	v_pk_fma_f16 v46, v46, v48, v42
	v_pk_fma_f16 v48, v47, v49, v43
	v_mul_u32_u24_e32 v49, 0x10001, v96
	v_dual_lshrrev_b32 v90, 16, v53 :: v_dual_lshrrev_b32 v88, 16, v54
	v_and_b32_e32 v89, 0xffff, v54
	v_lshrrev_b32_e32 v86, 16, v55
	v_and_b32_e32 v87, 0xffff, v55
	ds_load_2addr_b32 v[54:55], v69 offset0:192 offset1:224
	v_pk_fma_f16 v50, v47, v49, v46
	v_mul_u32_u24_e32 v49, 0x10001, v99
	v_dual_lshrrev_b32 v100, 16, v9 :: v_dual_lshrrev_b32 v102, 16, v10
	v_dual_lshrrev_b32 v120, 16, v51 :: v_dual_lshrrev_b32 v122, 16, v52
	v_and_b32_e32 v121, 0xffff, v51
	v_and_b32_e32 v123, 0xffff, v52
	;; [unrolled: 1-line block ×3, first 2 shown]
	s_wait_dscnt 0x1
	v_pk_fma_f16 v51, v44, v49, v48
	v_mul_u32_u24_e32 v52, 0x10001, v98
	v_mul_u32_u24_e32 v53, 0x10001, v101
	v_and_b32_e32 v103, 0xffff, v10
	v_and_b32_e32 v105, 0xffff, v11
	;; [unrolled: 1-line block ×3, first 2 shown]
	v_pk_fma_f16 v44, v44, v52, v50
	v_pk_fma_f16 v52, v45, v53, v51
	v_mul_u32_u24_e32 v53, 0x10001, v100
	ds_load_2addr_b32 v[14:15], v83 offset1:32
	v_mul_u32_u24_e32 v58, 0x10001, v102
	v_mul_u32_u24_e32 v59, 0x10001, v105
	ds_load_2addr_b32 v[12:13], v83 offset0:64 offset1:96
	v_pk_fma_f16 v56, v45, v53, v44
	v_mul_u32_u24_e32 v53, 0x10001, v103
	v_mul_u32_u24_e32 v94, 0x10001, v106
	;; [unrolled: 1-line block ×3, first 2 shown]
	ds_load_2addr_b32 v[42:43], v83 offset0:128 offset1:160
	v_mul_u32_u24_e32 v96, 0x10001, v111
	s_wait_dscnt 0x3
	v_pk_fma_f16 v57, v54, v53, v52
	v_pk_fma_f16 v54, v54, v58, v56
	ds_load_2addr_b32 v[46:47], v83 offset0:192 offset1:224
	v_mul_u32_u24_e32 v97, 0x10001, v112
	v_mul_u32_u24_e32 v98, 0x10001, v114
	v_pk_fma_f16 v58, v55, v59, v57
	v_mul_u32_u24_e32 v59, 0x10001, v104
	ds_load_2addr_b32 v[48:49], v84 offset1:32
	v_mul_u32_u24_e32 v99, 0x10001, v116
	ds_load_2addr_b32 v[50:51], v84 offset0:64 offset1:96
	ds_load_2addr_b32 v[44:45], v84 offset0:128 offset1:160
	v_pk_fma_f16 v92, v55, v59, v54
	v_mul_u32_u24_e32 v59, 0x10001, v107
	v_mul_u32_u24_e32 v91, 0x10001, v91
	v_mul_u32_u24_e32 v90, 0x10001, v90
	ds_load_b128 v[8:11], v78 offset:96
	ds_load_b128 v[4:7], v78 offset:112
	s_wait_dscnt 0x8
	v_pk_fma_f16 v93, v14, v59, v58
	v_pk_fma_f16 v14, v14, v94, v92
	ds_load_2addr_b32 v[52:53], v84 offset0:192 offset1:224
	v_mul_u32_u24_e32 v87, 0x10001, v87
	ds_load_2addr_b32 v[56:57], v85 offset1:32
	v_pk_fma_f16 v94, v15, v95, v93
	v_mul_u32_u24_e32 v95, 0x10001, v108
	ds_load_2addr_b32 v[54:55], v85 offset0:64 offset1:96
	ds_load_2addr_b32 v[58:59], v85 offset0:128 offset1:160
	ds_load_2addr_b32 v[92:93], v85 offset0:192 offset1:224
	s_wait_dscnt 0xc
	v_pk_fma_f16 v94, v12, v96, v94
	v_pk_fma_f16 v14, v15, v95, v14
	v_mul_u32_u24_e32 v96, 0x10001, v110
	v_lshrrev_b32_e32 v15, 16, v0
	v_and_b32_e32 v0, 0xffff, v0
	v_lshrrev_b32_e32 v95, 16, v1
	v_and_b32_e32 v1, 0xffff, v1
	v_pk_fma_f16 v12, v12, v96, v14
	v_mul_u32_u24_e32 v96, 0x10001, v113
	v_lshrrev_b32_e32 v14, 16, v2
	v_mul_u32_u24_e32 v86, 0x10001, v86
	v_mul_u32_u24_e32 v0, 0x10001, v0
	v_pk_fma_f16 v12, v13, v97, v12
	v_pk_fma_f16 v94, v13, v96, v94
	v_mul_u32_u24_e32 v96, 0x10001, v115
	v_mul_u32_u24_e32 v97, 0x10001, v117
	;; [unrolled: 1-line block ×3, first 2 shown]
	s_wait_dscnt 0xb
	v_pk_fma_f16 v12, v42, v98, v12
	v_mul_u32_u24_e32 v98, 0x10001, v120
	v_pk_fma_f16 v94, v42, v96, v94
	v_mul_u32_u24_e32 v42, 0x10001, v119
	v_mul_u32_u24_e32 v96, 0x10001, v118
	v_pk_fma_f16 v12, v43, v99, v12
	v_and_b32_e32 v2, 0xffff, v2
	v_pk_fma_f16 v94, v43, v97, v94
	v_mul_u32_u24_e32 v97, 0x10001, v121
	v_mul_u32_u24_e32 v1, 0x10001, v1
	s_wait_dscnt 0xa
	v_pk_fma_f16 v12, v46, v96, v12
	v_lshrrev_b32_e32 v13, 16, v3
	v_pk_fma_f16 v42, v46, v42, v94
	v_mul_u32_u24_e32 v46, 0x10001, v123
	v_mul_u32_u24_e32 v94, 0x10001, v122
	v_pk_fma_f16 v12, v47, v98, v12
	v_and_b32_e32 v3, 0xffff, v3
	v_pk_fma_f16 v42, v47, v97, v42
	v_mul_u32_u24_e32 v2, 0x10001, v2
	v_mul_u32_u24_e32 v14, 0x10001, v14
	s_wait_dscnt 0x9
	v_pk_fma_f16 v12, v48, v94, v12
	s_wait_dscnt 0x6
	v_dual_lshrrev_b32 v43, 16, v8 :: v_dual_lshrrev_b32 v47, 16, v9
	v_pk_fma_f16 v42, v48, v46, v42
	v_mul_u32_u24_e32 v46, 0x10001, v89
	v_mul_u32_u24_e32 v48, 0x10001, v88
	v_pk_fma_f16 v12, v49, v90, v12
	v_and_b32_e32 v8, 0xffff, v8
	v_pk_fma_f16 v42, v49, v91, v42
	v_mul_u32_u24_e32 v3, 0x10001, v3
	v_mul_u32_u24_e32 v13, 0x10001, v13
	v_pk_fma_f16 v12, v50, v48, v12
	v_mul_u32_u24_e32 v48, 0x10001, v95
	v_pk_fma_f16 v42, v50, v46, v42
	v_and_b32_e32 v9, 0xffff, v9
	v_dual_lshrrev_b32 v49, 16, v10 :: v_dual_lshrrev_b32 v46, 16, v11
	v_pk_fma_f16 v12, v51, v86, v12
	s_delay_alu instid0(VALU_DEP_4)
	v_pk_fma_f16 v42, v51, v87, v42
	v_and_b32_e32 v10, 0xffff, v10
	v_mul_u32_u24_e32 v9, 0x10001, v9
	v_and_b32_e32 v11, 0xffff, v11
	v_pk_fma_f16 v12, v44, v15, v12
	v_pk_fma_f16 v0, v44, v0, v42
	s_wait_dscnt 0x0
	s_barrier_signal -1
	s_barrier_wait -1
	s_delay_alu instid0(VALU_DEP_1)
	v_pk_fma_f16 v0, v45, v1, v0
	v_pk_fma_f16 v1, v45, v48, v12
	v_lshrrev_b32_e32 v12, 16, v4
	s_load_b32 s2, s[24:25], 0x4
	v_pk_fma_f32 v[22:23], v[22:23], v[40:41], v[38:39]
	v_pk_fma_f16 v0, v52, v2, v0
	v_pk_fma_f16 v1, v52, v14, v1
	v_and_b32_e32 v2, 0xffff, v4
	v_mul_u32_u24_e32 v4, 0x10001, v8
	v_mul_u32_u24_e32 v8, 0x10001, v43
	v_pk_fma_f16 v0, v53, v3, v0
	v_pk_fma_f16 v1, v53, v13, v1
	v_mul_u32_u24_e32 v13, 0x10001, v47
	v_lshrrev_b32_e32 v3, 16, v5
	v_mul_u32_u24_e32 v2, 0x10001, v2
	v_pk_fma_f16 v0, v56, v4, v0
	v_pk_fma_f16 v1, v56, v8, v1
	v_and_b32_e32 v4, 0xffff, v5
	v_mul_u32_u24_e32 v5, 0x10001, v10
	v_mul_u32_u24_e32 v8, 0x10001, v49
	v_pk_fma_f16 v0, v57, v9, v0
	v_pk_fma_f16 v1, v57, v13, v1
	v_mul_u32_u24_e32 v10, 0x10001, v11
	v_mul_u32_u24_e32 v11, 0x10001, v46
	v_lshrrev_b32_e32 v9, 16, v6
	v_pk_fma_f16 v0, v54, v5, v0
	v_pk_fma_f16 v1, v54, v8, v1
	v_and_b32_e32 v5, 0xffff, v6
	v_mul_u32_u24_e32 v6, 0x10001, v12
	v_mul_u32_u24_e32 v4, 0x10001, v4
	v_pk_fma_f16 v0, v55, v10, v0
	v_pk_fma_f16 v1, v55, v11, v1
	v_mul_u32_u24_e32 v3, 0x10001, v3
	v_lshrrev_b32_e32 v8, 16, v7
	v_mul_u32_u24_e32 v5, 0x10001, v5
	v_pk_fma_f16 v0, v58, v2, v0
	v_pk_fma_f16 v1, v58, v6, v1
	v_and_b32_e32 v2, 0xffff, v7
	v_mul_u32_u24_e32 v6, 0x10001, v9
	s_wait_kmcnt 0x0
	s_lshl_b32 s2, s2, 5
	v_pk_fma_f16 v0, v59, v4, v0
	v_pk_fma_f16 v1, v59, v3, v1
	v_mul_u32_u24_e32 v2, 0x10001, v2
	v_mul_u32_u24_e32 v3, 0x10001, v8
	s_add_co_i32 s10, s2, s10
	v_pk_fma_f16 v0, v92, v5, v0
	v_pk_fma_f16 v1, v92, v6, v1
	s_cmp_ge_i32 s10, s34
	s_delay_alu instid0(VALU_DEP_2) | instskip(NEXT) | instid1(VALU_DEP_2)
	v_pk_fma_f16 v43, v93, v2, v0
	v_pk_fma_f16 v42, v93, v3, v1
	s_cbranch_scc0 .LBB46_9
; %bb.10:
	v_dual_mov_b32 v0, v63 :: v_dual_lshlrev_b32 v3, 1, v60
.LBB46_11:
	v_cmp_lt_i32_e32 vcc_lo, v70, v64
	s_cmp_lg_u64 s[12:13], 0
	s_cselect_b32 s2, -1, 0
	s_cmp_eq_u32 s5, 0
	v_cndmask_b32_e32 v1, v0, v70, vcc_lo
	v_cmp_lt_i32_e32 vcc_lo, v68, v64
	s_cselect_b32 s3, -1, 0
	s_delay_alu instid0(SALU_CYCLE_1) | instskip(NEXT) | instid1(VALU_DEP_2)
	s_and_b32 s2, s3, s2
	v_lshlrev_b32_e32 v1, 2, v1
	ds_bpermute_b32 v4, v1, v22
	ds_bpermute_b32 v5, v1, v23
	v_cndmask_b32_e32 v1, v0, v68, vcc_lo
	v_cmp_lt_i32_e32 vcc_lo, v67, v64
	s_delay_alu instid0(VALU_DEP_2)
	v_lshlrev_b32_e32 v1, 2, v1
	s_wait_dscnt 0x0
	v_pk_add_f32 v[4:5], v[22:23], v[4:5]
	ds_bpermute_b32 v6, v1, v4
	ds_bpermute_b32 v7, v1, v5
	v_cndmask_b32_e32 v1, v0, v67, vcc_lo
	v_cmp_lt_i32_e32 vcc_lo, v66, v64
	s_delay_alu instid0(VALU_DEP_2)
	v_lshlrev_b32_e32 v1, 2, v1
	s_wait_dscnt 0x0
	v_pk_add_f32 v[4:5], v[4:5], v[6:7]
	ds_bpermute_b32 v6, v1, v4
	ds_bpermute_b32 v7, v1, v5
	v_cndmask_b32_e32 v1, v0, v66, vcc_lo
	v_cmp_lt_i32_e32 vcc_lo, v65, v64
	s_delay_alu instid0(VALU_DEP_2) | instskip(SKIP_2) | instid1(VALU_DEP_1)
	v_lshlrev_b32_e32 v1, 2, v1
	v_cndmask_b32_e32 v0, v0, v65, vcc_lo
	s_and_b32 vcc_lo, exec_lo, s2
	v_lshlrev_b32_e32 v2, 2, v0
	s_wait_dscnt 0x0
	v_pk_add_f32 v[4:5], v[4:5], v[6:7]
	ds_bpermute_b32 v6, v1, v4
	ds_bpermute_b32 v7, v1, v5
	s_wait_dscnt 0x0
	v_pk_add_f32 v[0:1], v[4:5], v[6:7]
	ds_bpermute_b32 v4, v2, v0
	ds_bpermute_b32 v5, v2, v1
	s_wait_dscnt 0x0
	v_pk_add_f32 v[0:1], v[0:1], v[4:5]
	s_cbranch_vccz .LBB46_13
; %bb.12:
	s_ashr_i32 s31, s30, 31
	v_mov_b32_e32 v2, 0
	s_lshl_b64 s[2:3], s[30:31], 2
	v_max_num_f32_e32 v7, v17, v17
	s_add_nc_u64 s[2:3], s[12:13], s[2:3]
	global_load_b64 v[4:5], v2, s[2:3]
	s_wait_xcnt 0x0
	v_max_num_f32_e32 v2, v16, v16
	s_wait_loadcnt 0x0
	v_dual_max_num_f32 v6, v4, v4 :: v_dual_max_num_f32 v8, v5, v5
	s_delay_alu instid0(VALU_DEP_1) | instskip(NEXT) | instid1(VALU_DEP_1)
	v_dual_max_num_f32 v6, v2, v6 :: v_dual_max_num_f32 v7, v7, v8
	v_sub_f32_e32 v2, v16, v6
	s_delay_alu instid0(VALU_DEP_2) | instskip(SKIP_1) | instid1(VALU_DEP_2)
	v_dual_sub_f32 v8, v4, v6 :: v_dual_sub_f32 v9, v17, v7
	v_sub_f32_e32 v10, v5, v7
	v_dual_mul_f32 v4, 0x3fb8aa3b, v2 :: v_dual_mul_f32 v5, 0x3fb8aa3b, v8
	s_delay_alu instid0(VALU_DEP_3) | instskip(SKIP_1) | instid1(VALU_DEP_3)
	v_mul_f32_e32 v11, 0x3fb8aa3b, v9
	v_cmp_ngt_f32_e32 vcc_lo, 0xc2ce8ed0, v2
	v_rndne_f32_e32 v14, v4
	v_fma_f32 v13, 0x3fb8aa3b, v2, -v4
	s_delay_alu instid0(VALU_DEP_4)
	v_fma_f32 v17, 0x3fb8aa3b, v9, -v11
	v_rndne_f32_e32 v18, v11
	v_fma_f32 v15, 0x3fb8aa3b, v8, -v5
	v_sub_f32_e32 v4, v4, v14
	v_cvt_i32_f32_e32 v14, v14
	v_fmac_f32_e32 v17, 0x32a5705f, v9
	v_sub_f32_e32 v11, v11, v18
	v_mul_f32_e32 v12, 0x3fb8aa3b, v10
	v_rndne_f32_e32 v16, v5
	s_delay_alu instid0(VALU_DEP_3) | instskip(NEXT) | instid1(VALU_DEP_3)
	v_add_f32_e32 v11, v11, v17
	v_rndne_f32_e32 v20, v12
	v_fmac_f32_e32 v13, 0x32a5705f, v2
	v_fma_f32 v19, 0x3fb8aa3b, v10, -v12
	v_sub_f32_e32 v5, v5, v16
	v_exp_f32_e32 v11, v11
	v_sub_f32_e32 v12, v12, v20
	v_add_f32_e32 v4, v4, v13
	v_cvt_i32_f32_e32 v13, v16
	v_cvt_i32_f32_e32 v16, v18
	s_delay_alu instid0(VALU_DEP_3)
	v_exp_f32_e32 v4, v4
	s_delay_alu instid0(TRANS32_DEP_2) | instid1(VALU_DEP_1)
	v_ldexp_f32 v11, v11, v16
	v_mov_b64_e32 v[16:17], v[6:7]
	s_delay_alu instid0(TRANS32_DEP_1) | instskip(NEXT) | instid1(VALU_DEP_1)
	v_ldexp_f32 v4, v4, v14
	v_dual_fmac_f32 v19, 0x32a5705f, v10 :: v_dual_cndmask_b32 v4, 0, v4
	s_delay_alu instid0(VALU_DEP_1) | instskip(SKIP_1) | instid1(VALU_DEP_2)
	v_dual_fmac_f32 v15, 0x32a5705f, v8 :: v_dual_add_f32 v12, v12, v19
	v_cmp_ngt_f32_e32 vcc_lo, 0xc2ce8ed0, v9
	v_add_f32_e32 v5, v5, v15
	v_cvt_i32_f32_e32 v15, v20
	s_delay_alu instid0(VALU_DEP_2)
	v_exp_f32_e32 v14, v5
	v_nop
	v_cndmask_b32_e32 v5, 0, v11, vcc_lo
	v_cmp_nlt_f32_e32 vcc_lo, 0x42b17218, v2
	v_exp_f32_e32 v11, v12
	v_cndmask_b32_e32 v4, 0x7f800000, v4, vcc_lo
	v_cmp_nlt_f32_e32 vcc_lo, 0x42b17218, v9
	v_ldexp_f32 v2, v14, v13
	s_delay_alu instid0(TRANS32_DEP_1) | instskip(NEXT) | instid1(VALU_DEP_4)
	v_ldexp_f32 v9, v11, v15
	v_cvt_f16_f32_e32 v11, v4
	v_cndmask_b32_e32 v5, 0x7f800000, v5, vcc_lo
	v_cmp_ngt_f32_e32 vcc_lo, 0xc2ce8ed0, v8
	s_delay_alu instid0(VALU_DEP_3) | instskip(NEXT) | instid1(VALU_DEP_3)
	v_and_b32_e32 v11, 0xffff, v11
	v_cvt_f16_f32_e32 v12, v5
	v_cndmask_b32_e32 v2, 0, v2, vcc_lo
	v_cmp_ngt_f32_e32 vcc_lo, 0xc2ce8ed0, v10
	s_delay_alu instid0(VALU_DEP_3)
	v_and_b32_e32 v12, 0xffff, v12
	v_cndmask_b32_e32 v9, 0, v9, vcc_lo
	v_cmp_nlt_f32_e32 vcc_lo, 0x42b17218, v8
	v_cndmask_b32_e32 v8, 0x7f800000, v2, vcc_lo
	v_cmp_nlt_f32_e32 vcc_lo, 0x42b17218, v10
	v_mul_u32_u24_e32 v2, 0x10001, v11
	v_mul_u32_u24_e32 v10, 0x10001, v12
	v_cndmask_b32_e32 v9, 0x7f800000, v9, vcc_lo
	s_delay_alu instid0(VALU_DEP_3) | instskip(NEXT) | instid1(VALU_DEP_3)
	v_pk_mul_f16 v43, v43, v2
	v_pk_mul_f16 v42, v42, v10
	s_delay_alu instid0(VALU_DEP_3)
	v_pk_fma_f32 v[0:1], v[0:1], v[4:5], v[8:9]
.LBB46_13:
	s_mov_b32 s2, exec_lo
	v_cmpx_gt_i32_e64 s22, v61
	s_cbranch_execz .LBB46_22
; %bb.14:
	s_load_b32 s0, s[0:1], 0xd4
	v_mov_b32_e32 v2, 1.0
	s_wait_kmcnt 0x0
	s_cmp_lg_u32 s0, 1
	s_cselect_b32 s2, -1, 0
	s_cmp_eq_u32 s0, 1
	s_cselect_b32 s1, -1, 0
	s_and_b32 vcc_lo, exec_lo, s2
	s_cbranch_vccnz .LBB46_16
; %bb.15:
	v_div_scale_f32 v2, null, v0, v0, 1.0
	s_delay_alu instid0(VALU_DEP_1) | instskip(SKIP_1) | instid1(TRANS32_DEP_1)
	v_rcp_f32_e32 v4, v2
	v_nop
	v_fma_f32 v5, -v2, v4, 1.0
	s_delay_alu instid0(VALU_DEP_1) | instskip(SKIP_1) | instid1(VALU_DEP_1)
	v_fmac_f32_e32 v4, v5, v4
	v_div_scale_f32 v5, vcc_lo, 1.0, v0, 1.0
	v_mul_f32_e32 v6, v5, v4
	s_delay_alu instid0(VALU_DEP_1) | instskip(NEXT) | instid1(VALU_DEP_1)
	v_fma_f32 v7, -v2, v6, v5
	v_fmac_f32_e32 v6, v7, v4
	s_delay_alu instid0(VALU_DEP_1) | instskip(NEXT) | instid1(VALU_DEP_1)
	v_fma_f32 v2, -v2, v6, v5
	v_div_fmas_f32 v2, v2, v4, v6
	s_delay_alu instid0(VALU_DEP_1)
	v_div_fixup_f32 v2, v2, v0, 1.0
.LBB46_16:
	v_mad_u32 v4, s28, s22, v61
	v_dual_lshrrev_b32 v5, 16, v43 :: v_dual_mov_b32 v7, 0
	v_cvt_f32_f16_e32 v8, v43
	v_cmp_eq_u32_e32 vcc_lo, 0, v60
	s_delay_alu instid0(VALU_DEP_3) | instskip(SKIP_1) | instid1(VALU_DEP_1)
	v_cvt_f32_f16_e32 v9, v5
	s_and_b32 s2, vcc_lo, s2
	v_pk_mul_f32 v[8:9], v[2:3], v[8:9] op_sel_hi:[0,1]
	v_mad_u32 v4, v4, s23, s30
	s_delay_alu instid0(VALU_DEP_1) | instskip(NEXT) | instid1(VALU_DEP_1)
	v_mad_u32 v4, s0, v4, s5
	v_lshl_add_u32 v6, v4, 6, v3
	s_delay_alu instid0(VALU_DEP_1)
	v_lshl_add_u64 v[6:7], v[6:7], 2, s[16:17]
	global_store_b64 v[6:7], v[8:9], off
	s_wait_xcnt 0x0
	s_and_saveexec_b32 s3, s2
	s_cbranch_execz .LBB46_18
; %bb.17:
	v_dual_mov_b32 v6, v16 :: v_dual_mov_b32 v7, v0
	global_store_b64 v4, v[6:7], s[18:19] scale_offset
.LBB46_18:
	s_wait_xcnt 0x0
	s_or_b32 exec_lo, exec_lo, s3
	v_mov_b32_e32 v0, 1.0
	s_and_not1_b32 vcc_lo, exec_lo, s1
	s_cbranch_vccnz .LBB46_20
; %bb.19:
	v_div_scale_f32 v0, null, v1, v1, 1.0
	s_delay_alu instid0(VALU_DEP_1) | instskip(SKIP_1) | instid1(TRANS32_DEP_1)
	v_rcp_f32_e32 v2, v0
	v_nop
	v_fma_f32 v5, -v0, v2, 1.0
	s_delay_alu instid0(VALU_DEP_1) | instskip(SKIP_1) | instid1(VALU_DEP_1)
	v_fmac_f32_e32 v2, v5, v2
	v_div_scale_f32 v5, vcc_lo, 1.0, v1, 1.0
	v_mul_f32_e32 v6, v5, v2
	s_delay_alu instid0(VALU_DEP_1) | instskip(NEXT) | instid1(VALU_DEP_1)
	v_fma_f32 v7, -v0, v6, v5
	v_fmac_f32_e32 v6, v7, v2
	s_delay_alu instid0(VALU_DEP_1) | instskip(NEXT) | instid1(VALU_DEP_1)
	v_fma_f32 v0, -v0, v6, v5
	v_div_fmas_f32 v0, v0, v2, v6
	s_delay_alu instid0(VALU_DEP_1)
	v_div_fixup_f32 v0, v0, v1, 1.0
.LBB46_20:
	v_dual_add_nc_u32 v2, s0, v4 :: v_dual_lshrrev_b32 v7, 16, v42
	v_mov_b32_e32 v5, 0
	v_cvt_f32_f16_e32 v6, v42
	s_delay_alu instid0(VALU_DEP_3) | instskip(NEXT) | instid1(VALU_DEP_4)
	v_lshl_add_u32 v4, v2, 6, v3
	v_cvt_f32_f16_e32 v7, v7
	s_delay_alu instid0(VALU_DEP_2) | instskip(NEXT) | instid1(VALU_DEP_2)
	v_lshl_add_u64 v[4:5], v[4:5], 2, s[16:17]
	v_pk_mul_f32 v[6:7], v[0:1], v[6:7] op_sel_hi:[0,1]
	global_store_b64 v[4:5], v[6:7], off
	s_wait_xcnt 0x0
	s_and_b32 exec_lo, exec_lo, s2
	s_cbranch_execz .LBB46_22
; %bb.21:
	v_mov_b32_e32 v0, v17
	global_store_b64 v2, v[0:1], s[18:19] scale_offset
.LBB46_22:
	s_sendmsg sendmsg(MSG_DEALLOC_VGPRS)
	s_endpgm
	.section	.rodata,"a",@progbits
	.p2align	6, 0x0
	.amdhsa_kernel _ZL15flash_attn_tileILi64ELi64ELi2ELi2ELb0EEvPKcS1_S1_S1_S1_PKiPfP15HIP_vector_typeIfLj2EEffffjfiS5_IjLj3EEiiiiiiiiiiiliiliiiiil
		.amdhsa_group_segment_fixed_size 5376
		.amdhsa_private_segment_fixed_size 0
		.amdhsa_kernarg_size 464
		.amdhsa_user_sgpr_count 2
		.amdhsa_user_sgpr_dispatch_ptr 0
		.amdhsa_user_sgpr_queue_ptr 0
		.amdhsa_user_sgpr_kernarg_segment_ptr 1
		.amdhsa_user_sgpr_dispatch_id 0
		.amdhsa_user_sgpr_kernarg_preload_length 0
		.amdhsa_user_sgpr_kernarg_preload_offset 0
		.amdhsa_user_sgpr_private_segment_size 0
		.amdhsa_wavefront_size32 1
		.amdhsa_uses_dynamic_stack 0
		.amdhsa_enable_private_segment 0
		.amdhsa_system_sgpr_workgroup_id_x 1
		.amdhsa_system_sgpr_workgroup_id_y 1
		.amdhsa_system_sgpr_workgroup_id_z 1
		.amdhsa_system_sgpr_workgroup_info 0
		.amdhsa_system_vgpr_workitem_id 1
		.amdhsa_next_free_vgpr 124
		.amdhsa_next_free_sgpr 43
		.amdhsa_named_barrier_count 0
		.amdhsa_reserve_vcc 1
		.amdhsa_float_round_mode_32 0
		.amdhsa_float_round_mode_16_64 0
		.amdhsa_float_denorm_mode_32 3
		.amdhsa_float_denorm_mode_16_64 3
		.amdhsa_fp16_overflow 0
		.amdhsa_memory_ordered 1
		.amdhsa_forward_progress 1
		.amdhsa_inst_pref_size 50
		.amdhsa_round_robin_scheduling 0
		.amdhsa_exception_fp_ieee_invalid_op 0
		.amdhsa_exception_fp_denorm_src 0
		.amdhsa_exception_fp_ieee_div_zero 0
		.amdhsa_exception_fp_ieee_overflow 0
		.amdhsa_exception_fp_ieee_underflow 0
		.amdhsa_exception_fp_ieee_inexact 0
		.amdhsa_exception_int_div_zero 0
	.end_amdhsa_kernel
	.section	.text._ZL15flash_attn_tileILi64ELi64ELi2ELi2ELb0EEvPKcS1_S1_S1_S1_PKiPfP15HIP_vector_typeIfLj2EEffffjfiS5_IjLj3EEiiiiiiiiiiiliiliiiiil,"axG",@progbits,_ZL15flash_attn_tileILi64ELi64ELi2ELi2ELb0EEvPKcS1_S1_S1_S1_PKiPfP15HIP_vector_typeIfLj2EEffffjfiS5_IjLj3EEiiiiiiiiiiiliiliiiiil,comdat
.Lfunc_end46:
	.size	_ZL15flash_attn_tileILi64ELi64ELi2ELi2ELb0EEvPKcS1_S1_S1_S1_PKiPfP15HIP_vector_typeIfLj2EEffffjfiS5_IjLj3EEiiiiiiiiiiiliiliiiiil, .Lfunc_end46-_ZL15flash_attn_tileILi64ELi64ELi2ELi2ELb0EEvPKcS1_S1_S1_S1_PKiPfP15HIP_vector_typeIfLj2EEffffjfiS5_IjLj3EEiiiiiiiiiiiliiliiiiil
                                        ; -- End function
	.set _ZL15flash_attn_tileILi64ELi64ELi2ELi2ELb0EEvPKcS1_S1_S1_S1_PKiPfP15HIP_vector_typeIfLj2EEffffjfiS5_IjLj3EEiiiiiiiiiiiliiliiiiil.num_vgpr, 124
	.set _ZL15flash_attn_tileILi64ELi64ELi2ELi2ELb0EEvPKcS1_S1_S1_S1_PKiPfP15HIP_vector_typeIfLj2EEffffjfiS5_IjLj3EEiiiiiiiiiiiliiliiiiil.num_agpr, 0
	.set _ZL15flash_attn_tileILi64ELi64ELi2ELi2ELb0EEvPKcS1_S1_S1_S1_PKiPfP15HIP_vector_typeIfLj2EEffffjfiS5_IjLj3EEiiiiiiiiiiiliiliiiiil.numbered_sgpr, 43
	.set _ZL15flash_attn_tileILi64ELi64ELi2ELi2ELb0EEvPKcS1_S1_S1_S1_PKiPfP15HIP_vector_typeIfLj2EEffffjfiS5_IjLj3EEiiiiiiiiiiiliiliiiiil.num_named_barrier, 0
	.set _ZL15flash_attn_tileILi64ELi64ELi2ELi2ELb0EEvPKcS1_S1_S1_S1_PKiPfP15HIP_vector_typeIfLj2EEffffjfiS5_IjLj3EEiiiiiiiiiiiliiliiiiil.private_seg_size, 0
	.set _ZL15flash_attn_tileILi64ELi64ELi2ELi2ELb0EEvPKcS1_S1_S1_S1_PKiPfP15HIP_vector_typeIfLj2EEffffjfiS5_IjLj3EEiiiiiiiiiiiliiliiiiil.uses_vcc, 1
	.set _ZL15flash_attn_tileILi64ELi64ELi2ELi2ELb0EEvPKcS1_S1_S1_S1_PKiPfP15HIP_vector_typeIfLj2EEffffjfiS5_IjLj3EEiiiiiiiiiiiliiliiiiil.uses_flat_scratch, 0
	.set _ZL15flash_attn_tileILi64ELi64ELi2ELi2ELb0EEvPKcS1_S1_S1_S1_PKiPfP15HIP_vector_typeIfLj2EEffffjfiS5_IjLj3EEiiiiiiiiiiiliiliiiiil.has_dyn_sized_stack, 0
	.set _ZL15flash_attn_tileILi64ELi64ELi2ELi2ELb0EEvPKcS1_S1_S1_S1_PKiPfP15HIP_vector_typeIfLj2EEffffjfiS5_IjLj3EEiiiiiiiiiiiliiliiiiil.has_recursion, 0
	.set _ZL15flash_attn_tileILi64ELi64ELi2ELi2ELb0EEvPKcS1_S1_S1_S1_PKiPfP15HIP_vector_typeIfLj2EEffffjfiS5_IjLj3EEiiiiiiiiiiiliiliiiiil.has_indirect_call, 0
	.section	.AMDGPU.csdata,"",@progbits
; Kernel info:
; codeLenInByte = 6280
; TotalNumSgprs: 45
; NumVgprs: 124
; ScratchSize: 0
; MemoryBound: 0
; FloatMode: 240
; IeeeMode: 1
; LDSByteSize: 5376 bytes/workgroup (compile time only)
; SGPRBlocks: 0
; VGPRBlocks: 7
; NumSGPRsForWavesPerEU: 45
; NumVGPRsForWavesPerEU: 124
; NamedBarCnt: 0
; Occupancy: 8
; WaveLimiterHint : 1
; COMPUTE_PGM_RSRC2:SCRATCH_EN: 0
; COMPUTE_PGM_RSRC2:USER_SGPR: 2
; COMPUTE_PGM_RSRC2:TRAP_HANDLER: 0
; COMPUTE_PGM_RSRC2:TGID_X_EN: 1
; COMPUTE_PGM_RSRC2:TGID_Y_EN: 1
; COMPUTE_PGM_RSRC2:TGID_Z_EN: 1
; COMPUTE_PGM_RSRC2:TIDIG_COMP_CNT: 1
	.section	.text._ZL33flash_attn_stream_k_fixup_uniformILi64ELi2ELi2EEvPfPK15HIP_vector_typeIfLj2EEiiiiiiS1_IjLj3EES5_S5_,"axG",@progbits,_ZL33flash_attn_stream_k_fixup_uniformILi64ELi2ELi2EEvPfPK15HIP_vector_typeIfLj2EEiiiiiiS1_IjLj3EES5_S5_,comdat
	.globl	_ZL33flash_attn_stream_k_fixup_uniformILi64ELi2ELi2EEvPfPK15HIP_vector_typeIfLj2EEiiiiiiS1_IjLj3EES5_S5_ ; -- Begin function _ZL33flash_attn_stream_k_fixup_uniformILi64ELi2ELi2EEvPfPK15HIP_vector_typeIfLj2EEiiiiiiS1_IjLj3EES5_S5_
	.p2align	8
	.type	_ZL33flash_attn_stream_k_fixup_uniformILi64ELi2ELi2EEvPfPK15HIP_vector_typeIfLj2EEiiiiiiS1_IjLj3EES5_S5_,@function
_ZL33flash_attn_stream_k_fixup_uniformILi64ELi2ELi2EEvPfPK15HIP_vector_typeIfLj2EEiiiiiiS1_IjLj3EES5_S5_: ; @_ZL33flash_attn_stream_k_fixup_uniformILi64ELi2ELi2EEvPfPK15HIP_vector_typeIfLj2EEiiiiiiS1_IjLj3EES5_S5_
; %bb.0:
	s_load_b256 s[4:11], s[0:1], 0x1c
	s_bfe_u32 s2, ttmp6, 0x40014
	s_lshr_b32 s3, ttmp7, 16
	s_add_co_i32 s2, s2, 1
	s_bfe_u32 s13, ttmp6, 0x40010
	s_mul_i32 s2, s3, s2
	s_bfe_u32 s12, ttmp6, 0x40008
	s_and_b32 s15, ttmp7, 0xffff
	s_add_co_i32 s13, s13, 1
	s_bfe_u32 s14, ttmp6, 0x4000c
	s_add_co_i32 s12, s12, s2
	s_mul_i32 s2, s15, s13
	s_bfe_u32 s13, ttmp6, 0x40004
	s_add_co_i32 s14, s14, 1
	s_add_co_i32 s13, s13, s2
	s_and_b32 s2, ttmp6, 15
	s_mul_i32 s14, ttmp9, s14
	s_getreg_b32 s20, hwreg(HW_REG_IB_STS2, 6, 4)
	s_add_co_i32 s2, s2, s14
	s_load_b128 s[16:19], s[0:1], 0x3c
	s_cmp_eq_u32 s20, 0
	s_cselect_b32 s14, ttmp9, s2
	s_cselect_b32 s13, s15, s13
	s_wait_kmcnt 0x0
	s_mul_hi_u32 s2, s7, s14
	s_cselect_b32 s12, s3, s12
	s_add_co_i32 s2, s14, s2
	s_delay_alu instid0(SALU_CYCLE_1) | instskip(NEXT) | instid1(SALU_CYCLE_1)
	s_lshr_b32 s7, s2, s8
	s_mul_i32 s2, s7, s9
	s_delay_alu instid0(SALU_CYCLE_1) | instskip(NEXT) | instid1(SALU_CYCLE_1)
	s_sub_co_i32 s8, s14, s2
	s_mul_hi_u32 s2, s8, s10
	s_delay_alu instid0(SALU_CYCLE_1) | instskip(SKIP_2) | instid1(SALU_CYCLE_1)
	s_add_co_i32 s9, s8, s2
	s_load_b64 s[2:3], s[0:1], 0x10
	s_lshr_b32 s15, s9, s11
	s_mul_i32 s9, s15, s16
	s_delay_alu instid0(SALU_CYCLE_1) | instskip(NEXT) | instid1(SALU_CYCLE_1)
	s_sub_co_i32 s8, s8, s9
	s_mul_hi_u32 s9, s8, s17
	s_delay_alu instid0(SALU_CYCLE_1) | instskip(NEXT) | instid1(SALU_CYCLE_1)
	s_add_co_i32 s9, s8, s9
	s_lshr_b32 s9, s9, s18
	s_delay_alu instid0(SALU_CYCLE_1) | instskip(SKIP_2) | instid1(SALU_CYCLE_1)
	s_mul_i32 s10, s9, s19
	s_lshl_b32 s17, s9, 1
	s_sub_co_i32 s16, s8, s10
	s_lshl_b32 s8, s16, 1
	s_delay_alu instid0(SALU_CYCLE_1) | instskip(SKIP_4) | instid1(SALU_CYCLE_1)
	s_add_co_i32 s8, s8, s13
	s_wait_kmcnt 0x0
	s_cmp_lt_i32 s8, s2
	s_cselect_b32 s8, -1, 0
	s_add_co_i32 s9, s17, s12
	s_cmp_lt_i32 s9, s5
	s_cselect_b32 s9, -1, 0
	s_delay_alu instid0(SALU_CYCLE_1) | instskip(NEXT) | instid1(SALU_CYCLE_1)
	s_and_b32 s8, s8, s9
	s_and_not1_b32 vcc_lo, exec_lo, s8
	s_cbranch_vccnz .LBB47_6
; %bb.1:
	s_mul_i32 s2, s7, s2
	s_load_b128 s[8:11], s[0:1], 0x0
	s_wait_xcnt 0x0
	s_add_co_i32 s0, s2, s13
	s_mul_i32 s15, s15, s5
	s_mul_i32 s0, s0, s3
	;; [unrolled: 1-line block ×3, first 2 shown]
	s_add_co_i32 s0, s0, s12
	s_lshl_b32 s1, s1, 7
	s_add_co_i32 s0, s0, s15
	s_mul_i32 s7, s6, s14
	s_add_co_i32 s0, s0, s17
	s_lshl_b32 s5, s13, 1
	s_lshl_b32 s0, s0, 6
	s_add_co_i32 s15, s7, s6
	s_add_co_i32 s1, s1, s0
	;; [unrolled: 1-line block ×3, first 2 shown]
	v_or_b32_e32 v4, s1, v0
	s_lshl_b32 s1, s15, 2
	s_add_co_i32 s2, s15, -2
	s_add_co_i32 s0, s0, s1
	s_delay_alu instid0(SALU_CYCLE_1)
	s_add_co_i32 s0, s0, -4
	s_wait_kmcnt 0x0
	global_load_b32 v3, v4, s[8:9] scale_offset
	s_ashr_i32 s1, s0, 31
	v_ashrrev_i32_e32 v5, 31, v4
	s_lshl_b64 s[0:1], s[0:1], 3
	s_cmp_lt_i32 s2, s7
	s_add_nc_u64 s[0:1], s[10:11], s[0:1]
	s_load_b32 s16, s[0:1], 0x4
	s_cbranch_scc1 .LBB47_4
; %bb.2:
	s_wait_xcnt 0x0
	s_load_b32 s0, s[0:1], 0x0
	s_add_co_i32 s14, s14, 1
	s_lshl_b32 s3, s13, 7
	s_wait_xcnt 0x0
	s_mul_i32 s1, s6, s14
	s_lshl_b32 s6, s12, 6
	s_lshl_b32 s13, s1, 8
	s_add_co_i32 s6, s6, s3
	s_lshl_b32 s1, s1, 2
	s_add_co_i32 s6, s6, s13
	s_lshl_b32 s2, s4, 4
	s_wait_kmcnt 0x0
	v_dual_mov_b32 v2, s16 :: v_dual_bitop2_b32 v0, s6, v0 bitop3:0x54
	s_add_co_i32 s1, s12, s1
	s_lshl_b32 s4, s4, 2
	s_ashr_i32 s3, s2, 31
	s_add_co_i32 s1, s1, s4
	v_add_nc_u32_e32 v0, 0xfffffe00, v0
	s_lshl_b64 s[2:3], s[2:3], 2
	s_add_co_i32 s4, s1, s5
	s_add_nc_u64 s[2:3], s[10:11], s[2:3]
	s_add_co_i32 s1, s15, -1
	s_add_co_i32 s4, s4, -8
.LBB47_3:                               ; =>This Inner Loop Header: Depth=1
	global_load_b32 v7, v0, s[2:3] scale_offset
	s_ashr_i32 s5, s4, 31
	v_max_num_f32_e64 v1, s0, s0
	s_lshl_b64 s[12:13], s[4:5], 3
	s_delay_alu instid0(SALU_CYCLE_1) | instskip(SKIP_1) | instid1(VALU_DEP_1)
	s_add_nc_u64 s[12:13], s[10:11], s[12:13]
	s_load_b64 s[12:13], s[12:13], 0x0
	v_readfirstlane_b32 s5, v1
	v_add_nc_u32_e32 v0, 0xffffff00, v0
	s_wait_kmcnt 0x0
	v_max_num_f32_e64 v1, s12, s12
	s_delay_alu instid0(VALU_DEP_1) | instskip(SKIP_1) | instid1(SALU_CYCLE_3)
	v_readfirstlane_b32 s6, v1
	s_max_num_f32 s5, s5, s6
	s_sub_f32 s0, s0, s5
	s_sub_f32 s6, s12, s5
	s_delay_alu instid0(SALU_CYCLE_2) | instskip(NEXT) | instid1(SALU_CYCLE_2)
	s_mul_f32 s12, s0, 0x3fb8aa3b
	s_mul_f32 s14, s6, 0x3fb8aa3b
	s_delay_alu instid0(SALU_CYCLE_2)
	s_xor_b32 s15, s12, 0x80000000
	s_rndne_f32 s16, s12
	s_fmamk_f32 s15, s0, 0x3fb8aa3b, s15
	s_cmp_nlt_f32 s0, 0xc2ce8ed0
	s_rndne_f32 s17, s14
	s_sub_f32 s12, s12, s16
	s_fmamk_f32 s15, s0, 0x32a5705f, s15
	s_cselect_b32 vcc_lo, -1, 0
	s_cmp_ngt_f32 s0, 0x42b17218
	s_delay_alu instid0(SALU_CYCLE_1) | instskip(SKIP_2) | instid1(SALU_CYCLE_1)
	s_add_f32 s12, s12, s15
	s_cvt_i32_f32 s15, s16
	s_sub_f32 s16, s14, s17
	v_s_exp_f32 s12, s12
	v_nop
	s_delay_alu instid0(TRANS32_DEP_1) | instskip(SKIP_1) | instid1(VALU_DEP_1)
	v_ldexp_f32 v1, s12, s15
	s_cvt_i32_f32 s12, s17
	v_cndmask_b32_e32 v1, 0, v1, vcc_lo
	s_cselect_b32 vcc_lo, -1, 0
	s_cmp_ge_f32 s0, 0xc1a00000
	s_delay_alu instid0(VALU_DEP_1)
	v_cndmask_b32_e32 v1, 0x7f800000, v1, vcc_lo
	s_cselect_b32 vcc_lo, -1, 0
	s_xor_b32 s0, s14, 0x80000000
	s_cmp_nlt_f32 s6, 0xc2ce8ed0
	s_fmamk_f32 s0, s6, 0x3fb8aa3b, s0
	v_cndmask_b32_e32 v10, 0, v1, vcc_lo
	s_delay_alu instid0(SALU_CYCLE_2) | instskip(NEXT) | instid1(SALU_CYCLE_3)
	s_fmamk_f32 s0, s6, 0x32a5705f, s0
	s_add_f32 s0, s16, s0
	s_delay_alu instid0(SALU_CYCLE_3) | instskip(SKIP_1) | instid1(TRANS32_DEP_1)
	v_s_exp_f32 s0, s0
	v_nop
	v_ldexp_f32 v6, s0, s12
	s_cselect_b32 s0, -1, 0
	s_cmp_ngt_f32 s6, 0x42b17218
	s_delay_alu instid0(VALU_DEP_1) | instskip(SKIP_2) | instid1(VALU_DEP_1)
	v_cndmask_b32_e64 v6, 0, v6, s0
	s_cselect_b32 s0, -1, 0
	s_cmp_ge_f32 s6, 0xc1a00000
	v_cndmask_b32_e64 v8, 0x7f800000, v6, s0
	s_cselect_b32 s0, -1, 0
	v_mov_b32_e32 v6, s13
	s_add_co_i32 s1, s1, -1
	s_add_co_i32 s4, s4, -4
	v_cndmask_b32_e64 v8, 0, v8, s0
	s_cmp_le_i32 s1, s7
	s_mov_b32 s0, s5
	s_wait_loadcnt 0x0
	s_delay_alu instid0(VALU_DEP_1) | instskip(NEXT) | instid1(VALU_DEP_1)
	v_pk_mul_f32 v[6:7], v[6:7], v[8:9] op_sel_hi:[1,0]
	v_pk_fma_f32 v[2:3], v[2:3], v[10:11], v[6:7] op_sel_hi:[1,0,1]
	s_cbranch_scc0 .LBB47_3
	s_branch .LBB47_5
.LBB47_4:
	s_wait_kmcnt 0x0
	v_mov_b32_e32 v2, s16
.LBB47_5:
	v_lshl_add_u64 v[0:1], v[4:5], 2, s[8:9]
	s_wait_loadcnt 0x0
	s_delay_alu instid0(VALU_DEP_2) | instskip(NEXT) | instid1(VALU_DEP_1)
	v_div_scale_f32 v4, null, v2, v2, v3
	v_rcp_f32_e32 v5, v4
	v_nop
	s_delay_alu instid0(TRANS32_DEP_1) | instskip(NEXT) | instid1(VALU_DEP_1)
	v_fma_f32 v6, -v4, v5, 1.0
	v_fmac_f32_e32 v5, v6, v5
	v_div_scale_f32 v6, vcc_lo, v3, v2, v3
	s_delay_alu instid0(VALU_DEP_1) | instskip(NEXT) | instid1(VALU_DEP_1)
	v_mul_f32_e32 v7, v6, v5
	v_fma_f32 v8, -v4, v7, v6
	s_delay_alu instid0(VALU_DEP_1) | instskip(NEXT) | instid1(VALU_DEP_1)
	v_fmac_f32_e32 v7, v8, v5
	v_fma_f32 v4, -v4, v7, v6
	s_delay_alu instid0(VALU_DEP_1) | instskip(NEXT) | instid1(VALU_DEP_1)
	v_div_fmas_f32 v4, v4, v5, v7
	v_div_fixup_f32 v2, v4, v2, v3
	global_store_b32 v[0:1], v2, off
.LBB47_6:
	s_endpgm
	.section	.rodata,"a",@progbits
	.p2align	6, 0x0
	.amdhsa_kernel _ZL33flash_attn_stream_k_fixup_uniformILi64ELi2ELi2EEvPfPK15HIP_vector_typeIfLj2EEiiiiiiS1_IjLj3EES5_S5_
		.amdhsa_group_segment_fixed_size 0
		.amdhsa_private_segment_fixed_size 0
		.amdhsa_kernarg_size 76
		.amdhsa_user_sgpr_count 2
		.amdhsa_user_sgpr_dispatch_ptr 0
		.amdhsa_user_sgpr_queue_ptr 0
		.amdhsa_user_sgpr_kernarg_segment_ptr 1
		.amdhsa_user_sgpr_dispatch_id 0
		.amdhsa_user_sgpr_kernarg_preload_length 0
		.amdhsa_user_sgpr_kernarg_preload_offset 0
		.amdhsa_user_sgpr_private_segment_size 0
		.amdhsa_wavefront_size32 1
		.amdhsa_uses_dynamic_stack 0
		.amdhsa_enable_private_segment 0
		.amdhsa_system_sgpr_workgroup_id_x 1
		.amdhsa_system_sgpr_workgroup_id_y 1
		.amdhsa_system_sgpr_workgroup_id_z 1
		.amdhsa_system_sgpr_workgroup_info 0
		.amdhsa_system_vgpr_workitem_id 0
		.amdhsa_next_free_vgpr 12
		.amdhsa_next_free_sgpr 21
		.amdhsa_named_barrier_count 0
		.amdhsa_reserve_vcc 1
		.amdhsa_float_round_mode_32 0
		.amdhsa_float_round_mode_16_64 0
		.amdhsa_float_denorm_mode_32 3
		.amdhsa_float_denorm_mode_16_64 3
		.amdhsa_fp16_overflow 0
		.amdhsa_memory_ordered 1
		.amdhsa_forward_progress 1
		.amdhsa_inst_pref_size 9
		.amdhsa_round_robin_scheduling 0
		.amdhsa_exception_fp_ieee_invalid_op 0
		.amdhsa_exception_fp_denorm_src 0
		.amdhsa_exception_fp_ieee_div_zero 0
		.amdhsa_exception_fp_ieee_overflow 0
		.amdhsa_exception_fp_ieee_underflow 0
		.amdhsa_exception_fp_ieee_inexact 0
		.amdhsa_exception_int_div_zero 0
	.end_amdhsa_kernel
	.section	.text._ZL33flash_attn_stream_k_fixup_uniformILi64ELi2ELi2EEvPfPK15HIP_vector_typeIfLj2EEiiiiiiS1_IjLj3EES5_S5_,"axG",@progbits,_ZL33flash_attn_stream_k_fixup_uniformILi64ELi2ELi2EEvPfPK15HIP_vector_typeIfLj2EEiiiiiiS1_IjLj3EES5_S5_,comdat
.Lfunc_end47:
	.size	_ZL33flash_attn_stream_k_fixup_uniformILi64ELi2ELi2EEvPfPK15HIP_vector_typeIfLj2EEiiiiiiS1_IjLj3EES5_S5_, .Lfunc_end47-_ZL33flash_attn_stream_k_fixup_uniformILi64ELi2ELi2EEvPfPK15HIP_vector_typeIfLj2EEiiiiiiS1_IjLj3EES5_S5_
                                        ; -- End function
	.set _ZL33flash_attn_stream_k_fixup_uniformILi64ELi2ELi2EEvPfPK15HIP_vector_typeIfLj2EEiiiiiiS1_IjLj3EES5_S5_.num_vgpr, 12
	.set _ZL33flash_attn_stream_k_fixup_uniformILi64ELi2ELi2EEvPfPK15HIP_vector_typeIfLj2EEiiiiiiS1_IjLj3EES5_S5_.num_agpr, 0
	.set _ZL33flash_attn_stream_k_fixup_uniformILi64ELi2ELi2EEvPfPK15HIP_vector_typeIfLj2EEiiiiiiS1_IjLj3EES5_S5_.numbered_sgpr, 21
	.set _ZL33flash_attn_stream_k_fixup_uniformILi64ELi2ELi2EEvPfPK15HIP_vector_typeIfLj2EEiiiiiiS1_IjLj3EES5_S5_.num_named_barrier, 0
	.set _ZL33flash_attn_stream_k_fixup_uniformILi64ELi2ELi2EEvPfPK15HIP_vector_typeIfLj2EEiiiiiiS1_IjLj3EES5_S5_.private_seg_size, 0
	.set _ZL33flash_attn_stream_k_fixup_uniformILi64ELi2ELi2EEvPfPK15HIP_vector_typeIfLj2EEiiiiiiS1_IjLj3EES5_S5_.uses_vcc, 1
	.set _ZL33flash_attn_stream_k_fixup_uniformILi64ELi2ELi2EEvPfPK15HIP_vector_typeIfLj2EEiiiiiiS1_IjLj3EES5_S5_.uses_flat_scratch, 0
	.set _ZL33flash_attn_stream_k_fixup_uniformILi64ELi2ELi2EEvPfPK15HIP_vector_typeIfLj2EEiiiiiiS1_IjLj3EES5_S5_.has_dyn_sized_stack, 0
	.set _ZL33flash_attn_stream_k_fixup_uniformILi64ELi2ELi2EEvPfPK15HIP_vector_typeIfLj2EEiiiiiiS1_IjLj3EES5_S5_.has_recursion, 0
	.set _ZL33flash_attn_stream_k_fixup_uniformILi64ELi2ELi2EEvPfPK15HIP_vector_typeIfLj2EEiiiiiiS1_IjLj3EES5_S5_.has_indirect_call, 0
	.section	.AMDGPU.csdata,"",@progbits
; Kernel info:
; codeLenInByte = 1092
; TotalNumSgprs: 23
; NumVgprs: 12
; ScratchSize: 0
; MemoryBound: 0
; FloatMode: 240
; IeeeMode: 1
; LDSByteSize: 0 bytes/workgroup (compile time only)
; SGPRBlocks: 0
; VGPRBlocks: 0
; NumSGPRsForWavesPerEU: 23
; NumVGPRsForWavesPerEU: 12
; NamedBarCnt: 0
; Occupancy: 16
; WaveLimiterHint : 0
; COMPUTE_PGM_RSRC2:SCRATCH_EN: 0
; COMPUTE_PGM_RSRC2:USER_SGPR: 2
; COMPUTE_PGM_RSRC2:TRAP_HANDLER: 0
; COMPUTE_PGM_RSRC2:TGID_X_EN: 1
; COMPUTE_PGM_RSRC2:TGID_Y_EN: 1
; COMPUTE_PGM_RSRC2:TGID_Z_EN: 1
; COMPUTE_PGM_RSRC2:TIDIG_COMP_CNT: 0
	.section	.text._ZL33flash_attn_stream_k_fixup_generalILi64ELi2ELi2EEvPfPK15HIP_vector_typeIfLj2EEiiiiS1_IjLj3EES5_S5_S5_,"axG",@progbits,_ZL33flash_attn_stream_k_fixup_generalILi64ELi2ELi2EEvPfPK15HIP_vector_typeIfLj2EEiiiiS1_IjLj3EES5_S5_S5_,comdat
	.globl	_ZL33flash_attn_stream_k_fixup_generalILi64ELi2ELi2EEvPfPK15HIP_vector_typeIfLj2EEiiiiS1_IjLj3EES5_S5_S5_ ; -- Begin function _ZL33flash_attn_stream_k_fixup_generalILi64ELi2ELi2EEvPfPK15HIP_vector_typeIfLj2EEiiiiS1_IjLj3EES5_S5_S5_
	.p2align	8
	.type	_ZL33flash_attn_stream_k_fixup_generalILi64ELi2ELi2EEvPfPK15HIP_vector_typeIfLj2EEiiiiS1_IjLj3EES5_S5_S5_,@function
_ZL33flash_attn_stream_k_fixup_generalILi64ELi2ELi2EEvPfPK15HIP_vector_typeIfLj2EEiiiiS1_IjLj3EES5_S5_S5_: ; @_ZL33flash_attn_stream_k_fixup_generalILi64ELi2ELi2EEvPfPK15HIP_vector_typeIfLj2EEiiiiS1_IjLj3EES5_S5_S5_
; %bb.0:
	s_clause 0x1
	s_load_b128 s[4:7], s[0:1], 0x10
	s_load_b32 s16, s[0:1], 0x50
	s_bfe_u32 s2, ttmp6, 0x4000c
	s_and_b32 s3, ttmp6, 15
	s_add_co_i32 s2, s2, 1
	s_getreg_b32 s15, hwreg(HW_REG_IB_STS2, 6, 4)
	s_mul_i32 s2, ttmp9, s2
	s_mov_b32 s17, 0
	s_add_co_i32 s3, s3, s2
	s_cmp_eq_u32 s15, 0
	s_cselect_b32 s2, ttmp9, s3
	s_delay_alu instid0(SALU_CYCLE_1) | instskip(SKIP_3) | instid1(SALU_CYCLE_1)
	s_ashr_i32 s3, s2, 31
	s_wait_kmcnt 0x0
	s_ashr_i32 s19, s7, 31
	s_mov_b32 s18, s7
	s_mul_u64 s[8:9], s[18:19], s[2:3]
	s_delay_alu instid0(SALU_CYCLE_1) | instskip(NEXT) | instid1(SALU_CYCLE_1)
	s_and_b64 s[10:11], s[8:9], 0xffffffff00000000
	s_cmp_lg_u64 s[10:11], 0
	s_cbranch_scc0 .LBB48_21
; %bb.1:
	s_add_nc_u64 s[10:11], s[16:17], 0
	s_mov_b32 s23, s17
	s_xor_b64 s[10:11], s[10:11], 0
	s_mov_b32 s27, s17
	s_cvt_f32_u32 s3, s10
	s_cvt_f32_u32 s7, s11
	s_sub_nc_u64 s[20:21], 0, s[10:11]
	s_delay_alu instid0(SALU_CYCLE_2) | instskip(NEXT) | instid1(SALU_CYCLE_3)
	s_fmamk_f32 s3, s7, 0x4f800000, s3
	v_s_rcp_f32 s3, s3
	s_delay_alu instid0(TRANS32_DEP_1) | instskip(NEXT) | instid1(SALU_CYCLE_3)
	s_mul_f32 s3, s3, 0x5f7ffffc
	s_mul_f32 s7, s3, 0x2f800000
	s_delay_alu instid0(SALU_CYCLE_3) | instskip(NEXT) | instid1(SALU_CYCLE_3)
	s_trunc_f32 s7, s7
	s_fmamk_f32 s3, s7, 0xcf800000, s3
	s_cvt_u32_f32 s13, s7
	s_delay_alu instid0(SALU_CYCLE_2) | instskip(NEXT) | instid1(SALU_CYCLE_3)
	s_cvt_u32_f32 s12, s3
	s_mul_u64 s[24:25], s[20:21], s[12:13]
	s_delay_alu instid0(SALU_CYCLE_1)
	s_mul_hi_u32 s29, s12, s25
	s_mul_i32 s28, s12, s25
	s_mul_hi_u32 s22, s12, s24
	s_mul_i32 s7, s13, s24
	s_add_nc_u64 s[22:23], s[22:23], s[28:29]
	s_mul_hi_u32 s3, s13, s24
	s_mul_hi_u32 s14, s13, s25
	s_add_co_u32 s7, s22, s7
	s_add_co_ci_u32 s26, s23, s3
	s_mul_i32 s24, s13, s25
	s_add_co_ci_u32 s25, s14, 0
	s_delay_alu instid0(SALU_CYCLE_1) | instskip(SKIP_3) | instid1(SALU_CYCLE_1)
	s_add_nc_u64 s[22:23], s[26:27], s[24:25]
	s_mov_b32 s25, s17
	s_add_co_u32 s12, s12, s22
	s_cselect_b32 s3, -1, 0
	s_cmp_lg_u32 s3, 0
	s_add_co_ci_u32 s13, s13, s23
	s_mov_b32 s23, s17
	s_mul_u64 s[20:21], s[20:21], s[12:13]
	s_delay_alu instid0(SALU_CYCLE_1)
	s_mul_hi_u32 s27, s12, s21
	s_mul_i32 s26, s12, s21
	s_mul_hi_u32 s22, s12, s20
	s_mul_i32 s7, s13, s20
	s_add_nc_u64 s[22:23], s[22:23], s[26:27]
	s_mul_hi_u32 s3, s13, s20
	s_mul_hi_u32 s14, s13, s21
	s_add_co_u32 s7, s22, s7
	s_add_co_ci_u32 s24, s23, s3
	s_mul_i32 s20, s13, s21
	s_add_co_ci_u32 s21, s14, 0
	s_mov_b32 s23, s17
	s_add_nc_u64 s[20:21], s[24:25], s[20:21]
	s_delay_alu instid0(SALU_CYCLE_1) | instskip(SKIP_1) | instid1(SALU_CYCLE_1)
	s_add_co_u32 s3, s12, s20
	s_cselect_b32 s7, -1, 0
	s_cmp_lg_u32 s7, 0
	s_add_co_ci_u32 s7, s13, s21
	s_ashr_i32 s12, s9, 31
	s_delay_alu instid0(SALU_CYCLE_1) | instskip(NEXT) | instid1(SALU_CYCLE_1)
	s_mov_b32 s13, s12
	s_add_nc_u64 s[20:21], s[8:9], s[12:13]
	s_delay_alu instid0(SALU_CYCLE_1) | instskip(NEXT) | instid1(SALU_CYCLE_1)
	s_xor_b64 s[20:21], s[20:21], s[12:13]
	s_mul_hi_u32 s27, s20, s7
	s_mul_i32 s26, s20, s7
	s_mul_hi_u32 s22, s20, s3
	s_mul_hi_u32 s14, s21, s3
	s_mul_i32 s3, s21, s3
	s_add_nc_u64 s[22:23], s[22:23], s[26:27]
	s_mul_hi_u32 s9, s21, s7
	s_add_co_u32 s3, s22, s3
	s_add_co_ci_u32 s24, s23, s14
	s_mul_i32 s26, s21, s7
	s_add_co_ci_u32 s27, s9, 0
	s_delay_alu instid0(SALU_CYCLE_1) | instskip(NEXT) | instid1(SALU_CYCLE_1)
	s_add_nc_u64 s[22:23], s[24:25], s[26:27]
	s_and_b64 s[24:25], s[22:23], 0xffffffff00000000
	s_delay_alu instid0(SALU_CYCLE_1) | instskip(NEXT) | instid1(SALU_CYCLE_1)
	s_or_b32 s24, s24, s22
	s_mul_u64 s[22:23], s[10:11], s[24:25]
	s_add_nc_u64 s[26:27], s[24:25], 1
	s_sub_co_u32 s3, s20, s22
	s_cselect_b32 s7, -1, 0
	s_sub_co_i32 s9, s21, s23
	s_cmp_lg_u32 s7, 0
	s_add_nc_u64 s[28:29], s[24:25], 2
	s_sub_co_ci_u32 s9, s9, s11
	s_sub_co_u32 s14, s3, s10
	s_cselect_b32 s20, -1, 0
	s_delay_alu instid0(SALU_CYCLE_1) | instskip(SKIP_1) | instid1(SALU_CYCLE_1)
	s_cmp_lg_u32 s20, 0
	s_sub_co_ci_u32 s9, s9, 0
	s_cmp_ge_u32 s9, s11
	s_cselect_b32 s20, -1, 0
	s_cmp_ge_u32 s14, s10
	s_cselect_b32 s14, -1, 0
	s_cmp_eq_u32 s9, s11
	s_cselect_b32 s9, s14, s20
	s_delay_alu instid0(SALU_CYCLE_1) | instskip(SKIP_4) | instid1(SALU_CYCLE_1)
	s_cmp_lg_u32 s9, 0
	s_cselect_b32 s9, s28, s26
	s_cselect_b32 s14, s29, s27
	s_cmp_lg_u32 s7, 0
	s_sub_co_ci_u32 s7, s21, s23
	s_cmp_ge_u32 s7, s11
	s_cselect_b32 s20, -1, 0
	s_cmp_ge_u32 s3, s10
	s_cselect_b32 s3, -1, 0
	s_cmp_eq_u32 s7, s11
	s_cselect_b32 s3, s3, s20
	s_delay_alu instid0(SALU_CYCLE_1) | instskip(SKIP_4) | instid1(SALU_CYCLE_1)
	s_cmp_lg_u32 s3, 0
	s_mov_b32 s3, s17
	s_cselect_b32 s11, s14, s25
	s_cselect_b32 s10, s9, s24
	s_xor_b64 s[12:13], s[12:13], 0
	s_xor_b64 s[10:11], s[10:11], s[12:13]
	s_delay_alu instid0(SALU_CYCLE_1)
	s_sub_nc_u64 s[20:21], s[10:11], s[12:13]
	s_and_not1_b32 vcc_lo, exec_lo, s3
	s_cbranch_vccnz .LBB48_3
.LBB48_2:
	v_cvt_f32_u32_e32 v1, s16
	s_sub_co_i32 s7, 0, s16
	s_mov_b32 s21, 0
	s_delay_alu instid0(VALU_DEP_1) | instskip(SKIP_1) | instid1(TRANS32_DEP_1)
	v_rcp_iflag_f32_e32 v1, v1
	v_nop
	v_mul_f32_e32 v1, 0x4f7ffffe, v1
	s_delay_alu instid0(VALU_DEP_1) | instskip(NEXT) | instid1(VALU_DEP_1)
	v_cvt_u32_f32_e32 v1, v1
	v_readfirstlane_b32 s3, v1
	s_mul_i32 s7, s7, s3
	s_delay_alu instid0(SALU_CYCLE_1) | instskip(NEXT) | instid1(SALU_CYCLE_1)
	s_mul_hi_u32 s7, s3, s7
	s_add_co_i32 s3, s3, s7
	s_delay_alu instid0(SALU_CYCLE_1) | instskip(NEXT) | instid1(SALU_CYCLE_1)
	s_mul_hi_u32 s3, s8, s3
	s_mul_i32 s7, s3, s16
	s_delay_alu instid0(SALU_CYCLE_1)
	s_sub_co_i32 s7, s8, s7
	s_add_co_i32 s8, s3, 1
	s_sub_co_i32 s9, s7, s16
	s_cmp_ge_u32 s7, s16
	s_cselect_b32 s3, s8, s3
	s_cselect_b32 s7, s9, s7
	s_add_co_i32 s8, s3, 1
	s_cmp_ge_u32 s7, s16
	s_cselect_b32 s20, s8, s3
.LBB48_3:
	s_add_co_i32 s8, s2, 1
	s_delay_alu instid0(SALU_CYCLE_1) | instskip(NEXT) | instid1(SALU_CYCLE_1)
	s_ashr_i32 s9, s8, 31
	s_mul_u64 s[8:9], s[18:19], s[8:9]
	s_delay_alu instid0(SALU_CYCLE_1) | instskip(NEXT) | instid1(SALU_CYCLE_1)
	s_and_b64 s[10:11], s[8:9], 0xffffffff00000000
	s_cmp_lg_u64 s[10:11], 0
	s_cbranch_scc0 .LBB48_22
; %bb.4:
	s_add_nc_u64 s[10:11], s[16:17], 0
	s_delay_alu instid0(SALU_CYCLE_1) | instskip(SKIP_4) | instid1(SALU_CYCLE_2)
	s_xor_b64 s[12:13], s[10:11], 0
	s_mov_b32 s11, 0
	s_cvt_f32_u32 s3, s12
	s_cvt_f32_u32 s7, s13
	s_sub_nc_u64 s[24:25], 0, s[12:13]
	s_fmamk_f32 s3, s7, 0x4f800000, s3
	s_delay_alu instid0(SALU_CYCLE_3) | instskip(NEXT) | instid1(TRANS32_DEP_1)
	v_s_rcp_f32 s3, s3
	s_mul_f32 s3, s3, 0x5f7ffffc
	s_delay_alu instid0(SALU_CYCLE_3) | instskip(NEXT) | instid1(SALU_CYCLE_3)
	s_mul_f32 s7, s3, 0x2f800000
	s_trunc_f32 s7, s7
	s_delay_alu instid0(SALU_CYCLE_3) | instskip(SKIP_1) | instid1(SALU_CYCLE_2)
	s_fmamk_f32 s3, s7, 0xcf800000, s3
	s_cvt_u32_f32 s23, s7
	s_cvt_u32_f32 s22, s3
	s_delay_alu instid0(SALU_CYCLE_3) | instskip(NEXT) | instid1(SALU_CYCLE_1)
	s_mul_u64 s[26:27], s[24:25], s[22:23]
	s_mul_hi_u32 s29, s22, s27
	s_mul_i32 s28, s22, s27
	s_mul_hi_u32 s10, s22, s26
	s_mul_i32 s7, s23, s26
	s_add_nc_u64 s[28:29], s[10:11], s[28:29]
	s_mul_hi_u32 s3, s23, s26
	s_mul_hi_u32 s14, s23, s27
	s_add_co_u32 s7, s28, s7
	s_add_co_ci_u32 s10, s29, s3
	s_mul_i32 s26, s23, s27
	s_add_co_ci_u32 s27, s14, 0
	s_delay_alu instid0(SALU_CYCLE_1) | instskip(NEXT) | instid1(SALU_CYCLE_1)
	s_add_nc_u64 s[26:27], s[10:11], s[26:27]
	s_add_co_u32 s22, s22, s26
	s_cselect_b32 s3, -1, 0
	s_delay_alu instid0(SALU_CYCLE_1) | instskip(SKIP_1) | instid1(SALU_CYCLE_1)
	s_cmp_lg_u32 s3, 0
	s_add_co_ci_u32 s23, s23, s27
	s_mul_u64 s[24:25], s[24:25], s[22:23]
	s_delay_alu instid0(SALU_CYCLE_1)
	s_mul_hi_u32 s27, s22, s25
	s_mul_i32 s26, s22, s25
	s_mul_hi_u32 s10, s22, s24
	s_mul_i32 s7, s23, s24
	s_add_nc_u64 s[26:27], s[10:11], s[26:27]
	s_mul_hi_u32 s3, s23, s24
	s_mul_hi_u32 s14, s23, s25
	s_add_co_u32 s7, s26, s7
	s_add_co_ci_u32 s10, s27, s3
	s_mul_i32 s24, s23, s25
	s_add_co_ci_u32 s25, s14, 0
	s_delay_alu instid0(SALU_CYCLE_1) | instskip(NEXT) | instid1(SALU_CYCLE_1)
	s_add_nc_u64 s[24:25], s[10:11], s[24:25]
	s_add_co_u32 s3, s22, s24
	s_cselect_b32 s7, -1, 0
	s_delay_alu instid0(SALU_CYCLE_1) | instskip(SKIP_2) | instid1(SALU_CYCLE_1)
	s_cmp_lg_u32 s7, 0
	s_add_co_ci_u32 s7, s23, s25
	s_ashr_i32 s22, s9, 31
	s_mov_b32 s23, s22
	s_delay_alu instid0(SALU_CYCLE_1) | instskip(NEXT) | instid1(SALU_CYCLE_1)
	s_add_nc_u64 s[24:25], s[8:9], s[22:23]
	s_xor_b64 s[24:25], s[24:25], s[22:23]
	s_delay_alu instid0(SALU_CYCLE_1)
	s_mul_hi_u32 s27, s24, s7
	s_mul_i32 s26, s24, s7
	s_mul_hi_u32 s10, s24, s3
	s_mul_hi_u32 s14, s25, s3
	s_mul_i32 s3, s25, s3
	s_add_nc_u64 s[26:27], s[10:11], s[26:27]
	s_mul_hi_u32 s9, s25, s7
	s_add_co_u32 s3, s26, s3
	s_add_co_ci_u32 s10, s27, s14
	s_mul_i32 s28, s25, s7
	s_add_co_ci_u32 s29, s9, 0
	s_delay_alu instid0(SALU_CYCLE_1) | instskip(NEXT) | instid1(SALU_CYCLE_1)
	s_add_nc_u64 s[26:27], s[10:11], s[28:29]
	s_and_b64 s[28:29], s[26:27], 0xffffffff00000000
	s_delay_alu instid0(SALU_CYCLE_1) | instskip(NEXT) | instid1(SALU_CYCLE_1)
	s_or_b32 s28, s28, s26
	s_mul_u64 s[26:27], s[12:13], s[28:29]
	s_add_nc_u64 s[30:31], s[28:29], 1
	s_sub_co_u32 s3, s24, s26
	s_cselect_b32 s7, -1, 0
	s_sub_co_i32 s9, s25, s27
	s_cmp_lg_u32 s7, 0
	s_add_nc_u64 s[34:35], s[28:29], 2
	s_sub_co_ci_u32 s9, s9, s13
	s_sub_co_u32 s10, s3, s12
	s_cselect_b32 s14, -1, 0
	s_delay_alu instid0(SALU_CYCLE_1) | instskip(SKIP_1) | instid1(SALU_CYCLE_1)
	s_cmp_lg_u32 s14, 0
	s_sub_co_ci_u32 s9, s9, 0
	s_cmp_ge_u32 s9, s13
	s_cselect_b32 s14, -1, 0
	s_cmp_ge_u32 s10, s12
	s_cselect_b32 s10, -1, 0
	s_cmp_eq_u32 s9, s13
	s_cselect_b32 s9, s10, s14
	s_delay_alu instid0(SALU_CYCLE_1) | instskip(SKIP_4) | instid1(SALU_CYCLE_1)
	s_cmp_lg_u32 s9, 0
	s_cselect_b32 s9, s34, s30
	s_cselect_b32 s10, s35, s31
	s_cmp_lg_u32 s7, 0
	s_sub_co_ci_u32 s7, s25, s27
	s_cmp_ge_u32 s7, s13
	s_cselect_b32 s14, -1, 0
	s_cmp_ge_u32 s3, s12
	s_cselect_b32 s3, -1, 0
	s_cmp_eq_u32 s7, s13
	s_cselect_b32 s3, s3, s14
	s_delay_alu instid0(SALU_CYCLE_1) | instskip(SKIP_3) | instid1(SALU_CYCLE_1)
	s_cmp_lg_u32 s3, 0
	s_cselect_b32 s13, s10, s29
	s_cselect_b32 s12, s9, s28
	s_xor_b64 s[22:23], s[22:23], 0
	s_xor_b64 s[12:13], s[12:13], s[22:23]
	s_delay_alu instid0(SALU_CYCLE_1)
	s_sub_nc_u64 s[24:25], s[12:13], s[22:23]
	s_load_b96 s[12:14], s[0:1], 0x44
	s_cbranch_execnz .LBB48_6
.LBB48_5:
	v_cvt_f32_u32_e32 v1, s16
	s_sub_co_i32 s7, 0, s16
	s_delay_alu instid0(VALU_DEP_1) | instskip(SKIP_1) | instid1(TRANS32_DEP_1)
	v_rcp_iflag_f32_e32 v1, v1
	v_nop
	v_mul_f32_e32 v1, 0x4f7ffffe, v1
	s_delay_alu instid0(VALU_DEP_1) | instskip(NEXT) | instid1(VALU_DEP_1)
	v_cvt_u32_f32_e32 v1, v1
	v_readfirstlane_b32 s3, v1
	s_mul_i32 s7, s7, s3
	s_delay_alu instid0(SALU_CYCLE_1) | instskip(NEXT) | instid1(SALU_CYCLE_1)
	s_mul_hi_u32 s7, s3, s7
	s_add_co_i32 s3, s3, s7
	s_delay_alu instid0(SALU_CYCLE_1) | instskip(NEXT) | instid1(SALU_CYCLE_1)
	s_mul_hi_u32 s3, s8, s3
	s_mul_i32 s7, s3, s16
	s_delay_alu instid0(SALU_CYCLE_1)
	s_sub_co_i32 s7, s8, s7
	s_add_co_i32 s8, s3, 1
	s_sub_co_i32 s9, s7, s16
	s_cmp_ge_u32 s7, s16
	s_cselect_b32 s3, s8, s3
	s_cselect_b32 s7, s9, s7
	s_add_co_i32 s8, s3, 1
	s_cmp_ge_u32 s7, s16
	s_cselect_b32 s24, s8, s3
.LBB48_6:
	s_delay_alu instid0(SALU_CYCLE_1)
	s_cmp_eq_u32 s20, s24
	s_mov_b64 s[8:9], 0xffffffff
	s_cselect_b32 s3, -1, 0
	s_and_b64 s[8:9], s[20:21], s[8:9]
	s_mov_b32 s23, 0
	s_wait_kmcnt 0x0
	s_mov_b32 s22, s12
	s_mov_b32 s25, s23
	s_mul_u64 s[10:11], s[8:9], s[22:23]
	s_delay_alu instid0(SALU_CYCLE_1) | instskip(SKIP_2) | instid1(SALU_CYCLE_1)
	s_add_co_i32 s7, s11, s20
	s_mul_u64 s[10:11], s[24:25], s[22:23]
	s_lshr_b32 s12, s7, s13
	s_mul_i32 s7, s12, s14
	s_delay_alu instid0(SALU_CYCLE_1) | instskip(SKIP_2) | instid1(SALU_CYCLE_1)
	s_cmp_eq_u32 s7, s20
	s_cselect_b32 s7, -1, 0
	s_add_co_i32 s10, s11, s24
	s_lshr_b32 s10, s10, s13
	s_delay_alu instid0(SALU_CYCLE_1)
	s_cmp_eq_u32 s12, s10
	s_mul_i32 s10, s10, s14
	s_cselect_b32 s11, -1, 0
	s_cmp_lg_u32 s10, s24
	s_cselect_b32 s10, -1, 0
	s_or_b32 s3, s3, s7
	s_and_b32 s10, s11, s10
	s_delay_alu instid0(SALU_CYCLE_1) | instskip(NEXT) | instid1(SALU_CYCLE_1)
	s_or_b32 s3, s3, s10
	s_and_b32 vcc_lo, exec_lo, s3
	s_cbranch_vccnz .LBB48_24
; %bb.7:
	s_load_b256 s[24:31], s[0:1], 0x20
	s_bfe_u32 s7, ttmp6, 0x40014
	s_bfe_u32 s33, ttmp6, 0x40010
	s_lshr_b32 s3, ttmp7, 16
	s_add_co_i32 s7, s7, 1
	s_and_b32 s21, ttmp7, 0xffff
	s_add_co_i32 s33, s33, 1
	s_bfe_u32 s10, ttmp6, 0x40008
	s_mul_i32 s7, s3, s7
	s_bfe_u32 s34, ttmp6, 0x40004
	s_mul_i32 s33, s21, s33
	s_mov_b32 s11, s23
	s_add_co_i32 s35, s10, s7
	s_add_co_i32 s34, s34, s33
	s_cmp_eq_u32 s15, 0
	s_cselect_b32 s7, s21, s34
	s_cselect_b32 s3, s3, s35
	s_wait_kmcnt 0x0
	s_mov_b32 s10, s24
	s_delay_alu instid0(SALU_CYCLE_1) | instskip(NEXT) | instid1(SALU_CYCLE_1)
	s_mul_u64 s[8:9], s[8:9], s[10:11]
	s_add_co_i32 s8, s9, s20
	s_load_b32 s9, s[0:1], 0x40
	s_lshr_b32 s8, s8, s25
	s_delay_alu instid0(SALU_CYCLE_1) | instskip(NEXT) | instid1(SALU_CYCLE_1)
	s_mul_i32 s10, s8, s26
	s_sub_co_i32 s10, s20, s10
	s_delay_alu instid0(SALU_CYCLE_1) | instskip(NEXT) | instid1(SALU_CYCLE_1)
	s_mul_hi_u32 s11, s10, s27
	s_add_co_i32 s11, s10, s11
	s_delay_alu instid0(SALU_CYCLE_1) | instskip(NEXT) | instid1(SALU_CYCLE_1)
	s_lshr_b32 s15, s11, s28
	s_mul_i32 s11, s15, s29
	s_delay_alu instid0(SALU_CYCLE_1) | instskip(NEXT) | instid1(SALU_CYCLE_1)
	s_sub_co_i32 s10, s10, s11
	s_mul_hi_u32 s11, s10, s30
	s_delay_alu instid0(SALU_CYCLE_1) | instskip(NEXT) | instid1(SALU_CYCLE_1)
	s_add_co_i32 s11, s10, s11
	s_lshr_b32 s26, s11, s31
	s_mov_b32 s11, s23
	s_wait_kmcnt 0x0
	s_mul_i32 s9, s26, s9
	s_delay_alu instid0(SALU_CYCLE_1) | instskip(NEXT) | instid1(SALU_CYCLE_1)
	s_sub_co_i32 s10, s10, s9
	s_mul_u64 s[24:25], s[10:11], s[22:23]
	s_lshl_b32 s24, s26, 1
	s_add_co_i32 s9, s10, s25
	s_delay_alu instid0(SALU_CYCLE_1) | instskip(NEXT) | instid1(SALU_CYCLE_1)
	s_lshr_b32 s21, s9, s13
	s_lshl_b32 s9, s21, 1
	s_delay_alu instid0(SALU_CYCLE_1) | instskip(NEXT) | instid1(SALU_CYCLE_1)
	s_add_co_i32 s9, s9, s7
	s_cmp_lt_i32 s9, s4
	s_cselect_b32 s9, -1, 0
	s_add_co_i32 s10, s24, s3
	s_delay_alu instid0(SALU_CYCLE_1) | instskip(SKIP_1) | instid1(SALU_CYCLE_1)
	s_cmp_lt_i32 s10, s6
	s_cselect_b32 s10, -1, 0
	s_and_b32 s9, s9, s10
	s_delay_alu instid0(SALU_CYCLE_1)
	s_and_not1_b32 vcc_lo, exec_lo, s9
	s_cbranch_vccnz .LBB48_24
; %bb.8:
	s_mul_i32 s4, s8, s4
	s_load_b128 s[8:11], s[0:1], 0x0
	s_wait_xcnt 0x0
	s_add_co_i32 s0, s4, s7
	s_mul_i32 s15, s15, s6
	s_mul_i32 s0, s0, s5
	;; [unrolled: 1-line block ×3, first 2 shown]
	s_add_co_i32 s0, s0, s3
	s_lshl_b32 s1, s1, 7
	s_add_co_i32 s0, s0, s15
	s_lshl_b32 s15, s7, 1
	s_add_co_i32 s0, s0, s24
	s_add_co_i32 s15, s15, s3
	s_lshl_b32 s0, s0, 6
	v_lshl_or_b32 v6, s15, 6, v0
	s_add_co_i32 s1, s1, s0
	v_cvt_f32_u32_e32 v4, s16
	v_or_b32_e32 v2, s1, v0
	s_add_nc_u64 s[0:1], s[16:17], 0
	s_lshl_b32 s24, s16, 4
	s_xor_b64 s[6:7], s[0:1], 0
	s_lshl_b32 s0, s2, 2
	s_cvt_f32_u32 s3, s6
	s_add_co_i32 s0, s15, s0
	s_cvt_f32_u32 s4, s7
	s_ashr_i32 s1, s0, 31
	v_rcp_iflag_f32_e32 v4, v4
	s_lshl_b64 s[0:1], s[0:1], 3
	s_fmamk_f32 s3, s4, 0x4f800000, s3
	s_wait_kmcnt 0x0
	s_add_nc_u64 s[0:1], s[10:11], s[0:1]
	s_mov_b32 s25, 0
	s_load_b64 s[28:29], s[0:1], 0x0
	v_s_rcp_f32 s3, s3
	s_wait_xcnt 0x0
	s_lshl_b64 s[0:1], s[24:25], 2
	s_add_co_i32 s36, s2, -1
	s_add_nc_u64 s[26:27], s[10:11], s[0:1]
	s_sub_nc_u64 s[34:35], 0, s[6:7]
	v_mul_f32_e32 v4, 0x4f7ffffe, v4
	s_delay_alu instid0(TRANS32_DEP_1) | instskip(NEXT) | instid1(VALU_DEP_1)
	s_mul_f32 s3, s3, 0x5f7ffffc
	v_cvt_u32_f32_e32 v7, v4
	s_delay_alu instid0(SALU_CYCLE_2) | instskip(NEXT) | instid1(SALU_CYCLE_3)
	s_mul_f32 s4, s3, 0x2f800000
	s_trunc_f32 s4, s4
	s_wait_kmcnt 0x0
	v_mov_b32_e32 v0, s29
	global_load_b32 v1, v2, s[8:9] scale_offset
	v_ashrrev_i32_e32 v3, 31, v2
	s_fmamk_f32 s0, s4, 0xcf800000, s3
	s_cvt_u32_f32 s31, s4
	s_wait_xcnt 0x0
	s_delay_alu instid0(VALU_DEP_1)
	v_lshl_add_u64 v[2:3], v[2:3], 2, s[8:9]
	s_cvt_u32_f32 s30, s0
	s_mov_b64 s[8:9], 0xffffffff
.LBB48_9:                               ; =>This Inner Loop Header: Depth=1
	s_ashr_i32 s37, s36, 31
                                        ; implicit-def: $sgpr40_sgpr41
	s_delay_alu instid0(SALU_CYCLE_1) | instskip(NEXT) | instid1(SALU_CYCLE_1)
	s_mul_u64 s[0:1], s[36:37], s[18:19]
	s_and_b64 s[2:3], s[0:1], 0xffffffff00000000
	s_delay_alu instid0(SALU_CYCLE_1)
	s_cmp_lg_u64 s[2:3], 0
	s_mov_b32 s2, -1
	s_cbranch_scc0 .LBB48_11
; %bb.10:                               ;   in Loop: Header=BB48_9 Depth=1
	s_mul_u64 s[2:3], s[34:35], s[30:31]
	s_delay_alu instid0(SALU_CYCLE_1)
	s_mul_hi_u32 s5, s30, s3
	s_mul_i32 s4, s30, s3
	s_mul_hi_u32 s24, s30, s2
	s_mul_hi_u32 s17, s31, s2
	s_add_nc_u64 s[4:5], s[24:25], s[4:5]
	s_mul_i32 s2, s31, s2
	s_mul_hi_u32 s21, s31, s3
	s_add_co_u32 s2, s4, s2
	s_add_co_ci_u32 s24, s5, s17
	s_add_co_ci_u32 s5, s21, 0
	s_mul_i32 s4, s31, s3
	s_delay_alu instid0(SALU_CYCLE_1) | instskip(NEXT) | instid1(SALU_CYCLE_1)
	s_add_nc_u64 s[2:3], s[24:25], s[4:5]
	s_add_co_u32 s2, s30, s2
	s_cselect_b32 s4, -1, 0
	s_delay_alu instid0(SALU_CYCLE_1) | instskip(SKIP_1) | instid1(SALU_CYCLE_1)
	s_cmp_lg_u32 s4, 0
	s_add_co_ci_u32 s3, s31, s3
	s_mul_u64 s[4:5], s[34:35], s[2:3]
	s_delay_alu instid0(SALU_CYCLE_1)
	s_mul_hi_u32 s39, s2, s5
	s_mul_i32 s38, s2, s5
	s_mul_hi_u32 s24, s2, s4
	s_mul_hi_u32 s17, s3, s4
	s_mul_i32 s4, s3, s4
	s_add_nc_u64 s[38:39], s[24:25], s[38:39]
	s_mul_hi_u32 s21, s3, s5
	s_add_co_u32 s4, s38, s4
	s_add_co_ci_u32 s24, s39, s17
	s_mul_i32 s4, s3, s5
	s_add_co_ci_u32 s5, s21, 0
	s_delay_alu instid0(SALU_CYCLE_1) | instskip(NEXT) | instid1(SALU_CYCLE_1)
	s_add_nc_u64 s[4:5], s[24:25], s[4:5]
	s_add_co_u32 s17, s2, s4
	s_cselect_b32 s2, -1, 0
	s_delay_alu instid0(SALU_CYCLE_1) | instskip(SKIP_2) | instid1(SALU_CYCLE_1)
	s_cmp_lg_u32 s2, 0
	s_add_co_ci_u32 s21, s3, s5
	s_ashr_i32 s2, s1, 31
	s_mov_b32 s3, s2
	s_delay_alu instid0(SALU_CYCLE_1) | instskip(NEXT) | instid1(SALU_CYCLE_1)
	s_add_nc_u64 s[4:5], s[0:1], s[2:3]
	s_xor_b64 s[4:5], s[4:5], s[2:3]
	s_delay_alu instid0(SALU_CYCLE_1)
	s_mul_hi_u32 s39, s4, s21
	s_mul_i32 s38, s4, s21
	s_mul_hi_u32 s24, s4, s17
	s_mul_hi_u32 s29, s5, s17
	s_mul_i32 s17, s5, s17
	s_add_nc_u64 s[38:39], s[24:25], s[38:39]
	s_mul_hi_u32 s1, s5, s21
	s_add_co_u32 s17, s38, s17
	s_add_co_ci_u32 s24, s39, s29
	s_mul_i32 s40, s5, s21
	s_add_co_ci_u32 s41, s1, 0
	s_delay_alu instid0(SALU_CYCLE_1) | instskip(NEXT) | instid1(SALU_CYCLE_1)
	s_add_nc_u64 s[38:39], s[24:25], s[40:41]
	s_and_b64 s[40:41], s[38:39], 0xffffffff00000000
	s_delay_alu instid0(SALU_CYCLE_1) | instskip(NEXT) | instid1(SALU_CYCLE_1)
	s_or_b32 s40, s40, s38
	s_mul_u64 s[38:39], s[6:7], s[40:41]
	s_add_nc_u64 s[42:43], s[40:41], 1
	s_sub_co_u32 s1, s4, s38
	s_cselect_b32 s4, -1, 0
	s_sub_co_i32 s17, s5, s39
	s_cmp_lg_u32 s4, 0
	s_add_nc_u64 s[44:45], s[40:41], 2
	s_sub_co_ci_u32 s17, s17, s7
	s_sub_co_u32 s21, s1, s6
	s_cselect_b32 s24, -1, 0
	s_delay_alu instid0(SALU_CYCLE_1) | instskip(SKIP_1) | instid1(SALU_CYCLE_1)
	s_cmp_lg_u32 s24, 0
	s_sub_co_ci_u32 s17, s17, 0
	s_cmp_ge_u32 s17, s7
	s_cselect_b32 s24, -1, 0
	s_cmp_ge_u32 s21, s6
	s_cselect_b32 s21, -1, 0
	s_cmp_eq_u32 s17, s7
	s_cselect_b32 s17, s21, s24
	s_delay_alu instid0(SALU_CYCLE_1) | instskip(SKIP_4) | instid1(SALU_CYCLE_1)
	s_cmp_lg_u32 s17, 0
	s_cselect_b32 s17, s44, s42
	s_cselect_b32 s21, s45, s43
	s_cmp_lg_u32 s4, 0
	s_sub_co_ci_u32 s4, s5, s39
	s_cmp_ge_u32 s4, s7
	s_cselect_b32 s5, -1, 0
	s_cmp_ge_u32 s1, s6
	s_cselect_b32 s1, -1, 0
	s_cmp_eq_u32 s4, s7
	s_cselect_b32 s1, s1, s5
	s_delay_alu instid0(SALU_CYCLE_1) | instskip(SKIP_3) | instid1(SALU_CYCLE_1)
	s_cmp_lg_u32 s1, 0
	s_cselect_b32 s5, s21, s41
	s_cselect_b32 s4, s17, s40
	s_xor_b64 s[2:3], s[2:3], 0
	s_xor_b64 s[4:5], s[4:5], s[2:3]
	s_delay_alu instid0(SALU_CYCLE_1)
	s_sub_nc_u64 s[40:41], s[4:5], s[2:3]
	s_mov_b32 s2, 0
.LBB48_11:                              ;   in Loop: Header=BB48_9 Depth=1
	s_delay_alu instid0(SALU_CYCLE_1)
	s_and_not1_b32 vcc_lo, exec_lo, s2
	s_cbranch_vccnz .LBB48_13
; %bb.12:                               ;   in Loop: Header=BB48_9 Depth=1
	v_readfirstlane_b32 s1, v7
	s_sub_co_i32 s2, 0, s16
	s_delay_alu instid0(SALU_CYCLE_1) | instskip(NEXT) | instid1(SALU_CYCLE_1)
	s_mul_i32 s2, s2, s1
	s_mul_hi_u32 s2, s1, s2
	s_delay_alu instid0(SALU_CYCLE_1) | instskip(NEXT) | instid1(SALU_CYCLE_1)
	s_add_co_i32 s1, s1, s2
	s_mul_hi_u32 s1, s0, s1
	s_delay_alu instid0(SALU_CYCLE_1) | instskip(NEXT) | instid1(SALU_CYCLE_1)
	s_mul_i32 s2, s1, s16
	s_sub_co_i32 s0, s0, s2
	s_add_co_i32 s2, s1, 1
	s_sub_co_i32 s3, s0, s16
	s_cmp_ge_u32 s0, s16
	s_cselect_b32 s1, s2, s1
	s_cselect_b32 s0, s3, s0
	s_add_co_i32 s2, s1, 1
	s_cmp_ge_u32 s0, s16
	s_cselect_b32 s24, s2, s1
	s_delay_alu instid0(SALU_CYCLE_1)
	s_mov_b64 s[40:41], s[24:25]
.LBB48_13:                              ;   in Loop: Header=BB48_9 Depth=1
	s_delay_alu instid0(SALU_CYCLE_1)
	s_cmp_lg_u32 s20, s40
	s_mov_b32 s0, -1
                                        ; implicit-def: $vgpr4_vgpr5
                                        ; implicit-def: $sgpr24
                                        ; implicit-def: $sgpr17
                                        ; implicit-def: $sgpr21
                                        ; implicit-def: $sgpr29
	s_cbranch_scc0 .LBB48_18
; %bb.14:                               ;   in Loop: Header=BB48_9 Depth=1
	s_add_co_i32 s0, s36, s16
	v_max_num_f32_e64 v4, s28, s28
	s_lshl_b32 s0, s0, 2
	s_mov_b32 s29, s20
	s_add_co_i32 s0, s0, s15
	s_load_b64 s[38:39], s[10:11], s0 offset:0x0 scale_offset
	s_wait_xcnt 0x0
	v_readfirstlane_b32 s0, v4
	s_wait_kmcnt 0x0
	v_max_num_f32_e64 v5, s38, s38
	s_delay_alu instid0(VALU_DEP_1) | instskip(SKIP_1) | instid1(SALU_CYCLE_3)
	v_readfirstlane_b32 s1, v5
	s_max_num_f32 s17, s0, s1
	s_sub_f32 s33, s28, s17
	s_sub_f32 s37, s38, s17
	s_delay_alu instid0(SALU_CYCLE_2)
	s_cmp_nlt_f32 s33, 0xc2ce8ed0
	s_cselect_b32 s1, -1, 0
	s_cmp_ngt_f32 s33, 0x42b17218
	s_cselect_b32 s2, -1, 0
	s_cmp_ge_f32 s33, 0xc1a00000
	s_cselect_b32 s0, -1, 0
	s_cmp_nlt_f32 s37, 0xc2ce8ed0
	s_cselect_b32 s3, -1, 0
	s_cmp_ngt_f32 s37, 0x42b17218
	s_cselect_b32 s4, -1, 0
	s_cmp_ge_f32 s37, 0xc1a00000
	s_cselect_b32 s5, -1, 0
	s_and_b64 s[42:43], s[40:41], s[8:9]
	s_delay_alu instid0(SALU_CYCLE_1) | instskip(NEXT) | instid1(SALU_CYCLE_1)
	s_mul_u64 s[42:43], s[42:43], s[22:23]
	s_add_co_i32 s21, s43, s40
	s_delay_alu instid0(SALU_CYCLE_1) | instskip(NEXT) | instid1(SALU_CYCLE_1)
	s_lshr_b32 s21, s21, s13
	s_mul_i32 s24, s21, s14
	s_delay_alu instid0(SALU_CYCLE_1) | instskip(SKIP_3) | instid1(SALU_CYCLE_1)
	s_cmp_eq_u32 s24, s40
	s_cselect_b32 s24, -1, 0
	s_cmp_lt_u32 s21, s12
	s_cselect_b32 s21, -1, 0
	s_or_b32 s21, s21, s24
	s_mov_b32 s24, -1
	s_and_b32 vcc_lo, exec_lo, s21
	s_mov_b32 s21, s36
	s_cbranch_vccnz .LBB48_16
; %bb.15:                               ;   in Loop: Header=BB48_9 Depth=1
	s_add_co_i32 s21, s36, -1
	s_mov_b32 s24, 0
	s_mov_b32 s29, s40
.LBB48_16:                              ;   in Loop: Header=BB48_9 Depth=1
	v_lshl_add_u32 v4, s36, 8, v6
	s_mul_f32 s40, s33, 0x3fb8aa3b
	s_mul_f32 s38, s37, 0x3fb8aa3b
	s_delay_alu instid0(SALU_CYCLE_2)
	s_xor_b32 s42, s40, 0x80000000
	global_load_b32 v5, v4, s[26:27] scale_offset
	s_fmamk_f32 s42, s33, 0x3fb8aa3b, s42
	s_rndne_f32 s44, s40
	s_xor_b32 s41, s38, 0x80000000
	s_rndne_f32 s43, s38
	s_fmamk_f32 s33, s33, 0x32a5705f, s42
	s_sub_f32 s40, s40, s44
	s_fmamk_f32 s41, s37, 0x3fb8aa3b, s41
	s_sub_f32 s38, s38, s43
	s_delay_alu instid0(SALU_CYCLE_1) | instskip(NEXT) | instid1(SALU_CYCLE_1)
	s_add_f32 s33, s40, s33
	s_fmamk_f32 s37, s37, 0x32a5705f, s41
	s_cvt_i32_f32 s40, s44
	s_delay_alu instid0(SALU_CYCLE_1) | instskip(NEXT) | instid1(SALU_CYCLE_1)
	v_s_exp_f32 s33, s33
	s_add_f32 s37, s38, s37
	s_cvt_i32_f32 s38, s43
	s_delay_alu instid0(SALU_CYCLE_2) | instskip(NEXT) | instid1(TRANS32_DEP_2)
	v_s_exp_f32 s37, s37
	v_ldexp_f32 v8, s33, s40
	s_wait_xcnt 0x0
	s_delay_alu instid0(TRANS32_DEP_1) | instskip(NEXT) | instid1(VALU_DEP_2)
	v_ldexp_f32 v4, s37, s38
	v_cndmask_b32_e64 v8, 0, v8, s1
	s_delay_alu instid0(VALU_DEP_1) | instskip(NEXT) | instid1(VALU_DEP_1)
	v_cndmask_b32_e64 v9, 0x7f800000, v8, s2
	v_dual_cndmask_b32 v4, 0, v4, s3 :: v_dual_cndmask_b32 v10, 0, v9, s0
	s_delay_alu instid0(VALU_DEP_1) | instskip(NEXT) | instid1(VALU_DEP_1)
	v_cndmask_b32_e64 v4, 0x7f800000, v4, s4
	v_dual_cndmask_b32 v8, 0, v4, s5 :: v_dual_mov_b32 v4, s39
	s_wait_loadcnt 0x0
	s_delay_alu instid0(VALU_DEP_1) | instskip(NEXT) | instid1(VALU_DEP_1)
	v_pk_mul_f32 v[4:5], v[4:5], v[8:9] op_sel_hi:[1,0]
	v_pk_fma_f32 v[4:5], v[0:1], v[10:11], v[4:5] op_sel_hi:[1,0,1]
	s_cbranch_execz .LBB48_19
.LBB48_17:                              ;   in Loop: Header=BB48_9 Depth=1
	s_and_not1_b32 vcc_lo, exec_lo, s24
	s_cbranch_vccnz .LBB48_20
	s_branch .LBB48_23
.LBB48_18:                              ;   in Loop: Header=BB48_9 Depth=1
	s_and_not1_b32 vcc_lo, exec_lo, s0
	s_cbranch_vccnz .LBB48_17
.LBB48_19:                              ;   in Loop: Header=BB48_9 Depth=1
	s_wait_loadcnt 0x0
	v_mov_b64_e32 v[4:5], v[0:1]
	s_add_co_i32 s21, s36, -1
	s_mov_b32 s29, s20
	s_mov_b32 s17, s28
	s_cbranch_execz .LBB48_23
.LBB48_20:                              ;   in Loop: Header=BB48_9 Depth=1
	s_wait_loadcnt 0x0
	s_delay_alu instid0(VALU_DEP_1)
	v_mov_b64_e32 v[0:1], v[4:5]
	s_mov_b32 s20, s29
	s_mov_b32 s36, s21
	;; [unrolled: 1-line block ×3, first 2 shown]
	s_branch .LBB48_9
.LBB48_21:
                                        ; implicit-def: $sgpr20_sgpr21
	s_branch .LBB48_2
.LBB48_22:
                                        ; implicit-def: $sgpr24_sgpr25
	s_load_b96 s[12:14], s[0:1], 0x44
	s_branch .LBB48_5
.LBB48_23:
	s_delay_alu instid0(VALU_DEP_1) | instskip(SKIP_1) | instid1(VALU_DEP_1)
	v_div_scale_f32 v0, null, v4, v4, v5
	s_wait_loadcnt 0x0
	v_rcp_f32_e32 v1, v0
	v_nop
	s_delay_alu instid0(TRANS32_DEP_1) | instskip(NEXT) | instid1(VALU_DEP_1)
	v_fma_f32 v6, -v0, v1, 1.0
	v_fmac_f32_e32 v1, v6, v1
	v_div_scale_f32 v6, vcc_lo, v5, v4, v5
	s_delay_alu instid0(VALU_DEP_1) | instskip(NEXT) | instid1(VALU_DEP_1)
	v_mul_f32_e32 v7, v6, v1
	v_fma_f32 v8, -v0, v7, v6
	s_delay_alu instid0(VALU_DEP_1) | instskip(NEXT) | instid1(VALU_DEP_1)
	v_fmac_f32_e32 v7, v8, v1
	v_fma_f32 v0, -v0, v7, v6
	s_delay_alu instid0(VALU_DEP_1) | instskip(NEXT) | instid1(VALU_DEP_1)
	v_div_fmas_f32 v0, v0, v1, v7
	v_div_fixup_f32 v0, v0, v4, v5
	global_store_b32 v[2:3], v0, off
.LBB48_24:
	s_endpgm
	.section	.rodata,"a",@progbits
	.p2align	6, 0x0
	.amdhsa_kernel _ZL33flash_attn_stream_k_fixup_generalILi64ELi2ELi2EEvPfPK15HIP_vector_typeIfLj2EEiiiiS1_IjLj3EES5_S5_S5_
		.amdhsa_group_segment_fixed_size 0
		.amdhsa_private_segment_fixed_size 0
		.amdhsa_kernarg_size 336
		.amdhsa_user_sgpr_count 2
		.amdhsa_user_sgpr_dispatch_ptr 0
		.amdhsa_user_sgpr_queue_ptr 0
		.amdhsa_user_sgpr_kernarg_segment_ptr 1
		.amdhsa_user_sgpr_dispatch_id 0
		.amdhsa_user_sgpr_kernarg_preload_length 0
		.amdhsa_user_sgpr_kernarg_preload_offset 0
		.amdhsa_user_sgpr_private_segment_size 0
		.amdhsa_wavefront_size32 1
		.amdhsa_uses_dynamic_stack 0
		.amdhsa_enable_private_segment 0
		.amdhsa_system_sgpr_workgroup_id_x 1
		.amdhsa_system_sgpr_workgroup_id_y 1
		.amdhsa_system_sgpr_workgroup_id_z 1
		.amdhsa_system_sgpr_workgroup_info 0
		.amdhsa_system_vgpr_workitem_id 0
		.amdhsa_next_free_vgpr 12
		.amdhsa_next_free_sgpr 46
		.amdhsa_named_barrier_count 0
		.amdhsa_reserve_vcc 1
		.amdhsa_float_round_mode_32 0
		.amdhsa_float_round_mode_16_64 0
		.amdhsa_float_denorm_mode_32 3
		.amdhsa_float_denorm_mode_16_64 3
		.amdhsa_fp16_overflow 0
		.amdhsa_memory_ordered 1
		.amdhsa_forward_progress 1
		.amdhsa_inst_pref_size 27
		.amdhsa_round_robin_scheduling 0
		.amdhsa_exception_fp_ieee_invalid_op 0
		.amdhsa_exception_fp_denorm_src 0
		.amdhsa_exception_fp_ieee_div_zero 0
		.amdhsa_exception_fp_ieee_overflow 0
		.amdhsa_exception_fp_ieee_underflow 0
		.amdhsa_exception_fp_ieee_inexact 0
		.amdhsa_exception_int_div_zero 0
	.end_amdhsa_kernel
	.section	.text._ZL33flash_attn_stream_k_fixup_generalILi64ELi2ELi2EEvPfPK15HIP_vector_typeIfLj2EEiiiiS1_IjLj3EES5_S5_S5_,"axG",@progbits,_ZL33flash_attn_stream_k_fixup_generalILi64ELi2ELi2EEvPfPK15HIP_vector_typeIfLj2EEiiiiS1_IjLj3EES5_S5_S5_,comdat
.Lfunc_end48:
	.size	_ZL33flash_attn_stream_k_fixup_generalILi64ELi2ELi2EEvPfPK15HIP_vector_typeIfLj2EEiiiiS1_IjLj3EES5_S5_S5_, .Lfunc_end48-_ZL33flash_attn_stream_k_fixup_generalILi64ELi2ELi2EEvPfPK15HIP_vector_typeIfLj2EEiiiiS1_IjLj3EES5_S5_S5_
                                        ; -- End function
	.set _ZL33flash_attn_stream_k_fixup_generalILi64ELi2ELi2EEvPfPK15HIP_vector_typeIfLj2EEiiiiS1_IjLj3EES5_S5_S5_.num_vgpr, 12
	.set _ZL33flash_attn_stream_k_fixup_generalILi64ELi2ELi2EEvPfPK15HIP_vector_typeIfLj2EEiiiiS1_IjLj3EES5_S5_S5_.num_agpr, 0
	.set _ZL33flash_attn_stream_k_fixup_generalILi64ELi2ELi2EEvPfPK15HIP_vector_typeIfLj2EEiiiiS1_IjLj3EES5_S5_S5_.numbered_sgpr, 46
	.set _ZL33flash_attn_stream_k_fixup_generalILi64ELi2ELi2EEvPfPK15HIP_vector_typeIfLj2EEiiiiS1_IjLj3EES5_S5_S5_.num_named_barrier, 0
	.set _ZL33flash_attn_stream_k_fixup_generalILi64ELi2ELi2EEvPfPK15HIP_vector_typeIfLj2EEiiiiS1_IjLj3EES5_S5_S5_.private_seg_size, 0
	.set _ZL33flash_attn_stream_k_fixup_generalILi64ELi2ELi2EEvPfPK15HIP_vector_typeIfLj2EEiiiiS1_IjLj3EES5_S5_S5_.uses_vcc, 1
	.set _ZL33flash_attn_stream_k_fixup_generalILi64ELi2ELi2EEvPfPK15HIP_vector_typeIfLj2EEiiiiS1_IjLj3EES5_S5_S5_.uses_flat_scratch, 0
	.set _ZL33flash_attn_stream_k_fixup_generalILi64ELi2ELi2EEvPfPK15HIP_vector_typeIfLj2EEiiiiS1_IjLj3EES5_S5_S5_.has_dyn_sized_stack, 0
	.set _ZL33flash_attn_stream_k_fixup_generalILi64ELi2ELi2EEvPfPK15HIP_vector_typeIfLj2EEiiiiS1_IjLj3EES5_S5_S5_.has_recursion, 0
	.set _ZL33flash_attn_stream_k_fixup_generalILi64ELi2ELi2EEvPfPK15HIP_vector_typeIfLj2EEiiiiS1_IjLj3EES5_S5_S5_.has_indirect_call, 0
	.section	.AMDGPU.csdata,"",@progbits
; Kernel info:
; codeLenInByte = 3360
; TotalNumSgprs: 48
; NumVgprs: 12
; ScratchSize: 0
; MemoryBound: 0
; FloatMode: 240
; IeeeMode: 1
; LDSByteSize: 0 bytes/workgroup (compile time only)
; SGPRBlocks: 0
; VGPRBlocks: 0
; NumSGPRsForWavesPerEU: 48
; NumVGPRsForWavesPerEU: 12
; NamedBarCnt: 0
; Occupancy: 16
; WaveLimiterHint : 0
; COMPUTE_PGM_RSRC2:SCRATCH_EN: 0
; COMPUTE_PGM_RSRC2:USER_SGPR: 2
; COMPUTE_PGM_RSRC2:TRAP_HANDLER: 0
; COMPUTE_PGM_RSRC2:TGID_X_EN: 1
; COMPUTE_PGM_RSRC2:TGID_Y_EN: 1
; COMPUTE_PGM_RSRC2:TGID_Z_EN: 1
; COMPUTE_PGM_RSRC2:TIDIG_COMP_CNT: 0
	.section	.text._ZL15flash_attn_tileILi64ELi64ELi1ELi2ELb0EEvPKcS1_S1_S1_S1_PKiPfP15HIP_vector_typeIfLj2EEffffjfiS5_IjLj3EEiiiiiiiiiiiliiliiiiil,"axG",@progbits,_ZL15flash_attn_tileILi64ELi64ELi1ELi2ELb0EEvPKcS1_S1_S1_S1_PKiPfP15HIP_vector_typeIfLj2EEffffjfiS5_IjLj3EEiiiiiiiiiiiliiliiiiil,comdat
	.globl	_ZL15flash_attn_tileILi64ELi64ELi1ELi2ELb0EEvPKcS1_S1_S1_S1_PKiPfP15HIP_vector_typeIfLj2EEffffjfiS5_IjLj3EEiiiiiiiiiiiliiliiiiil ; -- Begin function _ZL15flash_attn_tileILi64ELi64ELi1ELi2ELb0EEvPKcS1_S1_S1_S1_PKiPfP15HIP_vector_typeIfLj2EEffffjfiS5_IjLj3EEiiiiiiiiiiiliiliiiiil
	.p2align	8
	.type	_ZL15flash_attn_tileILi64ELi64ELi1ELi2ELb0EEvPKcS1_S1_S1_S1_PKiPfP15HIP_vector_typeIfLj2EEffffjfiS5_IjLj3EEiiiiiiiiiiiliiliiiiil,@function
_ZL15flash_attn_tileILi64ELi64ELi1ELi2ELb0EEvPKcS1_S1_S1_S1_PKiPfP15HIP_vector_typeIfLj2EEffffjfiS5_IjLj3EEiiiiiiiiiiiliiliiiiil: ; @_ZL15flash_attn_tileILi64ELi64ELi1ELi2ELb0EEvPKcS1_S1_S1_S1_PKiPfP15HIP_vector_typeIfLj2EEffffjfiS5_IjLj3EEiiiiiiiiiiiliiliiiiil
; %bb.0:
	s_clause 0x1
	s_load_b128 s[20:23], s[0:1], 0x5c
	s_load_b64 s[28:29], s[0:1], 0x80
	s_bfe_u32 s5, ttmp6, 0x40014
	s_lshr_b32 s4, ttmp7, 16
	s_add_co_i32 s5, s5, 1
	s_bfe_u32 s6, ttmp6, 0x40008
	s_mul_i32 s5, s4, s5
	s_getreg_b32 s24, hwreg(HW_REG_IB_STS2, 6, 4)
	s_add_co_i32 s6, s6, s5
	s_load_b64 s[36:37], s[0:1], 0xb8
	s_mov_b32 s35, 0
	s_mov_b64 s[30:31], 0
	s_wait_kmcnt 0x0
	s_lshr_b32 s2, s23, 31
	s_delay_alu instid0(SALU_CYCLE_1) | instskip(NEXT) | instid1(SALU_CYCLE_1)
	s_add_co_i32 s2, s23, s2
	s_ashr_i32 s2, s2, 1
	s_delay_alu instid0(SALU_CYCLE_1) | instskip(SKIP_1) | instid1(SALU_CYCLE_2)
	s_cvt_f32_u32 s3, s2
	s_sub_co_i32 s7, 0, s2
	v_rcp_iflag_f32_e32 v1, s3
	v_nop
	s_delay_alu instid0(TRANS32_DEP_1) | instskip(SKIP_1) | instid1(SALU_CYCLE_3)
	v_readfirstlane_b32 s3, v1
	s_mul_f32 s3, s3, 0x4f7ffffe
	s_cvt_u32_f32 s3, s3
	s_delay_alu instid0(SALU_CYCLE_3) | instskip(NEXT) | instid1(SALU_CYCLE_1)
	s_mul_i32 s7, s7, s3
	s_mul_hi_u32 s7, s3, s7
	s_delay_alu instid0(SALU_CYCLE_1) | instskip(SKIP_2) | instid1(SALU_CYCLE_1)
	s_add_co_i32 s3, s3, s7
	s_cmp_eq_u32 s24, 0
	s_cselect_b32 s4, s4, s6
	s_mul_hi_u32 s3, s4, s3
	s_delay_alu instid0(SALU_CYCLE_1) | instskip(SKIP_2) | instid1(SALU_CYCLE_1)
	s_mul_i32 s5, s3, s2
	s_add_co_i32 s6, s3, 1
	s_sub_co_i32 s5, s4, s5
	s_sub_co_i32 s7, s5, s2
	s_cmp_ge_u32 s5, s2
	s_cselect_b32 s3, s6, s3
	s_cselect_b32 s5, s7, s5
	s_add_co_i32 s6, s3, 1
	s_cmp_ge_u32 s5, s2
	s_cselect_b32 s2, s6, s3
	s_abs_i32 s3, s29
	s_lshl_b32 s4, s4, 1
	s_cvt_f32_u32 s5, s3
	s_sub_co_i32 s6, 0, s3
	s_mul_i32 s7, s2, s23
	s_abs_i32 s8, s23
	v_rcp_iflag_f32_e32 v1, s5
	s_sub_co_i32 s33, s4, s7
	v_nop
	s_delay_alu instid0(TRANS32_DEP_1) | instskip(SKIP_1) | instid1(SALU_CYCLE_3)
	v_readfirstlane_b32 s5, v1
	s_mul_f32 s5, s5, 0x4f7ffffe
	s_cvt_u32_f32 s5, s5
	s_delay_alu instid0(SALU_CYCLE_3) | instskip(NEXT) | instid1(SALU_CYCLE_1)
	s_mul_i32 s6, s6, s5
	s_mul_hi_u32 s6, s5, s6
	s_delay_alu instid0(SALU_CYCLE_1) | instskip(NEXT) | instid1(SALU_CYCLE_1)
	s_add_co_i32 s5, s5, s6
	s_mul_hi_u32 s4, s8, s5
	s_xor_b32 s5, s23, s29
	s_mul_i32 s6, s4, s3
	s_ashr_i32 s25, s5, 31
	s_sub_co_i32 s5, s8, s6
	s_add_co_i32 s6, s4, 1
	s_sub_co_i32 s7, s5, s3
	s_cmp_ge_u32 s5, s3
	s_cselect_b32 s4, s6, s4
	s_cselect_b32 s5, s7, s5
	s_add_co_i32 s6, s4, 1
	s_cmp_ge_u32 s5, s3
	s_cselect_b32 s3, s6, s4
	s_load_b512 s[4:19], s[0:1], 0x0
	s_xor_b32 s3, s3, s25
	s_delay_alu instid0(SALU_CYCLE_1) | instskip(NEXT) | instid1(SALU_CYCLE_1)
	s_sub_co_i32 s3, s3, s25
	s_abs_i32 s38, s3
	s_delay_alu instid0(SALU_CYCLE_1) | instskip(NEXT) | instid1(SALU_CYCLE_3)
	s_cvt_f32_u32 s25, s38
	v_rcp_iflag_f32_e32 v1, s25
	v_nop
	s_delay_alu instid0(TRANS32_DEP_1)
	v_readfirstlane_b32 s34, v1
	s_wait_kmcnt 0x0
	s_cmp_eq_u64 s[10:11], 0
	s_cbranch_scc1 .LBB49_2
; %bb.1:
	s_abs_i32 s25, s36
	s_abs_i32 s29, s2
	s_cvt_f32_u32 s26, s25
	s_sub_co_i32 s27, 0, s25
	s_delay_alu instid0(SALU_CYCLE_2) | instskip(SKIP_1) | instid1(TRANS32_DEP_1)
	v_rcp_iflag_f32_e32 v1, s26
	v_nop
	v_readfirstlane_b32 s26, v1
	s_mul_f32 s26, s26, 0x4f7ffffe
	s_delay_alu instid0(SALU_CYCLE_3) | instskip(NEXT) | instid1(SALU_CYCLE_3)
	s_cvt_u32_f32 s26, s26
	s_mul_i32 s27, s27, s26
	s_delay_alu instid0(SALU_CYCLE_1) | instskip(NEXT) | instid1(SALU_CYCLE_1)
	s_mul_hi_u32 s27, s26, s27
	s_add_co_i32 s26, s26, s27
	s_delay_alu instid0(SALU_CYCLE_1) | instskip(SKIP_2) | instid1(SALU_CYCLE_1)
	s_mul_hi_u32 s30, s29, s26
	s_load_b64 s[26:27], s[0:1], 0xc8
	s_mul_i32 s30, s30, s25
	s_sub_co_i32 s29, s29, s30
	s_ashr_i32 s30, s2, 31
	s_sub_co_i32 s31, s29, s25
	s_cmp_ge_u32 s29, s25
	s_cselect_b32 s29, s31, s29
	s_delay_alu instid0(SALU_CYCLE_1) | instskip(SKIP_2) | instid1(SALU_CYCLE_1)
	s_sub_co_i32 s31, s29, s25
	s_cmp_ge_u32 s29, s25
	s_cselect_b32 s25, s31, s29
	s_xor_b32 s25, s25, s30
	s_delay_alu instid0(SALU_CYCLE_1) | instskip(NEXT) | instid1(SALU_CYCLE_1)
	s_sub_co_i32 s30, s25, s30
	s_ashr_i32 s31, s30, 31
	s_wait_kmcnt 0x0
	s_mul_u64 s[26:27], s[26:27], s[30:31]
	s_delay_alu instid0(SALU_CYCLE_1)
	s_add_nc_u64 s[30:31], s[10:11], s[26:27]
.LBB49_2:
	s_bfe_u32 s10, ttmp6, 0x4000c
	v_dual_lshrrev_b32 v1, 10, v0 :: v_dual_mov_b32 v17, 0
	s_add_co_i32 s10, s10, 1
	s_and_b32 s11, ttmp6, 15
	s_mul_i32 s10, ttmp9, s10
	s_delay_alu instid0(VALU_DEP_1)
	v_bfe_u32 v1, v1, 1, 9
	s_add_co_i32 s11, s11, s10
	s_cmp_eq_u32 s24, 0
	s_load_b96 s[40:42], s[0:1], 0x70
	s_cselect_b32 s10, ttmp9, s11
	v_bfe_u32 v16, v0, 10, 1
	v_add_nc_u32_e32 v39, s10, v1
	v_and_b32_e32 v38, 0x3ff, v0
	v_mov_b32_e32 v9, v17
	v_bfe_u32 v0, v0, 10, 10
	v_mov_b32_e32 v3, v17
	v_mul_hi_u32 v1, s20, v39
	s_delay_alu instid0(VALU_DEP_1) | instskip(SKIP_3) | instid1(SALU_CYCLE_1)
	v_dual_lshlrev_b32 v8, 3, v38 :: v_dual_add_nc_u32 v1, v39, v1
	s_wait_kmcnt 0x0
	s_mov_b32 s20, s41
	s_mul_i32 s26, s33, s41
	s_ashr_i32 s27, s26, 31
	v_lshrrev_b32_e32 v1, s21, v1
	s_ashr_i32 s21, s41, 31
	s_ashr_i32 s41, s40, 31
	s_lshr_b64 s[20:21], s[20:21], 2
	s_delay_alu instid0(VALU_DEP_1) | instskip(SKIP_3) | instid1(VALU_DEP_3)
	v_mul_lo_u32 v1, v1, s22
	v_mul_u64_e32 v[4:5], s[20:21], v[16:17]
	s_lshr_b64 s[20:21], s[40:41], 2
	v_lshl_add_u32 v17, v0, 7, 0x1200
	v_sub_nc_u32_e32 v2, v39, v1
	s_delay_alu instid0(VALU_DEP_1) | instskip(SKIP_1) | instid1(SALU_CYCLE_1)
	v_mul_u64_e32 v[6:7], s[20:21], v[2:3]
	s_mul_i32 s20, s2, s42
	s_ashr_i32 s21, s20, 31
	s_cmp_eq_u64 s[14:15], 0
	s_add_nc_u64 s[4:5], s[4:5], s[20:21]
	s_delay_alu instid0(SALU_CYCLE_1)
	s_add_nc_u64 s[4:5], s[4:5], s[26:27]
	s_delay_alu instid0(VALU_DEP_4) | instid1(SALU_CYCLE_1)
	v_lshl_add_u64 v[4:5], v[4:5], 2, s[4:5]
	s_load_b32 s4, s[0:1], 0x40
	s_delay_alu instid0(VALU_DEP_1) | instskip(NEXT) | instid1(VALU_DEP_1)
	v_lshl_add_u64 v[4:5], v[6:7], 2, v[4:5]
	v_add_nc_u64_e32 v[4:5], v[4:5], v[8:9]
	global_load_b64 v[4:5], v[4:5], off
	s_wait_loadcnt 0x0
	s_wait_kmcnt 0x0
	v_fma_mixlo_f16 v1, s4, v5, 0
	v_fma_mixlo_f16 v3, s4, v4, 0
	v_lshl_add_u32 v4, v38, 2, v17
	s_delay_alu instid0(VALU_DEP_3) | instskip(NEXT) | instid1(VALU_DEP_3)
	v_lshlrev_b32_e32 v1, 16, v1
	v_and_b32_e32 v3, 0xffff, v3
	s_delay_alu instid0(VALU_DEP_1)
	v_or_b32_e32 v1, v1, v3
	ds_store_b32 v4, v1
	s_wait_dscnt 0x0
	s_barrier_signal -1
	s_barrier_wait -1
	s_cbranch_scc1 .LBB49_4
; %bb.3:
	s_load_b32 s4, s[0:1], 0xd0
	s_wait_kmcnt 0x0
	s_mul_i32 s4, s4, s2
	s_delay_alu instid0(SALU_CYCLE_1)
	s_add_co_i32 s4, s4, s10
	s_load_b32 s28, s[14:15], s4 offset:0x0 scale_offset
.LBB49_4:
	s_wait_xcnt 0x0
	s_bfe_u32 s4, ttmp6, 0x40010
	s_and_b32 s5, ttmp7, 0xffff
	s_add_co_i32 s4, s4, 1
	s_bfe_u32 s10, ttmp6, 0x40004
	s_mul_i32 s4, s5, s4
	v_mbcnt_lo_u32_b32 v19, -1, 0
	s_add_co_i32 s10, s10, s4
	s_cmp_eq_u32 s24, 0
	s_cselect_b32 s29, s5, s10
	s_mov_b32 s5, 0
	s_lshl_b32 s4, s29, 5
	s_wait_kmcnt 0x0
	s_cmp_lt_i32 s4, s28
	s_cbranch_scc1 .LBB49_7
; %bb.5:
	v_mbcnt_lo_u32_b32 v1, -1, 0
	s_delay_alu instid0(VALU_DEP_1)
	v_dual_mov_b32 v40, 32 :: v_dual_bitop2_b32 v46, 16, v1 bitop3:0x14
	v_xor_b32_e32 v45, 8, v1
	v_xor_b32_e32 v44, 4, v1
	;; [unrolled: 1-line block ×4, first 2 shown]
	s_and_not1_b32 vcc_lo, exec_lo, s5
	s_cbranch_vccz .LBB49_8
; %bb.6:
	v_dual_mov_b32 v48, 0 :: v_dual_mov_b32 v60, 0
	v_mov_b32_e32 v18, 0xfeffffff
	s_branch .LBB49_11
.LBB49_7:
                                        ; implicit-def: $vgpr1
                                        ; implicit-def: $vgpr40
                                        ; implicit-def: $vgpr46
                                        ; implicit-def: $vgpr45
                                        ; implicit-def: $vgpr44
                                        ; implicit-def: $vgpr42
                                        ; implicit-def: $vgpr41
.LBB49_8:
	s_clause 0x1
	s_load_b64 s[14:15], s[0:1], 0x8c
	s_load_b128 s[24:27], s[0:1], 0x98
	s_mul_f32 s5, s34, 0x4f7ffffe
	s_sub_co_i32 s10, 0, s38
	s_load_b64 s[20:21], s[0:1], 0xa8
	v_dual_lshrrev_b32 v1, 3, v38 :: v_dual_lshlrev_b32 v43, 2, v38
	s_cvt_u32_f32 s5, s5
	s_ashr_i32 s39, s3, 31
	s_abs_i32 s34, s33
	s_mov_b32 s11, s35
	s_mul_i32 s10, s10, s5
	v_lshl_add_u32 v1, v0, 2, v1
	s_mul_hi_u32 s3, s5, s10
	s_ashr_i32 s36, s33, 31
	s_add_co_i32 s10, s5, s3
	s_ashr_i32 s5, s37, 1
	s_mul_u64 s[10:11], s[34:35], s[10:11]
	s_ashr_i32 s3, s2, 31
	s_mul_i32 s10, s11, s38
	s_wait_kmcnt 0x0
	s_ashr_i32 s14, s14, 2
	s_sub_co_i32 s34, s34, s10
	v_mul_lo_u32 v20, s14, v1
	s_xor_b32 s35, s36, s39
	s_ashr_i32 s10, s26, 2
	s_add_co_i32 s26, s11, 1
	s_sub_co_i32 s36, s34, s38
	s_cmp_ge_u32 s34, s38
	s_mul_u64 s[24:25], s[24:25], s[2:3]
	s_cselect_b32 s11, s26, s11
	s_cselect_b32 s26, s36, s34
	s_add_co_i32 s34, s11, 1
	s_cmp_ge_u32 s26, s38
	s_mul_u64 s[20:21], s[20:21], s[2:3]
	s_cselect_b32 s11, s34, s11
	s_lshl_b32 s3, s14, 3
	s_delay_alu instid0(SALU_CYCLE_1) | instskip(SKIP_3) | instid1(VALU_DEP_4)
	v_dual_add_nc_u32 v22, s3, v20 :: v_dual_bitop2_b32 v4, 28, v43 bitop3:0x40
	v_mul_lo_u32 v24, s10, v1
	v_ashrrev_i32_e32 v21, 31, v20
	v_mad_u32 v55, v2, s5, v38
	v_dual_lshlrev_b32 v3, 2, v4 :: v_dual_mov_b32 v27, 0
	v_dual_add_nc_u32 v28, s3, v22 :: v_dual_ashrrev_i32 v23, 31, v22
	s_xor_b32 s11, s11, s35
	s_delay_alu instid0(VALU_DEP_2) | instskip(SKIP_1) | instid1(VALU_DEP_3)
	v_mad_u32_u24 v47, 0x90, v1, v3
	v_lshl_add_u32 v52, v0, 6, 0x1300
	v_add_nc_u32_e32 v30, s3, v28
	s_lshl_b32 s3, s10, 3
	s_delay_alu instid0(SALU_CYCLE_1)
	v_dual_ashrrev_i32 v25, 31, v24 :: v_dual_add_nc_u32 v32, s3, v24
	v_lshl_or_b32 v54, v1, 7, v3
	s_sub_co_i32 s11, s11, s35
	s_add_nc_u64 s[8:9], s[8:9], s[20:21]
	s_mul_i32 s34, s11, s15
	v_dual_add_nc_u32 v34, s3, v32 :: v_dual_ashrrev_i32 v33, 31, v32
	s_mul_i32 s20, s11, s27
	v_dual_mov_b32 v40, 32 :: v_dual_add_nc_u32 v49, 0x480, v47
	s_delay_alu instid0(VALU_DEP_2)
	v_dual_add_nc_u32 v36, s3, v34 :: v_dual_ashrrev_i32 v35, 31, v34
	v_add_nc_u32_e32 v50, 0x900, v47
	v_dual_ashrrev_i32 v29, 31, v28 :: v_dual_ashrrev_i32 v31, 31, v30
	v_dual_mov_b32 v60, v27 :: v_dual_add_nc_u32 v51, 0xd80, v47
	v_mul_u32_u24_e32 v53, 0x90, v38
	v_lshl_add_u32 v56, v38, 1, v52
	v_dual_mov_b32 v48, v27 :: v_dual_add_nc_u32 v57, 0x400, v54
	v_add_nc_u32_e32 v58, 0x800, v54
	v_add_nc_u32_e32 v59, 0xc00, v54
	v_dual_mov_b32 v18, 0xfeffffff :: v_dual_ashrrev_i32 v37, 31, v36
	v_dual_lshlrev_b32 v26, 2, v4 :: v_dual_bitop2_b32 v46, 16, v19 bitop3:0x14
	v_xor_b32_e32 v45, 8, v19
	v_xor_b32_e32 v44, 4, v19
	;; [unrolled: 1-line block ×4, first 2 shown]
	v_add_nc_u32_e32 v61, 0x400, v43
	v_add_nc_u32_e32 v62, 0x800, v43
	v_add_nc_u32_e32 v63, 0xc00, v43
	s_add_nc_u64 s[6:7], s[6:7], s[24:25]
	s_ashr_i32 s35, s34, 31
	s_ashr_i32 s21, s20, 31
	s_add_nc_u64 s[6:7], s[6:7], s[34:35]
	s_add_nc_u64 s[8:9], s[8:9], s[20:21]
	s_ashr_i32 s15, s14, 31
	s_ashr_i32 s11, s10, 31
	s_add_nc_u64 s[20:21], s[0:1], 0xd0
.LBB49_9:                               ; =>This Inner Loop Header: Depth=1
	s_ashr_i32 s5, s4, 31
	v_mov_b32_e32 v67, 0
	s_mul_u64 s[24:25], s[4:5], s[14:15]
	v_cmp_gt_i32_e32 vcc_lo, 32, v46
	s_lshl_b64 s[24:25], s[24:25], 2
	v_mov_b32_e32 v65, v18
	s_add_nc_u64 s[24:25], s[6:7], s[24:25]
	v_cndmask_b32_e32 v18, v19, v46, vcc_lo
	v_lshl_add_u64 v[0:1], v[20:21], 2, s[24:25]
	v_lshl_add_u64 v[2:3], v[22:23], 2, s[24:25]
	;; [unrolled: 1-line block ×4, first 2 shown]
	s_mul_u64 s[24:25], s[4:5], s[10:11]
	v_add_nc_u64_e32 v[8:9], v[0:1], v[26:27]
	v_add_nc_u64_e32 v[10:11], v[2:3], v[26:27]
	;; [unrolled: 1-line block ×4, first 2 shown]
	s_lshl_b64 s[24:25], s[24:25], 2
	v_dual_max_num_f32 v66, v65, v65 :: v_dual_lshlrev_b32 v18, 2, v18
	s_clause 0x3
	global_load_b128 v[0:3], v[8:9], off
	global_load_b128 v[4:7], v[10:11], off
	; meta instruction
	; meta instruction
	global_load_b128 v[8:11], v[12:13], off
	global_load_b128 v[12:15], v[14:15], off
	s_add_nc_u64 s[24:25], s[8:9], s[24:25]
	v_cmp_gt_i32_e32 vcc_lo, 32, v45
	s_wait_loadcnt 0x3
	ds_store_b128 v47, v[0:3]
	s_wait_loadcnt 0x2
	ds_store_b128 v49, v[4:7]
	;; [unrolled: 2-line block ×4, first 2 shown]
	s_wait_dscnt 0x0
	s_barrier_signal -1
	s_barrier_wait -1
	ds_load_b128 v[0:3], v53
	ds_load_b128 v[4:7], v17
	v_add_nc_u32_e32 v8, s4, v55
	s_wait_dscnt 0x0
	;;#ASMSTART
	v_dot2_f32_f16 v67, v0, v4, v67
	;;#ASMEND
	;;#ASMSTART
	v_dot2_f32_f16 v67, v1, v5, v67
	;;#ASMEND
	;;#ASMSTART
	v_dot2_f32_f16 v67, v2, v6, v67
	;;#ASMEND
	;;#ASMSTART
	v_dot2_f32_f16 v67, v3, v7, v67
	;;#ASMEND
	ds_load_b128 v[0:3], v53 offset:16
	ds_load_b128 v[4:7], v17 offset:16
	s_wait_dscnt 0x0
	;;#ASMSTART
	v_dot2_f32_f16 v67, v0, v4, v67
	;;#ASMEND
	;;#ASMSTART
	v_dot2_f32_f16 v67, v1, v5, v67
	;;#ASMEND
	;;#ASMSTART
	v_dot2_f32_f16 v67, v2, v6, v67
	;;#ASMEND
	;;#ASMSTART
	v_dot2_f32_f16 v67, v3, v7, v67
	;;#ASMEND
	ds_load_b128 v[0:3], v53 offset:32
	ds_load_b128 v[4:7], v17 offset:32
	;; [unrolled: 15-line block ×7, first 2 shown]
	s_wait_dscnt 0x0
	;;#ASMSTART
	v_dot2_f32_f16 v67, v0, v4, v67
	;;#ASMEND
	;;#ASMSTART
	v_dot2_f32_f16 v67, v1, v5, v67
	;;#ASMEND
	;; [unrolled: 3-line block ×4, first 2 shown]
	global_load_u16 v64, v8, s[30:31] scale_offset
	v_lshl_add_u64 v[0:1], v[24:25], 2, s[24:25]
	v_lshl_add_u64 v[2:3], v[32:33], 2, s[24:25]
	;; [unrolled: 1-line block ×4, first 2 shown]
	s_wait_loadcnt 0x0
	v_add_nc_u64_e32 v[0:1], v[0:1], v[26:27]
	s_wait_xcnt 0x0
	v_add_nc_u64_e32 v[8:9], v[2:3], v[26:27]
	v_add_nc_u64_e32 v[10:11], v[4:5], v[26:27]
	;; [unrolled: 1-line block ×3, first 2 shown]
	s_barrier_signal -1
	s_barrier_wait -1
	s_clause 0x3
	global_load_b128 v[0:3], v[0:1], off
	global_load_b128 v[4:7], v[8:9], off
	;; [unrolled: 1-line block ×4, first 2 shown]
	v_cvt_f32_f16_e32 v64, v64
	s_delay_alu instid0(VALU_DEP_1) | instskip(NEXT) | instid1(VALU_DEP_1)
	v_add_f32_e32 v64, v67, v64
	v_add_f32_e32 v67, 0x40051340, v64
	s_delay_alu instid0(VALU_DEP_1) | instskip(SKIP_4) | instid1(VALU_DEP_2)
	v_max_num_f32_e32 v66, v66, v67
	ds_bpermute_b32 v18, v18, v66
	s_wait_dscnt 0x0
	v_dual_max_num_f32 v18, v18, v18 :: v_dual_cndmask_b32 v67, v19, v45
	v_cmp_gt_i32_e32 vcc_lo, 32, v44
	v_dual_max_num_f32 v18, v66, v18 :: v_dual_lshlrev_b32 v67, 2, v67
	ds_bpermute_b32 v66, v67, v18
	s_wait_dscnt 0x0
	v_dual_max_num_f32 v66, v66, v66 :: v_dual_cndmask_b32 v67, v19, v44
	v_cmp_gt_i32_e32 vcc_lo, 32, v42
	s_delay_alu instid0(VALU_DEP_2) | instskip(SKIP_4) | instid1(VALU_DEP_2)
	v_dual_max_num_f32 v18, v18, v66 :: v_dual_lshlrev_b32 v67, 2, v67
	ds_bpermute_b32 v66, v67, v18
	v_cndmask_b32_e32 v67, v19, v42, vcc_lo
	v_cmp_gt_i32_e32 vcc_lo, 32, v41
	s_wait_dscnt 0x0
	v_dual_max_num_f32 v66, v66, v66 :: v_dual_lshlrev_b32 v67, 2, v67
	s_delay_alu instid0(VALU_DEP_1) | instskip(SKIP_3) | instid1(VALU_DEP_1)
	v_max_num_f32_e32 v18, v18, v66
	ds_bpermute_b32 v66, v67, v18
	s_wait_dscnt 0x0
	v_dual_cndmask_b32 v67, v19, v41 :: v_dual_max_num_f32 v66, v66, v66
	v_dual_max_num_f32 v18, v18, v66 :: v_dual_lshlrev_b32 v67, 2, v67
	ds_bpermute_b32 v66, v67, v18
	s_wait_dscnt 0x0
	v_max_num_f32_e32 v66, v66, v66
	s_delay_alu instid0(VALU_DEP_1) | instskip(NEXT) | instid1(VALU_DEP_1)
	v_max_num_f32_e32 v18, v18, v66
	v_sub_f32_e32 v65, v65, v18
	s_delay_alu instid0(VALU_DEP_1) | instskip(NEXT) | instid1(VALU_DEP_1)
	v_mul_f32_e32 v67, 0x3fb8aa3b, v65
	v_rndne_f32_e32 v71, v67
	v_fma_f32 v70, 0x3fb8aa3b, v65, -v67
	s_delay_alu instid0(VALU_DEP_2) | instskip(SKIP_1) | instid1(VALU_DEP_2)
	v_dual_sub_f32 v67, v67, v71 :: v_dual_sub_f32 v64, v64, v18
	v_cvt_i32_f32_e32 v71, v71
	v_mul_f32_e32 v66, 0x3fb8aa3b, v64
	s_delay_alu instid0(VALU_DEP_1) | instskip(SKIP_1) | instid1(VALU_DEP_1)
	v_fma_f32 v68, 0x3fb8aa3b, v64, -v66
	v_rndne_f32_e32 v69, v66
	v_sub_f32_e32 v66, v66, v69
	s_delay_alu instid0(VALU_DEP_3) | instskip(SKIP_2) | instid1(VALU_DEP_3)
	v_fmac_f32_e32 v68, 0x32a5705f, v64
	v_cvt_i32_f32_e32 v69, v69
	v_cmp_ngt_f32_e32 vcc_lo, 0xc2ce8ed0, v64
	v_add_f32_e32 v66, v66, v68
	s_delay_alu instid0(VALU_DEP_1) | instskip(SKIP_1) | instid1(TRANS32_DEP_1)
	v_exp_f32_e32 v66, v66
	v_nop
	v_ldexp_f32 v66, v66, v69
	s_delay_alu instid0(VALU_DEP_1) | instskip(SKIP_1) | instid1(VALU_DEP_2)
	v_cndmask_b32_e32 v66, 0, v66, vcc_lo
	v_cmp_nlt_f32_e32 vcc_lo, 0x42b17218, v64
	v_cndmask_b32_e32 v64, 0x7f800000, v66, vcc_lo
	v_cmp_ngt_f32_e32 vcc_lo, 0xc2ce8ed0, v65
	s_delay_alu instid0(VALU_DEP_2)
	v_cvt_f16_f32_e32 v66, v64
	ds_store_b16 v56, v66
	s_wait_loadcnt 0x3
	ds_store_b128 v54, v[0:3]
	s_wait_loadcnt 0x2
	ds_store_b128 v57, v[4:7]
	;; [unrolled: 2-line block ×4, first 2 shown]
	s_wait_dscnt 0x0
	s_barrier_signal -1
	s_barrier_wait -1
	ds_load_b128 v[0:3], v52
	v_fmac_f32_e32 v70, 0x32a5705f, v65
	ds_load_2addr_b32 v[8:9], v43 offset1:32
	v_add_f32_e32 v67, v67, v70
	s_delay_alu instid0(VALU_DEP_1) | instskip(SKIP_1) | instid1(TRANS32_DEP_1)
	v_exp_f32_e32 v67, v67
	v_nop
	v_ldexp_f32 v4, v67, v71
	s_delay_alu instid0(VALU_DEP_1) | instskip(SKIP_1) | instid1(VALU_DEP_2)
	v_cndmask_b32_e32 v4, 0, v4, vcc_lo
	v_cmp_nlt_f32_e32 vcc_lo, 0x42b17218, v65
	v_cndmask_b32_e32 v14, 0x7f800000, v4, vcc_lo
	ds_load_b128 v[4:7], v52 offset:16
	s_wait_dscnt 0x2
	v_and_b32_e32 v12, 0xffff, v0
	v_lshrrev_b32_e32 v0, 16, v0
	v_and_b32_e32 v65, 0xffff, v1
	v_cvt_f16_f32_e32 v10, v14
	s_delay_alu instid0(VALU_DEP_4) | instskip(NEXT) | instid1(VALU_DEP_4)
	v_mul_u32_u24_e32 v12, 0x10001, v12
	v_mul_u32_u24_e32 v0, 0x10001, v0
	s_delay_alu instid0(VALU_DEP_3)
	v_and_b32_e32 v13, 0xffff, v10
	ds_load_2addr_b32 v[10:11], v43 offset0:64 offset1:96
	s_wait_dscnt 0x2
	v_pk_mul_f16 v8, v8, v12
	v_mul_u32_u24_e32 v15, 0x10001, v13
	ds_load_2addr_b32 v[12:13], v43 offset0:128 offset1:160
	v_pk_fma_f16 v8, v60, v15, v8
	v_lshrrev_b32_e32 v15, 16, v1
	v_mul_u32_u24_e32 v60, 0x10001, v65
	s_delay_alu instid0(VALU_DEP_3)
	v_pk_fma_f16 v8, v9, v0, v8
	ds_load_2addr_b32 v[0:1], v43 offset0:192 offset1:224
	v_and_b32_e32 v9, 0xffff, v2
	v_mul_u32_u24_e32 v15, 0x10001, v15
	v_lshrrev_b32_e32 v2, 16, v2
	s_wait_dscnt 0x2
	v_pk_fma_f16 v8, v10, v60, v8
	v_mul_u32_u24_e32 v10, 0x10001, v9
	v_and_b32_e32 v60, 0xffff, v6
	v_mul_u32_u24_e32 v2, 0x10001, v2
	s_delay_alu instid0(VALU_DEP_4)
	v_pk_fma_f16 v11, v11, v15, v8
	ds_load_2addr_b32 v[8:9], v61 offset1:32
	v_and_b32_e32 v15, 0xffff, v3
	v_lshrrev_b32_e32 v3, 16, v3
	s_wait_dscnt 0x2
	v_pk_fma_f16 v10, v12, v10, v11
	s_delay_alu instid0(VALU_DEP_3) | instskip(NEXT) | instid1(VALU_DEP_3)
	v_mul_u32_u24_e32 v12, 0x10001, v15
	v_mul_u32_u24_e32 v3, 0x10001, v3
	s_delay_alu instid0(VALU_DEP_3)
	v_pk_fma_f16 v2, v13, v2, v10
	v_and_b32_e32 v13, 0xffff, v4
	ds_load_2addr_b32 v[10:11], v61 offset0:64 offset1:96
	s_wait_dscnt 0x2
	v_pk_fma_f16 v0, v0, v12, v2
	v_lshrrev_b32_e32 v2, 16, v4
	v_mul_u32_u24_e32 v4, 0x10001, v13
	ds_load_2addr_b32 v[12:13], v61 offset0:128 offset1:160
	v_pk_fma_f16 v0, v1, v3, v0
	v_and_b32_e32 v1, 0xffff, v5
	s_wait_dscnt 0x2
	s_delay_alu instid0(VALU_DEP_2) | instskip(SKIP_3) | instid1(VALU_DEP_3)
	v_pk_fma_f16 v0, v8, v4, v0
	v_lshrrev_b32_e32 v4, 16, v5
	v_mul_u32_u24_e32 v2, 0x10001, v2
	v_mul_u32_u24_e32 v5, 0x10001, v1
	;; [unrolled: 1-line block ×3, first 2 shown]
	s_delay_alu instid0(VALU_DEP_3)
	v_pk_fma_f16 v15, v9, v2, v0
	ds_load_b128 v[0:3], v52 offset:32
	ds_load_2addr_b32 v[8:9], v61 offset0:192 offset1:224
	v_lshrrev_b32_e32 v6, 16, v6
	s_wait_dscnt 0x3
	v_pk_fma_f16 v5, v10, v5, v15
	v_mul_u32_u24_e32 v15, 0x10001, v60
	s_delay_alu instid0(VALU_DEP_2)
	v_pk_fma_f16 v4, v11, v4, v5
	ds_load_2addr_b32 v[10:11], v62 offset1:32
	v_and_b32_e32 v5, 0xffff, v7
	s_wait_dscnt 0x3
	v_pk_fma_f16 v4, v12, v15, v4
	v_lshrrev_b32_e32 v15, 16, v7
	s_delay_alu instid0(VALU_DEP_3)
	v_mul_u32_u24_e32 v60, 0x10001, v5
	s_wait_dscnt 0x2
	v_and_b32_e32 v66, 0xffff, v0
	v_lshrrev_b32_e32 v0, 16, v0
	v_mul_u32_u24_e32 v6, 0x10001, v6
	v_mul_u32_u24_e32 v15, 0x10001, v15
	s_delay_alu instid0(VALU_DEP_3) | instskip(NEXT) | instid1(VALU_DEP_3)
	v_mul_u32_u24_e32 v0, 0x10001, v0
	v_pk_fma_f16 v65, v13, v6, v4
	ds_load_2addr_b32 v[12:13], v62 offset0:64 offset1:96
	ds_load_b128 v[4:7], v52 offset:48
	s_wait_dscnt 0x3
	v_pk_fma_f16 v8, v8, v60, v65
	v_mul_u32_u24_e32 v60, 0x10001, v66
	v_and_b32_e32 v65, 0xffff, v1
	s_delay_alu instid0(VALU_DEP_3)
	v_pk_fma_f16 v15, v9, v15, v8
	ds_load_2addr_b32 v[8:9], v62 offset0:128 offset1:160
	s_wait_dscnt 0x3
	v_pk_fma_f16 v10, v10, v60, v15
	v_lshrrev_b32_e32 v15, 16, v1
	v_mul_u32_u24_e32 v60, 0x10001, v65
	s_delay_alu instid0(VALU_DEP_3)
	v_pk_fma_f16 v10, v11, v0, v10
	ds_load_2addr_b32 v[0:1], v62 offset0:192 offset1:224
	v_and_b32_e32 v11, 0xffff, v2
	v_lshrrev_b32_e32 v2, 16, v2
	v_mul_u32_u24_e32 v15, 0x10001, v15
	s_wait_dscnt 0x3
	v_pk_fma_f16 v10, v12, v60, v10
	v_mul_u32_u24_e32 v12, 0x10001, v11
	v_mul_u32_u24_e32 v2, 0x10001, v2
	s_delay_alu instid0(VALU_DEP_3)
	v_pk_fma_f16 v13, v13, v15, v10
	ds_load_2addr_b32 v[10:11], v63 offset1:32
	v_and_b32_e32 v15, 0xffff, v3
	s_wait_dscnt 0x2
	v_pk_fma_f16 v8, v8, v12, v13
	v_lshrrev_b32_e32 v12, 16, v3
	s_delay_alu instid0(VALU_DEP_3) | instskip(NEXT) | instid1(VALU_DEP_3)
	v_mul_u32_u24_e32 v13, 0x10001, v15
	v_pk_fma_f16 v8, v9, v2, v8
	ds_load_2addr_b32 v[2:3], v63 offset0:64 offset1:96
	v_and_b32_e32 v9, 0xffff, v4
	v_lshrrev_b32_e32 v4, 16, v4
	v_mul_u32_u24_e32 v12, 0x10001, v12
	s_wait_dscnt 0x2
	v_pk_fma_f16 v0, v0, v13, v8
	v_mul_u32_u24_e32 v8, 0x10001, v9
	v_mul_u32_u24_e32 v4, 0x10001, v4
	s_delay_alu instid0(VALU_DEP_3)
	v_pk_fma_f16 v9, v1, v12, v0
	ds_load_2addr_b32 v[0:1], v63 offset0:128 offset1:160
	v_and_b32_e32 v12, 0xffff, v5
	v_lshrrev_b32_e32 v5, 16, v5
	s_wait_dscnt 0x2
	v_pk_fma_f16 v10, v10, v8, v9
	ds_load_2addr_b32 v[8:9], v63 offset0:192 offset1:224
	v_mul_u32_u24_e32 v12, 0x10001, v12
	s_wait_dscnt 0x0
	s_barrier_signal -1
	v_pk_fma_f16 v4, v11, v4, v10
	v_and_b32_e32 v10, 0xffff, v6
	s_barrier_wait -1
	s_load_b32 s3, s[20:21], 0x4
	s_delay_alu instid0(VALU_DEP_2) | instskip(SKIP_3) | instid1(VALU_DEP_3)
	v_pk_fma_f16 v2, v2, v12, v4
	v_lshrrev_b32_e32 v4, 16, v6
	v_mul_u32_u24_e32 v5, 0x10001, v5
	v_mul_u32_u24_e32 v6, 0x10001, v10
	;; [unrolled: 1-line block ×3, first 2 shown]
	s_delay_alu instid0(VALU_DEP_3) | instskip(SKIP_2) | instid1(VALU_DEP_3)
	v_pk_fma_f16 v2, v3, v5, v2
	v_and_b32_e32 v3, 0xffff, v7
	v_lshrrev_b32_e32 v5, 16, v7
	v_pk_fma_f16 v0, v0, v6, v2
	v_mov_b32_e32 v2, v48
	s_delay_alu instid0(VALU_DEP_4) | instskip(SKIP_1) | instid1(VALU_DEP_4)
	v_mul_u32_u24_e32 v3, 0x10001, v3
	v_mov_b32_e32 v48, v64
	v_pk_fma_f16 v0, v1, v4, v0
	v_mul_u32_u24_e32 v1, 0x10001, v5
	s_wait_kmcnt 0x0
	s_lshl_b32 s3, s3, 5
	v_fmac_f32_e32 v48, v2, v14
	s_add_co_i32 s4, s3, s4
	v_pk_fma_f16 v0, v8, v3, v0
	s_cmp_ge_i32 s4, s28
	s_delay_alu instid0(VALU_DEP_1)
	v_pk_fma_f16 v60, v9, v1, v0
	s_cbranch_scc0 .LBB49_9
; %bb.10:
	v_mov_b32_e32 v1, v19
.LBB49_11:
	v_lshlrev_b32_e32 v2, 1, v38
	v_cmp_lt_i32_e32 vcc_lo, v46, v40
	s_cmp_lg_u64 s[12:13], 0
	s_cselect_b32 s3, -1, 0
	s_cmp_eq_u32 s29, 0
	v_cndmask_b32_e32 v0, v1, v46, vcc_lo
	v_cmp_lt_i32_e32 vcc_lo, v45, v40
	s_cselect_b32 s4, -1, 0
	s_delay_alu instid0(SALU_CYCLE_1) | instskip(NEXT) | instid1(VALU_DEP_2)
	s_and_b32 s3, s4, s3
	v_dual_cndmask_b32 v3, v1, v45 :: v_dual_lshlrev_b32 v0, 2, v0
	v_cmp_lt_i32_e32 vcc_lo, v44, v40
	s_delay_alu instid0(VALU_DEP_2)
	v_lshlrev_b32_e32 v3, 2, v3
	ds_bpermute_b32 v0, v0, v48
	v_cndmask_b32_e32 v4, v1, v44, vcc_lo
	v_cmp_lt_i32_e32 vcc_lo, v42, v40
	s_wait_dscnt 0x0
	v_add_f32_e32 v0, v48, v0
	ds_bpermute_b32 v3, v3, v0
	s_wait_dscnt 0x0
	v_dual_add_f32 v0, v0, v3 :: v_dual_lshlrev_b32 v4, 2, v4
	ds_bpermute_b32 v3, v4, v0
	v_cndmask_b32_e32 v4, v1, v42, vcc_lo
	v_cmp_lt_i32_e32 vcc_lo, v41, v40
	s_delay_alu instid0(VALU_DEP_2)
	v_dual_cndmask_b32 v1, v1, v41 :: v_dual_lshlrev_b32 v4, 2, v4
	s_and_b32 vcc_lo, exec_lo, s3
	s_wait_dscnt 0x0
	v_add_f32_e32 v0, v0, v3
	ds_bpermute_b32 v3, v4, v0
	s_wait_dscnt 0x0
	v_dual_add_f32 v0, v0, v3 :: v_dual_lshlrev_b32 v1, 2, v1
	ds_bpermute_b32 v1, v1, v0
	s_wait_dscnt 0x0
	v_dual_add_nc_u32 v3, s33, v16 :: v_dual_add_f32 v19, v0, v1
	s_cbranch_vccz .LBB49_13
; %bb.12:
	global_load_b32 v1, v3, s[12:13] scale_offset
	s_wait_loadcnt 0x0
	v_dual_max_num_f32 v0, v18, v18 :: v_dual_max_num_f32 v4, v1, v1
	s_delay_alu instid0(VALU_DEP_1) | instskip(NEXT) | instid1(VALU_DEP_1)
	v_max_num_f32_e32 v0, v0, v4
	v_sub_f32_e32 v4, v18, v0
	s_delay_alu instid0(VALU_DEP_1) | instskip(SKIP_2) | instid1(VALU_DEP_3)
	v_mul_f32_e32 v5, 0x3fb8aa3b, v4
	v_sub_f32_e32 v1, v1, v0
	v_cmp_ngt_f32_e32 vcc_lo, 0xc2ce8ed0, v4
	v_fma_f32 v6, 0x3fb8aa3b, v4, -v5
	v_rndne_f32_e32 v7, v5
	s_delay_alu instid0(VALU_DEP_1) | instskip(NEXT) | instid1(VALU_DEP_1)
	v_dual_mul_f32 v8, 0x3fb8aa3b, v1 :: v_dual_sub_f32 v5, v5, v7
	v_fma_f32 v9, 0x3fb8aa3b, v1, -v8
	s_delay_alu instid0(VALU_DEP_4) | instskip(SKIP_2) | instid1(VALU_DEP_4)
	v_fmac_f32_e32 v6, 0x32a5705f, v4
	v_rndne_f32_e32 v10, v8
	v_cvt_i32_f32_e32 v7, v7
	v_fmac_f32_e32 v9, 0x32a5705f, v1
	s_delay_alu instid0(VALU_DEP_4) | instskip(NEXT) | instid1(VALU_DEP_4)
	v_add_f32_e32 v5, v5, v6
	v_sub_f32_e32 v6, v8, v10
	s_delay_alu instid0(VALU_DEP_1) | instskip(NEXT) | instid1(VALU_DEP_3)
	v_add_f32_e32 v6, v6, v9
	v_exp_f32_e32 v5, v5
	s_delay_alu instid0(VALU_DEP_1) | instskip(NEXT) | instid1(TRANS32_DEP_2)
	v_exp_f32_e32 v6, v6
	v_ldexp_f32 v5, v5, v7
	v_cvt_i32_f32_e32 v7, v10
	s_delay_alu instid0(VALU_DEP_2) | instskip(SKIP_1) | instid1(VALU_DEP_2)
	v_cndmask_b32_e32 v5, 0, v5, vcc_lo
	v_cmp_nlt_f32_e32 vcc_lo, 0x42b17218, v4
	v_cndmask_b32_e32 v4, 0x7f800000, v5, vcc_lo
	s_delay_alu instid0(TRANS32_DEP_1) | instid1(VALU_DEP_4)
	v_ldexp_f32 v5, v6, v7
	v_cmp_ngt_f32_e32 vcc_lo, 0xc2ce8ed0, v1
	s_delay_alu instid0(VALU_DEP_3) | instskip(NEXT) | instid1(VALU_DEP_3)
	v_cvt_f16_f32_e32 v6, v4
	v_cndmask_b32_e32 v5, 0, v5, vcc_lo
	v_cmp_nlt_f32_e32 vcc_lo, 0x42b17218, v1
	s_delay_alu instid0(VALU_DEP_3) | instskip(NEXT) | instid1(VALU_DEP_3)
	v_and_b32_e32 v6, 0xffff, v6
	v_cndmask_b32_e32 v1, 0x7f800000, v5, vcc_lo
	s_delay_alu instid0(VALU_DEP_2) | instskip(NEXT) | instid1(VALU_DEP_2)
	v_mul_u32_u24_e32 v5, 0x10001, v6
	v_fmac_f32_e32 v1, v19, v4
	s_delay_alu instid0(VALU_DEP_2) | instskip(NEXT) | instid1(VALU_DEP_2)
	v_pk_mul_f16 v60, v60, v5
	v_mov_b64_e32 v[18:19], v[0:1]
	s_branch .LBB49_14
.LBB49_13:
	s_delay_alu instid0(VALU_DEP_1)
	v_mov_b32_e32 v1, v19
.LBB49_14:
	s_delay_alu instid0(VALU_DEP_1) | instskip(SKIP_2) | instid1(VALU_DEP_3)
	v_div_scale_f32 v0, null, v1, v1, 1.0
	v_div_scale_f32 v6, vcc_lo, 1.0, v1, 1.0
	v_mad_u32 v7, s2, s22, v39
	v_rcp_f32_e32 v4, v0
	s_load_b32 s0, s[0:1], 0xd4
	v_nop
	s_delay_alu instid0(TRANS32_DEP_1) | instskip(NEXT) | instid1(VALU_DEP_3)
	v_fma_f32 v5, -v0, v4, 1.0
	v_mad_u32 v3, v7, s23, v3
	s_delay_alu instid0(VALU_DEP_2) | instskip(NEXT) | instid1(VALU_DEP_1)
	v_fmac_f32_e32 v4, v5, v4
	v_mul_f32_e32 v5, v6, v4
	s_wait_kmcnt 0x0
	s_cmp_lg_u32 s0, 1
	s_delay_alu instid0(VALU_DEP_1) | instskip(NEXT) | instid1(VALU_DEP_1)
	v_fma_f32 v8, -v0, v5, v6
	v_fmac_f32_e32 v5, v8, v4
	s_delay_alu instid0(VALU_DEP_1) | instskip(SKIP_3) | instid1(VALU_DEP_3)
	v_fma_f32 v6, -v0, v5, v6
	v_mad_u32 v0, s0, v3, s29
	s_cselect_b32 s0, -1, 0
	v_mov_b32_e32 v3, 0
	v_div_fmas_f32 v4, v6, v4, v5
	v_lshrrev_b32_e32 v5, 16, v60
	v_cmp_eq_u32_e32 vcc_lo, 0, v38
	s_delay_alu instid0(VALU_DEP_3) | instskip(NEXT) | instid1(VALU_DEP_3)
	v_div_fixup_f32 v1, v4, v1, 1.0
	v_cvt_f32_f16_e32 v5, v5
	v_lshl_add_u32 v2, v0, 6, v2
	v_cvt_f32_f16_e32 v4, v60
	s_delay_alu instid0(VALU_DEP_4) | instskip(SKIP_1) | instid1(VALU_DEP_3)
	v_cndmask_b32_e64 v6, v1, 1.0, s0
	s_and_b32 s0, vcc_lo, s0
	v_lshl_add_u64 v[2:3], v[2:3], 2, s[16:17]
	s_delay_alu instid0(VALU_DEP_2)
	v_pk_mul_f32 v[4:5], v[6:7], v[4:5] op_sel_hi:[0,1]
	global_store_b64 v[2:3], v[4:5], off
	s_wait_xcnt 0x0
	s_and_saveexec_b32 s1, s0
	s_cbranch_execz .LBB49_16
; %bb.15:
	global_store_b64 v0, v[18:19], s[18:19] scale_offset
.LBB49_16:
	s_sendmsg sendmsg(MSG_DEALLOC_VGPRS)
	s_endpgm
	.section	.rodata,"a",@progbits
	.p2align	6, 0x0
	.amdhsa_kernel _ZL15flash_attn_tileILi64ELi64ELi1ELi2ELb0EEvPKcS1_S1_S1_S1_PKiPfP15HIP_vector_typeIfLj2EEffffjfiS5_IjLj3EEiiiiiiiiiiiliiliiiiil
		.amdhsa_group_segment_fixed_size 4992
		.amdhsa_private_segment_fixed_size 0
		.amdhsa_kernarg_size 464
		.amdhsa_user_sgpr_count 2
		.amdhsa_user_sgpr_dispatch_ptr 0
		.amdhsa_user_sgpr_queue_ptr 0
		.amdhsa_user_sgpr_kernarg_segment_ptr 1
		.amdhsa_user_sgpr_dispatch_id 0
		.amdhsa_user_sgpr_kernarg_preload_length 0
		.amdhsa_user_sgpr_kernarg_preload_offset 0
		.amdhsa_user_sgpr_private_segment_size 0
		.amdhsa_wavefront_size32 1
		.amdhsa_uses_dynamic_stack 0
		.amdhsa_enable_private_segment 0
		.amdhsa_system_sgpr_workgroup_id_x 1
		.amdhsa_system_sgpr_workgroup_id_y 1
		.amdhsa_system_sgpr_workgroup_id_z 1
		.amdhsa_system_sgpr_workgroup_info 0
		.amdhsa_system_vgpr_workitem_id 1
		.amdhsa_next_free_vgpr 72
		.amdhsa_next_free_sgpr 43
		.amdhsa_named_barrier_count 0
		.amdhsa_reserve_vcc 1
		.amdhsa_float_round_mode_32 0
		.amdhsa_float_round_mode_16_64 0
		.amdhsa_float_denorm_mode_32 3
		.amdhsa_float_denorm_mode_16_64 3
		.amdhsa_fp16_overflow 0
		.amdhsa_memory_ordered 1
		.amdhsa_forward_progress 1
		.amdhsa_inst_pref_size 35
		.amdhsa_round_robin_scheduling 0
		.amdhsa_exception_fp_ieee_invalid_op 0
		.amdhsa_exception_fp_denorm_src 0
		.amdhsa_exception_fp_ieee_div_zero 0
		.amdhsa_exception_fp_ieee_overflow 0
		.amdhsa_exception_fp_ieee_underflow 0
		.amdhsa_exception_fp_ieee_inexact 0
		.amdhsa_exception_int_div_zero 0
	.end_amdhsa_kernel
	.section	.text._ZL15flash_attn_tileILi64ELi64ELi1ELi2ELb0EEvPKcS1_S1_S1_S1_PKiPfP15HIP_vector_typeIfLj2EEffffjfiS5_IjLj3EEiiiiiiiiiiiliiliiiiil,"axG",@progbits,_ZL15flash_attn_tileILi64ELi64ELi1ELi2ELb0EEvPKcS1_S1_S1_S1_PKiPfP15HIP_vector_typeIfLj2EEffffjfiS5_IjLj3EEiiiiiiiiiiiliiliiiiil,comdat
.Lfunc_end49:
	.size	_ZL15flash_attn_tileILi64ELi64ELi1ELi2ELb0EEvPKcS1_S1_S1_S1_PKiPfP15HIP_vector_typeIfLj2EEffffjfiS5_IjLj3EEiiiiiiiiiiiliiliiiiil, .Lfunc_end49-_ZL15flash_attn_tileILi64ELi64ELi1ELi2ELb0EEvPKcS1_S1_S1_S1_PKiPfP15HIP_vector_typeIfLj2EEffffjfiS5_IjLj3EEiiiiiiiiiiiliiliiiiil
                                        ; -- End function
	.set _ZL15flash_attn_tileILi64ELi64ELi1ELi2ELb0EEvPKcS1_S1_S1_S1_PKiPfP15HIP_vector_typeIfLj2EEffffjfiS5_IjLj3EEiiiiiiiiiiiliiliiiiil.num_vgpr, 72
	.set _ZL15flash_attn_tileILi64ELi64ELi1ELi2ELb0EEvPKcS1_S1_S1_S1_PKiPfP15HIP_vector_typeIfLj2EEffffjfiS5_IjLj3EEiiiiiiiiiiiliiliiiiil.num_agpr, 0
	.set _ZL15flash_attn_tileILi64ELi64ELi1ELi2ELb0EEvPKcS1_S1_S1_S1_PKiPfP15HIP_vector_typeIfLj2EEffffjfiS5_IjLj3EEiiiiiiiiiiiliiliiiiil.numbered_sgpr, 43
	.set _ZL15flash_attn_tileILi64ELi64ELi1ELi2ELb0EEvPKcS1_S1_S1_S1_PKiPfP15HIP_vector_typeIfLj2EEffffjfiS5_IjLj3EEiiiiiiiiiiiliiliiiiil.num_named_barrier, 0
	.set _ZL15flash_attn_tileILi64ELi64ELi1ELi2ELb0EEvPKcS1_S1_S1_S1_PKiPfP15HIP_vector_typeIfLj2EEffffjfiS5_IjLj3EEiiiiiiiiiiiliiliiiiil.private_seg_size, 0
	.set _ZL15flash_attn_tileILi64ELi64ELi1ELi2ELb0EEvPKcS1_S1_S1_S1_PKiPfP15HIP_vector_typeIfLj2EEffffjfiS5_IjLj3EEiiiiiiiiiiiliiliiiiil.uses_vcc, 1
	.set _ZL15flash_attn_tileILi64ELi64ELi1ELi2ELb0EEvPKcS1_S1_S1_S1_PKiPfP15HIP_vector_typeIfLj2EEffffjfiS5_IjLj3EEiiiiiiiiiiiliiliiiiil.uses_flat_scratch, 0
	.set _ZL15flash_attn_tileILi64ELi64ELi1ELi2ELb0EEvPKcS1_S1_S1_S1_PKiPfP15HIP_vector_typeIfLj2EEffffjfiS5_IjLj3EEiiiiiiiiiiiliiliiiiil.has_dyn_sized_stack, 0
	.set _ZL15flash_attn_tileILi64ELi64ELi1ELi2ELb0EEvPKcS1_S1_S1_S1_PKiPfP15HIP_vector_typeIfLj2EEffffjfiS5_IjLj3EEiiiiiiiiiiiliiliiiiil.has_recursion, 0
	.set _ZL15flash_attn_tileILi64ELi64ELi1ELi2ELb0EEvPKcS1_S1_S1_S1_PKiPfP15HIP_vector_typeIfLj2EEffffjfiS5_IjLj3EEiiiiiiiiiiiliiliiiiil.has_indirect_call, 0
	.section	.AMDGPU.csdata,"",@progbits
; Kernel info:
; codeLenInByte = 4448
; TotalNumSgprs: 45
; NumVgprs: 72
; ScratchSize: 0
; MemoryBound: 0
; FloatMode: 240
; IeeeMode: 1
; LDSByteSize: 4992 bytes/workgroup (compile time only)
; SGPRBlocks: 0
; VGPRBlocks: 4
; NumSGPRsForWavesPerEU: 45
; NumVGPRsForWavesPerEU: 72
; NamedBarCnt: 0
; Occupancy: 12
; WaveLimiterHint : 1
; COMPUTE_PGM_RSRC2:SCRATCH_EN: 0
; COMPUTE_PGM_RSRC2:USER_SGPR: 2
; COMPUTE_PGM_RSRC2:TRAP_HANDLER: 0
; COMPUTE_PGM_RSRC2:TGID_X_EN: 1
; COMPUTE_PGM_RSRC2:TGID_Y_EN: 1
; COMPUTE_PGM_RSRC2:TGID_Z_EN: 1
; COMPUTE_PGM_RSRC2:TIDIG_COMP_CNT: 1
	.section	.text._ZL33flash_attn_stream_k_fixup_uniformILi64ELi1ELi2EEvPfPK15HIP_vector_typeIfLj2EEiiiiiiS1_IjLj3EES5_S5_,"axG",@progbits,_ZL33flash_attn_stream_k_fixup_uniformILi64ELi1ELi2EEvPfPK15HIP_vector_typeIfLj2EEiiiiiiS1_IjLj3EES5_S5_,comdat
	.globl	_ZL33flash_attn_stream_k_fixup_uniformILi64ELi1ELi2EEvPfPK15HIP_vector_typeIfLj2EEiiiiiiS1_IjLj3EES5_S5_ ; -- Begin function _ZL33flash_attn_stream_k_fixup_uniformILi64ELi1ELi2EEvPfPK15HIP_vector_typeIfLj2EEiiiiiiS1_IjLj3EES5_S5_
	.p2align	8
	.type	_ZL33flash_attn_stream_k_fixup_uniformILi64ELi1ELi2EEvPfPK15HIP_vector_typeIfLj2EEiiiiiiS1_IjLj3EES5_S5_,@function
_ZL33flash_attn_stream_k_fixup_uniformILi64ELi1ELi2EEvPfPK15HIP_vector_typeIfLj2EEiiiiiiS1_IjLj3EES5_S5_: ; @_ZL33flash_attn_stream_k_fixup_uniformILi64ELi1ELi2EEvPfPK15HIP_vector_typeIfLj2EEiiiiiiS1_IjLj3EES5_S5_
; %bb.0:
	s_load_b256 s[4:11], s[0:1], 0x1c
	s_bfe_u32 s2, ttmp6, 0x40014
	s_lshr_b32 s3, ttmp7, 16
	s_add_co_i32 s2, s2, 1
	s_bfe_u32 s13, ttmp6, 0x40010
	s_mul_i32 s2, s3, s2
	s_bfe_u32 s12, ttmp6, 0x40008
	s_and_b32 s15, ttmp7, 0xffff
	s_add_co_i32 s13, s13, 1
	s_bfe_u32 s14, ttmp6, 0x4000c
	s_add_co_i32 s12, s12, s2
	s_mul_i32 s2, s15, s13
	s_bfe_u32 s13, ttmp6, 0x40004
	s_add_co_i32 s14, s14, 1
	s_add_co_i32 s13, s13, s2
	s_and_b32 s2, ttmp6, 15
	s_mul_i32 s14, ttmp9, s14
	s_getreg_b32 s20, hwreg(HW_REG_IB_STS2, 6, 4)
	s_add_co_i32 s2, s2, s14
	s_load_b128 s[16:19], s[0:1], 0x3c
	s_cmp_eq_u32 s20, 0
	s_cselect_b32 s14, ttmp9, s2
	s_cselect_b32 s13, s15, s13
	s_wait_kmcnt 0x0
	s_mul_hi_u32 s2, s7, s14
	s_cselect_b32 s12, s3, s12
	s_add_co_i32 s2, s14, s2
	s_delay_alu instid0(SALU_CYCLE_1) | instskip(NEXT) | instid1(SALU_CYCLE_1)
	s_lshr_b32 s7, s2, s8
	s_mul_i32 s2, s7, s9
	s_delay_alu instid0(SALU_CYCLE_1) | instskip(SKIP_2) | instid1(SALU_CYCLE_1)
	s_sub_co_i32 s8, s14, s2
	s_load_b64 s[2:3], s[0:1], 0x10
	s_mul_hi_u32 s9, s8, s10
	s_add_co_i32 s9, s8, s9
	s_delay_alu instid0(SALU_CYCLE_1) | instskip(NEXT) | instid1(SALU_CYCLE_1)
	s_lshr_b32 s15, s9, s11
	s_mul_i32 s9, s15, s16
	s_delay_alu instid0(SALU_CYCLE_1) | instskip(NEXT) | instid1(SALU_CYCLE_1)
	s_sub_co_i32 s8, s8, s9
	s_mul_hi_u32 s9, s8, s17
	s_delay_alu instid0(SALU_CYCLE_1) | instskip(NEXT) | instid1(SALU_CYCLE_1)
	s_add_co_i32 s9, s8, s9
	s_lshr_b32 s9, s9, s18
	s_delay_alu instid0(SALU_CYCLE_1) | instskip(SKIP_2) | instid1(SALU_CYCLE_1)
	s_mul_i32 s10, s9, s19
	s_lshl_b32 s17, s9, 1
	s_sub_co_i32 s16, s8, s10
	s_add_co_i32 s16, s16, s13
	s_wait_kmcnt 0x0
	s_cmp_lt_i32 s16, s2
	s_cselect_b32 s8, -1, 0
	s_add_co_i32 s17, s17, s12
	s_delay_alu instid0(SALU_CYCLE_1) | instskip(SKIP_1) | instid1(SALU_CYCLE_1)
	s_cmp_lt_i32 s17, s5
	s_cselect_b32 s9, -1, 0
	s_and_b32 s8, s8, s9
	s_delay_alu instid0(SALU_CYCLE_1)
	s_and_not1_b32 vcc_lo, exec_lo, s8
	s_cbranch_vccnz .LBB50_6
; %bb.1:
	s_load_b128 s[8:11], s[0:1], 0x0
	s_mul_i32 s7, s7, s2
	s_mul_i32 s15, s15, s5
	s_wait_xcnt 0x0
	s_add_co_i32 s0, s16, s7
	s_add_co_i32 s1, s17, s15
	s_mul_i32 s0, s0, s3
	s_mul_i32 s7, s6, s14
	s_add_co_i32 s1, s1, s0
	s_add_co_i32 s5, s7, s6
	v_lshl_or_b32 v4, s1, 6, v0
	s_add_co_i32 s0, s13, s5
	s_add_co_i32 s2, s5, -2
	s_lshl_b32 s0, s0, 1
	s_delay_alu instid0(SALU_CYCLE_1) | instskip(SKIP_2) | instid1(SALU_CYCLE_1)
	s_add_co_i32 s0, s0, s12
	v_ashrrev_i32_e32 v5, 31, v4
	s_add_co_i32 s0, s0, -2
	s_ashr_i32 s1, s0, 31
	s_delay_alu instid0(SALU_CYCLE_1)
	s_lshl_b64 s[0:1], s[0:1], 3
	s_wait_kmcnt 0x0
	global_load_b32 v3, v4, s[8:9] scale_offset
	s_add_nc_u64 s[0:1], s[10:11], s[0:1]
	s_cmp_lt_i32 s2, s7
	s_load_b32 s15, s[0:1], 0x4
	s_cbranch_scc1 .LBB50_4
; %bb.2:
	s_wait_xcnt 0x0
	s_load_b32 s0, s[0:1], 0x0
	s_add_co_i32 s14, s14, 1
	s_wait_xcnt 0x0
	s_lshl_b32 s1, s12, 6
	s_mul_i32 s3, s6, s14
	s_lshl_b32 s6, s13, 7
	s_lshl_b32 s14, s3, 7
	s_add_co_i32 s1, s1, s6
	s_lshl_b32 s2, s4, 3
	s_add_co_i32 s1, s1, s14
	s_add_co_i32 s4, s13, s4
	s_wait_kmcnt 0x0
	v_dual_mov_b32 v2, s15 :: v_dual_bitop2_b32 v0, s1, v0 bitop3:0x54
	s_add_co_i32 s4, s4, s5
	s_ashr_i32 s3, s2, 31
	s_lshl_b32 s1, s4, 1
	s_delay_alu instid0(VALU_DEP_1)
	v_add_nc_u32_e32 v0, 0xffffff00, v0
	s_lshl_b64 s[2:3], s[2:3], 2
	s_add_co_i32 s4, s12, s1
	s_add_nc_u64 s[2:3], s[10:11], s[2:3]
	s_add_co_i32 s1, s5, -1
	s_add_co_i32 s4, s4, -4
.LBB50_3:                               ; =>This Inner Loop Header: Depth=1
	global_load_b32 v7, v0, s[2:3] scale_offset
	s_ashr_i32 s5, s4, 31
	v_max_num_f32_e64 v1, s0, s0
	s_lshl_b64 s[12:13], s[4:5], 3
	s_delay_alu instid0(SALU_CYCLE_1) | instskip(SKIP_1) | instid1(VALU_DEP_1)
	s_add_nc_u64 s[12:13], s[10:11], s[12:13]
	s_load_b64 s[12:13], s[12:13], 0x0
	v_readfirstlane_b32 s5, v1
	v_add_nc_u32_e32 v0, 0xffffff80, v0
	s_wait_kmcnt 0x0
	v_max_num_f32_e64 v1, s12, s12
	s_delay_alu instid0(VALU_DEP_1) | instskip(SKIP_1) | instid1(SALU_CYCLE_3)
	v_readfirstlane_b32 s6, v1
	s_max_num_f32 s5, s5, s6
	s_sub_f32 s0, s0, s5
	s_sub_f32 s6, s12, s5
	s_delay_alu instid0(SALU_CYCLE_2) | instskip(NEXT) | instid1(SALU_CYCLE_2)
	s_mul_f32 s12, s0, 0x3fb8aa3b
	s_mul_f32 s14, s6, 0x3fb8aa3b
	s_delay_alu instid0(SALU_CYCLE_2)
	s_xor_b32 s15, s12, 0x80000000
	s_rndne_f32 s16, s12
	s_fmamk_f32 s15, s0, 0x3fb8aa3b, s15
	s_cmp_nlt_f32 s0, 0xc2ce8ed0
	s_rndne_f32 s17, s14
	s_sub_f32 s12, s12, s16
	s_fmamk_f32 s15, s0, 0x32a5705f, s15
	s_cselect_b32 vcc_lo, -1, 0
	s_cmp_ngt_f32 s0, 0x42b17218
	s_delay_alu instid0(SALU_CYCLE_1) | instskip(SKIP_2) | instid1(SALU_CYCLE_1)
	s_add_f32 s12, s12, s15
	s_cvt_i32_f32 s15, s16
	s_sub_f32 s16, s14, s17
	v_s_exp_f32 s12, s12
	v_nop
	s_delay_alu instid0(TRANS32_DEP_1) | instskip(SKIP_1) | instid1(VALU_DEP_1)
	v_ldexp_f32 v1, s12, s15
	s_cvt_i32_f32 s12, s17
	v_cndmask_b32_e32 v1, 0, v1, vcc_lo
	s_cselect_b32 vcc_lo, -1, 0
	s_cmp_ge_f32 s0, 0xc1a00000
	s_delay_alu instid0(VALU_DEP_1)
	v_cndmask_b32_e32 v1, 0x7f800000, v1, vcc_lo
	s_cselect_b32 vcc_lo, -1, 0
	s_xor_b32 s0, s14, 0x80000000
	s_cmp_nlt_f32 s6, 0xc2ce8ed0
	s_fmamk_f32 s0, s6, 0x3fb8aa3b, s0
	v_cndmask_b32_e32 v10, 0, v1, vcc_lo
	s_delay_alu instid0(SALU_CYCLE_2) | instskip(NEXT) | instid1(SALU_CYCLE_3)
	s_fmamk_f32 s0, s6, 0x32a5705f, s0
	s_add_f32 s0, s16, s0
	s_delay_alu instid0(SALU_CYCLE_3) | instskip(SKIP_1) | instid1(TRANS32_DEP_1)
	v_s_exp_f32 s0, s0
	v_nop
	v_ldexp_f32 v6, s0, s12
	s_cselect_b32 s0, -1, 0
	s_cmp_ngt_f32 s6, 0x42b17218
	s_delay_alu instid0(VALU_DEP_1) | instskip(SKIP_2) | instid1(VALU_DEP_1)
	v_cndmask_b32_e64 v6, 0, v6, s0
	s_cselect_b32 s0, -1, 0
	s_cmp_ge_f32 s6, 0xc1a00000
	v_cndmask_b32_e64 v8, 0x7f800000, v6, s0
	s_cselect_b32 s0, -1, 0
	v_mov_b32_e32 v6, s13
	s_add_co_i32 s1, s1, -1
	s_add_co_i32 s4, s4, -2
	v_cndmask_b32_e64 v8, 0, v8, s0
	s_cmp_le_i32 s1, s7
	s_mov_b32 s0, s5
	s_wait_loadcnt 0x0
	s_delay_alu instid0(VALU_DEP_1) | instskip(NEXT) | instid1(VALU_DEP_1)
	v_pk_mul_f32 v[6:7], v[6:7], v[8:9] op_sel_hi:[1,0]
	v_pk_fma_f32 v[2:3], v[2:3], v[10:11], v[6:7] op_sel_hi:[1,0,1]
	s_cbranch_scc0 .LBB50_3
	s_branch .LBB50_5
.LBB50_4:
	s_wait_kmcnt 0x0
	v_mov_b32_e32 v2, s15
.LBB50_5:
	v_lshl_add_u64 v[0:1], v[4:5], 2, s[8:9]
	s_wait_loadcnt 0x0
	s_delay_alu instid0(VALU_DEP_2) | instskip(NEXT) | instid1(VALU_DEP_1)
	v_div_scale_f32 v4, null, v2, v2, v3
	v_rcp_f32_e32 v5, v4
	v_nop
	s_delay_alu instid0(TRANS32_DEP_1) | instskip(NEXT) | instid1(VALU_DEP_1)
	v_fma_f32 v6, -v4, v5, 1.0
	v_fmac_f32_e32 v5, v6, v5
	v_div_scale_f32 v6, vcc_lo, v3, v2, v3
	s_delay_alu instid0(VALU_DEP_1) | instskip(NEXT) | instid1(VALU_DEP_1)
	v_mul_f32_e32 v7, v6, v5
	v_fma_f32 v8, -v4, v7, v6
	s_delay_alu instid0(VALU_DEP_1) | instskip(NEXT) | instid1(VALU_DEP_1)
	v_fmac_f32_e32 v7, v8, v5
	v_fma_f32 v4, -v4, v7, v6
	s_delay_alu instid0(VALU_DEP_1) | instskip(NEXT) | instid1(VALU_DEP_1)
	v_div_fmas_f32 v4, v4, v5, v7
	v_div_fixup_f32 v2, v4, v2, v3
	global_store_b32 v[0:1], v2, off
.LBB50_6:
	s_endpgm
	.section	.rodata,"a",@progbits
	.p2align	6, 0x0
	.amdhsa_kernel _ZL33flash_attn_stream_k_fixup_uniformILi64ELi1ELi2EEvPfPK15HIP_vector_typeIfLj2EEiiiiiiS1_IjLj3EES5_S5_
		.amdhsa_group_segment_fixed_size 0
		.amdhsa_private_segment_fixed_size 0
		.amdhsa_kernarg_size 76
		.amdhsa_user_sgpr_count 2
		.amdhsa_user_sgpr_dispatch_ptr 0
		.amdhsa_user_sgpr_queue_ptr 0
		.amdhsa_user_sgpr_kernarg_segment_ptr 1
		.amdhsa_user_sgpr_dispatch_id 0
		.amdhsa_user_sgpr_kernarg_preload_length 0
		.amdhsa_user_sgpr_kernarg_preload_offset 0
		.amdhsa_user_sgpr_private_segment_size 0
		.amdhsa_wavefront_size32 1
		.amdhsa_uses_dynamic_stack 0
		.amdhsa_enable_private_segment 0
		.amdhsa_system_sgpr_workgroup_id_x 1
		.amdhsa_system_sgpr_workgroup_id_y 1
		.amdhsa_system_sgpr_workgroup_id_z 1
		.amdhsa_system_sgpr_workgroup_info 0
		.amdhsa_system_vgpr_workitem_id 0
		.amdhsa_next_free_vgpr 12
		.amdhsa_next_free_sgpr 21
		.amdhsa_named_barrier_count 0
		.amdhsa_reserve_vcc 1
		.amdhsa_float_round_mode_32 0
		.amdhsa_float_round_mode_16_64 0
		.amdhsa_float_denorm_mode_32 3
		.amdhsa_float_denorm_mode_16_64 3
		.amdhsa_fp16_overflow 0
		.amdhsa_memory_ordered 1
		.amdhsa_forward_progress 1
		.amdhsa_inst_pref_size 9
		.amdhsa_round_robin_scheduling 0
		.amdhsa_exception_fp_ieee_invalid_op 0
		.amdhsa_exception_fp_denorm_src 0
		.amdhsa_exception_fp_ieee_div_zero 0
		.amdhsa_exception_fp_ieee_overflow 0
		.amdhsa_exception_fp_ieee_underflow 0
		.amdhsa_exception_fp_ieee_inexact 0
		.amdhsa_exception_int_div_zero 0
	.end_amdhsa_kernel
	.section	.text._ZL33flash_attn_stream_k_fixup_uniformILi64ELi1ELi2EEvPfPK15HIP_vector_typeIfLj2EEiiiiiiS1_IjLj3EES5_S5_,"axG",@progbits,_ZL33flash_attn_stream_k_fixup_uniformILi64ELi1ELi2EEvPfPK15HIP_vector_typeIfLj2EEiiiiiiS1_IjLj3EES5_S5_,comdat
.Lfunc_end50:
	.size	_ZL33flash_attn_stream_k_fixup_uniformILi64ELi1ELi2EEvPfPK15HIP_vector_typeIfLj2EEiiiiiiS1_IjLj3EES5_S5_, .Lfunc_end50-_ZL33flash_attn_stream_k_fixup_uniformILi64ELi1ELi2EEvPfPK15HIP_vector_typeIfLj2EEiiiiiiS1_IjLj3EES5_S5_
                                        ; -- End function
	.set _ZL33flash_attn_stream_k_fixup_uniformILi64ELi1ELi2EEvPfPK15HIP_vector_typeIfLj2EEiiiiiiS1_IjLj3EES5_S5_.num_vgpr, 12
	.set _ZL33flash_attn_stream_k_fixup_uniformILi64ELi1ELi2EEvPfPK15HIP_vector_typeIfLj2EEiiiiiiS1_IjLj3EES5_S5_.num_agpr, 0
	.set _ZL33flash_attn_stream_k_fixup_uniformILi64ELi1ELi2EEvPfPK15HIP_vector_typeIfLj2EEiiiiiiS1_IjLj3EES5_S5_.numbered_sgpr, 21
	.set _ZL33flash_attn_stream_k_fixup_uniformILi64ELi1ELi2EEvPfPK15HIP_vector_typeIfLj2EEiiiiiiS1_IjLj3EES5_S5_.num_named_barrier, 0
	.set _ZL33flash_attn_stream_k_fixup_uniformILi64ELi1ELi2EEvPfPK15HIP_vector_typeIfLj2EEiiiiiiS1_IjLj3EES5_S5_.private_seg_size, 0
	.set _ZL33flash_attn_stream_k_fixup_uniformILi64ELi1ELi2EEvPfPK15HIP_vector_typeIfLj2EEiiiiiiS1_IjLj3EES5_S5_.uses_vcc, 1
	.set _ZL33flash_attn_stream_k_fixup_uniformILi64ELi1ELi2EEvPfPK15HIP_vector_typeIfLj2EEiiiiiiS1_IjLj3EES5_S5_.uses_flat_scratch, 0
	.set _ZL33flash_attn_stream_k_fixup_uniformILi64ELi1ELi2EEvPfPK15HIP_vector_typeIfLj2EEiiiiiiS1_IjLj3EES5_S5_.has_dyn_sized_stack, 0
	.set _ZL33flash_attn_stream_k_fixup_uniformILi64ELi1ELi2EEvPfPK15HIP_vector_typeIfLj2EEiiiiiiS1_IjLj3EES5_S5_.has_recursion, 0
	.set _ZL33flash_attn_stream_k_fixup_uniformILi64ELi1ELi2EEvPfPK15HIP_vector_typeIfLj2EEiiiiiiS1_IjLj3EES5_S5_.has_indirect_call, 0
	.section	.AMDGPU.csdata,"",@progbits
; Kernel info:
; codeLenInByte = 1072
; TotalNumSgprs: 23
; NumVgprs: 12
; ScratchSize: 0
; MemoryBound: 0
; FloatMode: 240
; IeeeMode: 1
; LDSByteSize: 0 bytes/workgroup (compile time only)
; SGPRBlocks: 0
; VGPRBlocks: 0
; NumSGPRsForWavesPerEU: 23
; NumVGPRsForWavesPerEU: 12
; NamedBarCnt: 0
; Occupancy: 16
; WaveLimiterHint : 0
; COMPUTE_PGM_RSRC2:SCRATCH_EN: 0
; COMPUTE_PGM_RSRC2:USER_SGPR: 2
; COMPUTE_PGM_RSRC2:TRAP_HANDLER: 0
; COMPUTE_PGM_RSRC2:TGID_X_EN: 1
; COMPUTE_PGM_RSRC2:TGID_Y_EN: 1
; COMPUTE_PGM_RSRC2:TGID_Z_EN: 1
; COMPUTE_PGM_RSRC2:TIDIG_COMP_CNT: 0
	.section	.text._ZL33flash_attn_stream_k_fixup_generalILi64ELi1ELi2EEvPfPK15HIP_vector_typeIfLj2EEiiiiS1_IjLj3EES5_S5_S5_,"axG",@progbits,_ZL33flash_attn_stream_k_fixup_generalILi64ELi1ELi2EEvPfPK15HIP_vector_typeIfLj2EEiiiiS1_IjLj3EES5_S5_S5_,comdat
	.globl	_ZL33flash_attn_stream_k_fixup_generalILi64ELi1ELi2EEvPfPK15HIP_vector_typeIfLj2EEiiiiS1_IjLj3EES5_S5_S5_ ; -- Begin function _ZL33flash_attn_stream_k_fixup_generalILi64ELi1ELi2EEvPfPK15HIP_vector_typeIfLj2EEiiiiS1_IjLj3EES5_S5_S5_
	.p2align	8
	.type	_ZL33flash_attn_stream_k_fixup_generalILi64ELi1ELi2EEvPfPK15HIP_vector_typeIfLj2EEiiiiS1_IjLj3EES5_S5_S5_,@function
_ZL33flash_attn_stream_k_fixup_generalILi64ELi1ELi2EEvPfPK15HIP_vector_typeIfLj2EEiiiiS1_IjLj3EES5_S5_S5_: ; @_ZL33flash_attn_stream_k_fixup_generalILi64ELi1ELi2EEvPfPK15HIP_vector_typeIfLj2EEiiiiS1_IjLj3EES5_S5_S5_
; %bb.0:
	s_clause 0x1
	s_load_b128 s[4:7], s[0:1], 0x10
	s_load_b32 s16, s[0:1], 0x50
	s_bfe_u32 s2, ttmp6, 0x4000c
	s_and_b32 s3, ttmp6, 15
	s_add_co_i32 s2, s2, 1
	s_getreg_b32 s15, hwreg(HW_REG_IB_STS2, 6, 4)
	s_mul_i32 s2, ttmp9, s2
	s_mov_b32 s17, 0
	s_add_co_i32 s3, s3, s2
	s_cmp_eq_u32 s15, 0
	s_cselect_b32 s2, ttmp9, s3
	s_delay_alu instid0(SALU_CYCLE_1) | instskip(SKIP_3) | instid1(SALU_CYCLE_1)
	s_ashr_i32 s3, s2, 31
	s_wait_kmcnt 0x0
	s_ashr_i32 s19, s7, 31
	s_mov_b32 s18, s7
	s_mul_u64 s[8:9], s[18:19], s[2:3]
	s_delay_alu instid0(SALU_CYCLE_1) | instskip(NEXT) | instid1(SALU_CYCLE_1)
	s_and_b64 s[10:11], s[8:9], 0xffffffff00000000
	s_cmp_lg_u64 s[10:11], 0
	s_cbranch_scc0 .LBB51_21
; %bb.1:
	s_add_nc_u64 s[10:11], s[16:17], 0
	s_mov_b32 s23, s17
	s_xor_b64 s[10:11], s[10:11], 0
	s_mov_b32 s27, s17
	s_cvt_f32_u32 s3, s10
	s_cvt_f32_u32 s7, s11
	s_sub_nc_u64 s[20:21], 0, s[10:11]
	s_delay_alu instid0(SALU_CYCLE_2) | instskip(NEXT) | instid1(SALU_CYCLE_3)
	s_fmamk_f32 s3, s7, 0x4f800000, s3
	v_s_rcp_f32 s3, s3
	s_delay_alu instid0(TRANS32_DEP_1) | instskip(NEXT) | instid1(SALU_CYCLE_3)
	s_mul_f32 s3, s3, 0x5f7ffffc
	s_mul_f32 s7, s3, 0x2f800000
	s_delay_alu instid0(SALU_CYCLE_3) | instskip(NEXT) | instid1(SALU_CYCLE_3)
	s_trunc_f32 s7, s7
	s_fmamk_f32 s3, s7, 0xcf800000, s3
	s_cvt_u32_f32 s13, s7
	s_delay_alu instid0(SALU_CYCLE_2) | instskip(NEXT) | instid1(SALU_CYCLE_3)
	s_cvt_u32_f32 s12, s3
	s_mul_u64 s[24:25], s[20:21], s[12:13]
	s_delay_alu instid0(SALU_CYCLE_1)
	s_mul_hi_u32 s29, s12, s25
	s_mul_i32 s28, s12, s25
	s_mul_hi_u32 s22, s12, s24
	s_mul_i32 s7, s13, s24
	s_add_nc_u64 s[22:23], s[22:23], s[28:29]
	s_mul_hi_u32 s3, s13, s24
	s_mul_hi_u32 s14, s13, s25
	s_add_co_u32 s7, s22, s7
	s_add_co_ci_u32 s26, s23, s3
	s_mul_i32 s24, s13, s25
	s_add_co_ci_u32 s25, s14, 0
	s_delay_alu instid0(SALU_CYCLE_1) | instskip(SKIP_3) | instid1(SALU_CYCLE_1)
	s_add_nc_u64 s[22:23], s[26:27], s[24:25]
	s_mov_b32 s25, s17
	s_add_co_u32 s12, s12, s22
	s_cselect_b32 s3, -1, 0
	s_cmp_lg_u32 s3, 0
	s_add_co_ci_u32 s13, s13, s23
	s_mov_b32 s23, s17
	s_mul_u64 s[20:21], s[20:21], s[12:13]
	s_delay_alu instid0(SALU_CYCLE_1)
	s_mul_hi_u32 s27, s12, s21
	s_mul_i32 s26, s12, s21
	s_mul_hi_u32 s22, s12, s20
	s_mul_i32 s7, s13, s20
	s_add_nc_u64 s[22:23], s[22:23], s[26:27]
	s_mul_hi_u32 s3, s13, s20
	s_mul_hi_u32 s14, s13, s21
	s_add_co_u32 s7, s22, s7
	s_add_co_ci_u32 s24, s23, s3
	s_mul_i32 s20, s13, s21
	s_add_co_ci_u32 s21, s14, 0
	s_mov_b32 s23, s17
	s_add_nc_u64 s[20:21], s[24:25], s[20:21]
	s_delay_alu instid0(SALU_CYCLE_1) | instskip(SKIP_1) | instid1(SALU_CYCLE_1)
	s_add_co_u32 s3, s12, s20
	s_cselect_b32 s7, -1, 0
	s_cmp_lg_u32 s7, 0
	s_add_co_ci_u32 s7, s13, s21
	s_ashr_i32 s12, s9, 31
	s_delay_alu instid0(SALU_CYCLE_1) | instskip(NEXT) | instid1(SALU_CYCLE_1)
	s_mov_b32 s13, s12
	s_add_nc_u64 s[20:21], s[8:9], s[12:13]
	s_delay_alu instid0(SALU_CYCLE_1) | instskip(NEXT) | instid1(SALU_CYCLE_1)
	s_xor_b64 s[20:21], s[20:21], s[12:13]
	s_mul_hi_u32 s27, s20, s7
	s_mul_i32 s26, s20, s7
	s_mul_hi_u32 s22, s20, s3
	s_mul_hi_u32 s14, s21, s3
	s_mul_i32 s3, s21, s3
	s_add_nc_u64 s[22:23], s[22:23], s[26:27]
	s_mul_hi_u32 s9, s21, s7
	s_add_co_u32 s3, s22, s3
	s_add_co_ci_u32 s24, s23, s14
	s_mul_i32 s26, s21, s7
	s_add_co_ci_u32 s27, s9, 0
	s_delay_alu instid0(SALU_CYCLE_1) | instskip(NEXT) | instid1(SALU_CYCLE_1)
	s_add_nc_u64 s[22:23], s[24:25], s[26:27]
	s_and_b64 s[24:25], s[22:23], 0xffffffff00000000
	s_delay_alu instid0(SALU_CYCLE_1) | instskip(NEXT) | instid1(SALU_CYCLE_1)
	s_or_b32 s24, s24, s22
	s_mul_u64 s[22:23], s[10:11], s[24:25]
	s_add_nc_u64 s[26:27], s[24:25], 1
	s_sub_co_u32 s3, s20, s22
	s_cselect_b32 s7, -1, 0
	s_sub_co_i32 s9, s21, s23
	s_cmp_lg_u32 s7, 0
	s_add_nc_u64 s[28:29], s[24:25], 2
	s_sub_co_ci_u32 s9, s9, s11
	s_sub_co_u32 s14, s3, s10
	s_cselect_b32 s20, -1, 0
	s_delay_alu instid0(SALU_CYCLE_1) | instskip(SKIP_1) | instid1(SALU_CYCLE_1)
	s_cmp_lg_u32 s20, 0
	s_sub_co_ci_u32 s9, s9, 0
	s_cmp_ge_u32 s9, s11
	s_cselect_b32 s20, -1, 0
	s_cmp_ge_u32 s14, s10
	s_cselect_b32 s14, -1, 0
	s_cmp_eq_u32 s9, s11
	s_cselect_b32 s9, s14, s20
	s_delay_alu instid0(SALU_CYCLE_1) | instskip(SKIP_4) | instid1(SALU_CYCLE_1)
	s_cmp_lg_u32 s9, 0
	s_cselect_b32 s9, s28, s26
	s_cselect_b32 s14, s29, s27
	s_cmp_lg_u32 s7, 0
	s_sub_co_ci_u32 s7, s21, s23
	s_cmp_ge_u32 s7, s11
	s_cselect_b32 s20, -1, 0
	s_cmp_ge_u32 s3, s10
	s_cselect_b32 s3, -1, 0
	s_cmp_eq_u32 s7, s11
	s_cselect_b32 s3, s3, s20
	s_delay_alu instid0(SALU_CYCLE_1) | instskip(SKIP_4) | instid1(SALU_CYCLE_1)
	s_cmp_lg_u32 s3, 0
	s_mov_b32 s3, s17
	s_cselect_b32 s11, s14, s25
	s_cselect_b32 s10, s9, s24
	s_xor_b64 s[12:13], s[12:13], 0
	s_xor_b64 s[10:11], s[10:11], s[12:13]
	s_delay_alu instid0(SALU_CYCLE_1)
	s_sub_nc_u64 s[20:21], s[10:11], s[12:13]
	s_and_not1_b32 vcc_lo, exec_lo, s3
	s_cbranch_vccnz .LBB51_3
.LBB51_2:
	v_cvt_f32_u32_e32 v1, s16
	s_sub_co_i32 s7, 0, s16
	s_mov_b32 s21, 0
	s_delay_alu instid0(VALU_DEP_1) | instskip(SKIP_1) | instid1(TRANS32_DEP_1)
	v_rcp_iflag_f32_e32 v1, v1
	v_nop
	v_mul_f32_e32 v1, 0x4f7ffffe, v1
	s_delay_alu instid0(VALU_DEP_1) | instskip(NEXT) | instid1(VALU_DEP_1)
	v_cvt_u32_f32_e32 v1, v1
	v_readfirstlane_b32 s3, v1
	s_mul_i32 s7, s7, s3
	s_delay_alu instid0(SALU_CYCLE_1) | instskip(NEXT) | instid1(SALU_CYCLE_1)
	s_mul_hi_u32 s7, s3, s7
	s_add_co_i32 s3, s3, s7
	s_delay_alu instid0(SALU_CYCLE_1) | instskip(NEXT) | instid1(SALU_CYCLE_1)
	s_mul_hi_u32 s3, s8, s3
	s_mul_i32 s7, s3, s16
	s_delay_alu instid0(SALU_CYCLE_1)
	s_sub_co_i32 s7, s8, s7
	s_add_co_i32 s8, s3, 1
	s_sub_co_i32 s9, s7, s16
	s_cmp_ge_u32 s7, s16
	s_cselect_b32 s3, s8, s3
	s_cselect_b32 s7, s9, s7
	s_add_co_i32 s8, s3, 1
	s_cmp_ge_u32 s7, s16
	s_cselect_b32 s20, s8, s3
.LBB51_3:
	s_add_co_i32 s8, s2, 1
	s_delay_alu instid0(SALU_CYCLE_1) | instskip(NEXT) | instid1(SALU_CYCLE_1)
	s_ashr_i32 s9, s8, 31
	s_mul_u64 s[8:9], s[18:19], s[8:9]
	s_delay_alu instid0(SALU_CYCLE_1) | instskip(NEXT) | instid1(SALU_CYCLE_1)
	s_and_b64 s[10:11], s[8:9], 0xffffffff00000000
	s_cmp_lg_u64 s[10:11], 0
	s_cbranch_scc0 .LBB51_22
; %bb.4:
	s_add_nc_u64 s[10:11], s[16:17], 0
	s_delay_alu instid0(SALU_CYCLE_1) | instskip(SKIP_4) | instid1(SALU_CYCLE_2)
	s_xor_b64 s[12:13], s[10:11], 0
	s_mov_b32 s11, 0
	s_cvt_f32_u32 s3, s12
	s_cvt_f32_u32 s7, s13
	s_sub_nc_u64 s[24:25], 0, s[12:13]
	s_fmamk_f32 s3, s7, 0x4f800000, s3
	s_delay_alu instid0(SALU_CYCLE_3) | instskip(NEXT) | instid1(TRANS32_DEP_1)
	v_s_rcp_f32 s3, s3
	s_mul_f32 s3, s3, 0x5f7ffffc
	s_delay_alu instid0(SALU_CYCLE_3) | instskip(NEXT) | instid1(SALU_CYCLE_3)
	s_mul_f32 s7, s3, 0x2f800000
	s_trunc_f32 s7, s7
	s_delay_alu instid0(SALU_CYCLE_3) | instskip(SKIP_1) | instid1(SALU_CYCLE_2)
	s_fmamk_f32 s3, s7, 0xcf800000, s3
	s_cvt_u32_f32 s23, s7
	s_cvt_u32_f32 s22, s3
	s_delay_alu instid0(SALU_CYCLE_3) | instskip(NEXT) | instid1(SALU_CYCLE_1)
	s_mul_u64 s[26:27], s[24:25], s[22:23]
	s_mul_hi_u32 s29, s22, s27
	s_mul_i32 s28, s22, s27
	s_mul_hi_u32 s10, s22, s26
	s_mul_i32 s7, s23, s26
	s_add_nc_u64 s[28:29], s[10:11], s[28:29]
	s_mul_hi_u32 s3, s23, s26
	s_mul_hi_u32 s14, s23, s27
	s_add_co_u32 s7, s28, s7
	s_add_co_ci_u32 s10, s29, s3
	s_mul_i32 s26, s23, s27
	s_add_co_ci_u32 s27, s14, 0
	s_delay_alu instid0(SALU_CYCLE_1) | instskip(NEXT) | instid1(SALU_CYCLE_1)
	s_add_nc_u64 s[26:27], s[10:11], s[26:27]
	s_add_co_u32 s22, s22, s26
	s_cselect_b32 s3, -1, 0
	s_delay_alu instid0(SALU_CYCLE_1) | instskip(SKIP_1) | instid1(SALU_CYCLE_1)
	s_cmp_lg_u32 s3, 0
	s_add_co_ci_u32 s23, s23, s27
	s_mul_u64 s[24:25], s[24:25], s[22:23]
	s_delay_alu instid0(SALU_CYCLE_1)
	s_mul_hi_u32 s27, s22, s25
	s_mul_i32 s26, s22, s25
	s_mul_hi_u32 s10, s22, s24
	s_mul_i32 s7, s23, s24
	s_add_nc_u64 s[26:27], s[10:11], s[26:27]
	s_mul_hi_u32 s3, s23, s24
	s_mul_hi_u32 s14, s23, s25
	s_add_co_u32 s7, s26, s7
	s_add_co_ci_u32 s10, s27, s3
	s_mul_i32 s24, s23, s25
	s_add_co_ci_u32 s25, s14, 0
	s_delay_alu instid0(SALU_CYCLE_1) | instskip(NEXT) | instid1(SALU_CYCLE_1)
	s_add_nc_u64 s[24:25], s[10:11], s[24:25]
	s_add_co_u32 s3, s22, s24
	s_cselect_b32 s7, -1, 0
	s_delay_alu instid0(SALU_CYCLE_1) | instskip(SKIP_2) | instid1(SALU_CYCLE_1)
	s_cmp_lg_u32 s7, 0
	s_add_co_ci_u32 s7, s23, s25
	s_ashr_i32 s22, s9, 31
	s_mov_b32 s23, s22
	s_delay_alu instid0(SALU_CYCLE_1) | instskip(NEXT) | instid1(SALU_CYCLE_1)
	s_add_nc_u64 s[24:25], s[8:9], s[22:23]
	s_xor_b64 s[24:25], s[24:25], s[22:23]
	s_delay_alu instid0(SALU_CYCLE_1)
	s_mul_hi_u32 s27, s24, s7
	s_mul_i32 s26, s24, s7
	s_mul_hi_u32 s10, s24, s3
	s_mul_hi_u32 s14, s25, s3
	s_mul_i32 s3, s25, s3
	s_add_nc_u64 s[26:27], s[10:11], s[26:27]
	s_mul_hi_u32 s9, s25, s7
	s_add_co_u32 s3, s26, s3
	s_add_co_ci_u32 s10, s27, s14
	s_mul_i32 s28, s25, s7
	s_add_co_ci_u32 s29, s9, 0
	s_delay_alu instid0(SALU_CYCLE_1) | instskip(NEXT) | instid1(SALU_CYCLE_1)
	s_add_nc_u64 s[26:27], s[10:11], s[28:29]
	s_and_b64 s[28:29], s[26:27], 0xffffffff00000000
	s_delay_alu instid0(SALU_CYCLE_1) | instskip(NEXT) | instid1(SALU_CYCLE_1)
	s_or_b32 s28, s28, s26
	s_mul_u64 s[26:27], s[12:13], s[28:29]
	s_add_nc_u64 s[30:31], s[28:29], 1
	s_sub_co_u32 s3, s24, s26
	s_cselect_b32 s7, -1, 0
	s_sub_co_i32 s9, s25, s27
	s_cmp_lg_u32 s7, 0
	s_add_nc_u64 s[34:35], s[28:29], 2
	s_sub_co_ci_u32 s9, s9, s13
	s_sub_co_u32 s10, s3, s12
	s_cselect_b32 s14, -1, 0
	s_delay_alu instid0(SALU_CYCLE_1) | instskip(SKIP_1) | instid1(SALU_CYCLE_1)
	s_cmp_lg_u32 s14, 0
	s_sub_co_ci_u32 s9, s9, 0
	s_cmp_ge_u32 s9, s13
	s_cselect_b32 s14, -1, 0
	s_cmp_ge_u32 s10, s12
	s_cselect_b32 s10, -1, 0
	s_cmp_eq_u32 s9, s13
	s_cselect_b32 s9, s10, s14
	s_delay_alu instid0(SALU_CYCLE_1) | instskip(SKIP_4) | instid1(SALU_CYCLE_1)
	s_cmp_lg_u32 s9, 0
	s_cselect_b32 s9, s34, s30
	s_cselect_b32 s10, s35, s31
	s_cmp_lg_u32 s7, 0
	s_sub_co_ci_u32 s7, s25, s27
	s_cmp_ge_u32 s7, s13
	s_cselect_b32 s14, -1, 0
	s_cmp_ge_u32 s3, s12
	s_cselect_b32 s3, -1, 0
	s_cmp_eq_u32 s7, s13
	s_cselect_b32 s3, s3, s14
	s_delay_alu instid0(SALU_CYCLE_1) | instskip(SKIP_3) | instid1(SALU_CYCLE_1)
	s_cmp_lg_u32 s3, 0
	s_cselect_b32 s13, s10, s29
	s_cselect_b32 s12, s9, s28
	s_xor_b64 s[22:23], s[22:23], 0
	s_xor_b64 s[12:13], s[12:13], s[22:23]
	s_delay_alu instid0(SALU_CYCLE_1)
	s_sub_nc_u64 s[24:25], s[12:13], s[22:23]
	s_load_b96 s[12:14], s[0:1], 0x44
	s_cbranch_execnz .LBB51_6
.LBB51_5:
	v_cvt_f32_u32_e32 v1, s16
	s_sub_co_i32 s7, 0, s16
	s_delay_alu instid0(VALU_DEP_1) | instskip(SKIP_1) | instid1(TRANS32_DEP_1)
	v_rcp_iflag_f32_e32 v1, v1
	v_nop
	v_mul_f32_e32 v1, 0x4f7ffffe, v1
	s_delay_alu instid0(VALU_DEP_1) | instskip(NEXT) | instid1(VALU_DEP_1)
	v_cvt_u32_f32_e32 v1, v1
	v_readfirstlane_b32 s3, v1
	s_mul_i32 s7, s7, s3
	s_delay_alu instid0(SALU_CYCLE_1) | instskip(NEXT) | instid1(SALU_CYCLE_1)
	s_mul_hi_u32 s7, s3, s7
	s_add_co_i32 s3, s3, s7
	s_delay_alu instid0(SALU_CYCLE_1) | instskip(NEXT) | instid1(SALU_CYCLE_1)
	s_mul_hi_u32 s3, s8, s3
	s_mul_i32 s7, s3, s16
	s_delay_alu instid0(SALU_CYCLE_1)
	s_sub_co_i32 s7, s8, s7
	s_add_co_i32 s8, s3, 1
	s_sub_co_i32 s9, s7, s16
	s_cmp_ge_u32 s7, s16
	s_cselect_b32 s3, s8, s3
	s_cselect_b32 s7, s9, s7
	s_add_co_i32 s8, s3, 1
	s_cmp_ge_u32 s7, s16
	s_cselect_b32 s24, s8, s3
.LBB51_6:
	s_delay_alu instid0(SALU_CYCLE_1)
	s_cmp_eq_u32 s20, s24
	s_mov_b64 s[8:9], 0xffffffff
	s_cselect_b32 s3, -1, 0
	s_and_b64 s[8:9], s[20:21], s[8:9]
	s_mov_b32 s23, 0
	s_wait_kmcnt 0x0
	s_mov_b32 s22, s12
	s_mov_b32 s25, s23
	s_mul_u64 s[10:11], s[8:9], s[22:23]
	s_delay_alu instid0(SALU_CYCLE_1) | instskip(SKIP_2) | instid1(SALU_CYCLE_1)
	s_add_co_i32 s7, s11, s20
	s_mul_u64 s[10:11], s[24:25], s[22:23]
	s_lshr_b32 s12, s7, s13
	s_mul_i32 s7, s12, s14
	s_delay_alu instid0(SALU_CYCLE_1) | instskip(SKIP_2) | instid1(SALU_CYCLE_1)
	s_cmp_eq_u32 s7, s20
	s_cselect_b32 s7, -1, 0
	s_add_co_i32 s10, s11, s24
	s_lshr_b32 s10, s10, s13
	s_delay_alu instid0(SALU_CYCLE_1)
	s_cmp_eq_u32 s12, s10
	s_mul_i32 s10, s10, s14
	s_cselect_b32 s11, -1, 0
	s_cmp_lg_u32 s10, s24
	s_cselect_b32 s10, -1, 0
	s_or_b32 s3, s3, s7
	s_and_b32 s10, s11, s10
	s_delay_alu instid0(SALU_CYCLE_1) | instskip(NEXT) | instid1(SALU_CYCLE_1)
	s_or_b32 s3, s3, s10
	s_and_b32 vcc_lo, exec_lo, s3
	s_cbranch_vccnz .LBB51_24
; %bb.7:
	s_load_b256 s[24:31], s[0:1], 0x20
	s_bfe_u32 s7, ttmp6, 0x40014
	s_bfe_u32 s33, ttmp6, 0x40010
	s_lshr_b32 s3, ttmp7, 16
	s_add_co_i32 s7, s7, 1
	s_and_b32 s21, ttmp7, 0xffff
	s_add_co_i32 s33, s33, 1
	s_bfe_u32 s10, ttmp6, 0x40008
	s_mul_i32 s7, s3, s7
	s_bfe_u32 s34, ttmp6, 0x40004
	s_mul_i32 s33, s21, s33
	s_mov_b32 s11, s23
	s_add_co_i32 s7, s10, s7
	s_add_co_i32 s34, s34, s33
	s_cmp_eq_u32 s15, 0
	s_cselect_b32 s15, s21, s34
	s_cselect_b32 s21, s3, s7
	s_wait_kmcnt 0x0
	s_mov_b32 s10, s24
	s_delay_alu instid0(SALU_CYCLE_1) | instskip(SKIP_2) | instid1(SALU_CYCLE_1)
	s_mul_u64 s[8:9], s[8:9], s[10:11]
	s_load_b32 s8, s[0:1], 0x40
	s_add_co_i32 s3, s9, s20
	s_lshr_b32 s3, s3, s25
	s_delay_alu instid0(SALU_CYCLE_1) | instskip(NEXT) | instid1(SALU_CYCLE_1)
	s_mul_i32 s7, s3, s26
	s_sub_co_i32 s9, s20, s7
	s_delay_alu instid0(SALU_CYCLE_1) | instskip(NEXT) | instid1(SALU_CYCLE_1)
	s_mul_hi_u32 s7, s9, s27
	s_add_co_i32 s7, s9, s7
	s_delay_alu instid0(SALU_CYCLE_1) | instskip(NEXT) | instid1(SALU_CYCLE_1)
	s_lshr_b32 s7, s7, s28
	s_mul_i32 s10, s7, s29
	s_delay_alu instid0(SALU_CYCLE_1) | instskip(NEXT) | instid1(SALU_CYCLE_1)
	s_sub_co_i32 s10, s9, s10
	s_mul_hi_u32 s9, s10, s30
	s_delay_alu instid0(SALU_CYCLE_1) | instskip(NEXT) | instid1(SALU_CYCLE_1)
	s_add_co_i32 s9, s10, s9
	s_lshr_b32 s25, s9, s31
	s_mov_b32 s9, s23
	s_wait_kmcnt 0x0
	s_mul_i32 s8, s25, s8
	s_lshl_b32 s25, s25, 1
	s_sub_co_i32 s8, s10, s8
	s_delay_alu instid0(SALU_CYCLE_1) | instskip(NEXT) | instid1(SALU_CYCLE_1)
	s_mul_u64 s[10:11], s[8:9], s[22:23]
	s_add_co_i32 s8, s8, s11
	s_delay_alu instid0(SALU_CYCLE_1) | instskip(NEXT) | instid1(SALU_CYCLE_1)
	s_lshr_b32 s24, s8, s13
	s_add_co_i32 s24, s24, s15
	s_delay_alu instid0(SALU_CYCLE_1) | instskip(SKIP_2) | instid1(SALU_CYCLE_1)
	s_cmp_lt_i32 s24, s4
	s_cselect_b32 s8, -1, 0
	s_add_co_i32 s25, s25, s21
	s_cmp_lt_i32 s25, s6
	s_cselect_b32 s9, -1, 0
	s_delay_alu instid0(SALU_CYCLE_1) | instskip(NEXT) | instid1(SALU_CYCLE_1)
	s_and_b32 s8, s8, s9
	s_and_not1_b32 vcc_lo, exec_lo, s8
	s_cbranch_vccnz .LBB51_24
; %bb.8:
	s_load_b128 s[8:11], s[0:1], 0x0
	s_mul_i32 s3, s3, s4
	s_mul_i32 s7, s7, s6
	s_wait_xcnt 0x0
	s_add_co_i32 s0, s24, s3
	s_add_co_i32 s1, s25, s7
	s_mul_i32 s0, s0, s5
	s_add_co_i32 s3, s15, s2
	s_add_co_i32 s1, s1, s0
	v_cvt_f32_u32_e32 v4, s16
	v_lshl_or_b32 v2, s1, 6, v0
	s_add_nc_u64 s[0:1], s[16:17], 0
	s_lshl_b32 s24, s16, 3
	s_xor_b64 s[6:7], s[0:1], 0
	s_lshl_b32 s0, s3, 1
	s_cvt_f32_u32 s3, s6
	s_cvt_f32_u32 s4, s7
	s_add_co_i32 s0, s0, s21
	v_rcp_iflag_f32_e32 v4, v4
	s_ashr_i32 s1, s0, 31
	s_fmamk_f32 s3, s4, 0x4f800000, s3
	s_wait_kmcnt 0x0
	global_load_b32 v1, v2, s[8:9] scale_offset
	s_lshl_b64 s[0:1], s[0:1], 3
	s_mov_b32 s25, 0
	v_s_rcp_f32 s3, s3
	s_add_nc_u64 s[0:1], s[10:11], s[0:1]
	v_dual_mul_f32 v4, 0x4f7ffffe, v4 :: v_dual_ashrrev_i32 v3, 31, v2
	s_load_b64 s[28:29], s[0:1], 0x0
	s_wait_xcnt 0x0
	s_lshl_b64 s[0:1], s[24:25], 2
	v_lshl_or_b32 v6, s21, 6, v0
	s_add_nc_u64 s[26:27], s[10:11], s[0:1]
	s_mul_f32 s3, s3, 0x5f7ffffc
	v_lshl_add_u64 v[2:3], v[2:3], 2, s[8:9]
	v_cvt_u32_f32_e32 v7, v4
	s_mov_b64 s[8:9], 0xffffffff
	s_mul_f32 s4, s3, 0x2f800000
	s_add_co_i32 s36, s2, -1
	s_sub_nc_u64 s[34:35], 0, s[6:7]
	s_delay_alu instid0(SALU_CYCLE_1) | instskip(NEXT) | instid1(SALU_CYCLE_3)
	s_trunc_f32 s4, s4
	s_fmamk_f32 s0, s4, 0xcf800000, s3
	s_cvt_u32_f32 s31, s4
	s_wait_kmcnt 0x0
	v_mov_b32_e32 v0, s29
	s_cvt_u32_f32 s30, s0
.LBB51_9:                               ; =>This Inner Loop Header: Depth=1
	s_ashr_i32 s37, s36, 31
                                        ; implicit-def: $sgpr40_sgpr41
	s_delay_alu instid0(SALU_CYCLE_1) | instskip(NEXT) | instid1(SALU_CYCLE_1)
	s_mul_u64 s[0:1], s[36:37], s[18:19]
	s_and_b64 s[2:3], s[0:1], 0xffffffff00000000
	s_delay_alu instid0(SALU_CYCLE_1)
	s_cmp_lg_u64 s[2:3], 0
	s_mov_b32 s2, -1
	s_cbranch_scc0 .LBB51_11
; %bb.10:                               ;   in Loop: Header=BB51_9 Depth=1
	s_mul_u64 s[2:3], s[34:35], s[30:31]
	s_delay_alu instid0(SALU_CYCLE_1)
	s_mul_hi_u32 s5, s30, s3
	s_mul_i32 s4, s30, s3
	s_mul_hi_u32 s24, s30, s2
	s_mul_hi_u32 s17, s31, s2
	s_add_nc_u64 s[4:5], s[24:25], s[4:5]
	s_mul_i32 s2, s31, s2
	s_mul_hi_u32 s29, s31, s3
	s_add_co_u32 s2, s4, s2
	s_add_co_ci_u32 s24, s5, s17
	s_add_co_ci_u32 s5, s29, 0
	s_mul_i32 s4, s31, s3
	s_delay_alu instid0(SALU_CYCLE_1) | instskip(NEXT) | instid1(SALU_CYCLE_1)
	s_add_nc_u64 s[2:3], s[24:25], s[4:5]
	s_add_co_u32 s2, s30, s2
	s_cselect_b32 s4, -1, 0
	s_delay_alu instid0(SALU_CYCLE_1) | instskip(SKIP_1) | instid1(SALU_CYCLE_1)
	s_cmp_lg_u32 s4, 0
	s_add_co_ci_u32 s3, s31, s3
	s_mul_u64 s[4:5], s[34:35], s[2:3]
	s_delay_alu instid0(SALU_CYCLE_1)
	s_mul_hi_u32 s39, s2, s5
	s_mul_i32 s38, s2, s5
	s_mul_hi_u32 s24, s2, s4
	s_mul_hi_u32 s17, s3, s4
	s_mul_i32 s4, s3, s4
	s_add_nc_u64 s[38:39], s[24:25], s[38:39]
	s_mul_hi_u32 s29, s3, s5
	s_add_co_u32 s4, s38, s4
	s_add_co_ci_u32 s24, s39, s17
	s_mul_i32 s4, s3, s5
	s_add_co_ci_u32 s5, s29, 0
	s_delay_alu instid0(SALU_CYCLE_1) | instskip(NEXT) | instid1(SALU_CYCLE_1)
	s_add_nc_u64 s[4:5], s[24:25], s[4:5]
	s_add_co_u32 s17, s2, s4
	s_cselect_b32 s2, -1, 0
	s_delay_alu instid0(SALU_CYCLE_1) | instskip(SKIP_2) | instid1(SALU_CYCLE_1)
	s_cmp_lg_u32 s2, 0
	s_add_co_ci_u32 s29, s3, s5
	s_ashr_i32 s2, s1, 31
	s_mov_b32 s3, s2
	s_delay_alu instid0(SALU_CYCLE_1) | instskip(NEXT) | instid1(SALU_CYCLE_1)
	s_add_nc_u64 s[4:5], s[0:1], s[2:3]
	s_xor_b64 s[4:5], s[4:5], s[2:3]
	s_delay_alu instid0(SALU_CYCLE_1)
	s_mul_hi_u32 s39, s4, s29
	s_mul_i32 s38, s4, s29
	s_mul_hi_u32 s24, s4, s17
	s_mul_hi_u32 s33, s5, s17
	s_mul_i32 s17, s5, s17
	s_add_nc_u64 s[38:39], s[24:25], s[38:39]
	s_mul_hi_u32 s1, s5, s29
	s_add_co_u32 s17, s38, s17
	s_add_co_ci_u32 s24, s39, s33
	s_mul_i32 s40, s5, s29
	s_add_co_ci_u32 s41, s1, 0
	s_delay_alu instid0(SALU_CYCLE_1) | instskip(NEXT) | instid1(SALU_CYCLE_1)
	s_add_nc_u64 s[38:39], s[24:25], s[40:41]
	s_and_b64 s[40:41], s[38:39], 0xffffffff00000000
	s_delay_alu instid0(SALU_CYCLE_1) | instskip(NEXT) | instid1(SALU_CYCLE_1)
	s_or_b32 s40, s40, s38
	s_mul_u64 s[38:39], s[6:7], s[40:41]
	s_add_nc_u64 s[42:43], s[40:41], 1
	s_sub_co_u32 s1, s4, s38
	s_cselect_b32 s4, -1, 0
	s_sub_co_i32 s17, s5, s39
	s_cmp_lg_u32 s4, 0
	s_add_nc_u64 s[44:45], s[40:41], 2
	s_sub_co_ci_u32 s17, s17, s7
	s_sub_co_u32 s24, s1, s6
	s_cselect_b32 s29, -1, 0
	s_delay_alu instid0(SALU_CYCLE_1) | instskip(SKIP_1) | instid1(SALU_CYCLE_1)
	s_cmp_lg_u32 s29, 0
	s_sub_co_ci_u32 s17, s17, 0
	s_cmp_ge_u32 s17, s7
	s_cselect_b32 s29, -1, 0
	s_cmp_ge_u32 s24, s6
	s_cselect_b32 s24, -1, 0
	s_cmp_eq_u32 s17, s7
	s_cselect_b32 s17, s24, s29
	s_delay_alu instid0(SALU_CYCLE_1) | instskip(SKIP_4) | instid1(SALU_CYCLE_1)
	s_cmp_lg_u32 s17, 0
	s_cselect_b32 s17, s44, s42
	s_cselect_b32 s24, s45, s43
	s_cmp_lg_u32 s4, 0
	s_sub_co_ci_u32 s4, s5, s39
	s_cmp_ge_u32 s4, s7
	s_cselect_b32 s5, -1, 0
	s_cmp_ge_u32 s1, s6
	s_cselect_b32 s1, -1, 0
	s_cmp_eq_u32 s4, s7
	s_cselect_b32 s1, s1, s5
	s_delay_alu instid0(SALU_CYCLE_1) | instskip(SKIP_3) | instid1(SALU_CYCLE_1)
	s_cmp_lg_u32 s1, 0
	s_cselect_b32 s5, s24, s41
	s_cselect_b32 s4, s17, s40
	s_xor_b64 s[2:3], s[2:3], 0
	s_xor_b64 s[4:5], s[4:5], s[2:3]
	s_delay_alu instid0(SALU_CYCLE_1)
	s_sub_nc_u64 s[40:41], s[4:5], s[2:3]
	s_mov_b32 s2, 0
.LBB51_11:                              ;   in Loop: Header=BB51_9 Depth=1
	s_delay_alu instid0(SALU_CYCLE_1)
	s_and_not1_b32 vcc_lo, exec_lo, s2
	s_cbranch_vccnz .LBB51_13
; %bb.12:                               ;   in Loop: Header=BB51_9 Depth=1
	v_readfirstlane_b32 s1, v7
	s_sub_co_i32 s2, 0, s16
	s_delay_alu instid0(SALU_CYCLE_1) | instskip(NEXT) | instid1(SALU_CYCLE_1)
	s_mul_i32 s2, s2, s1
	s_mul_hi_u32 s2, s1, s2
	s_delay_alu instid0(SALU_CYCLE_1) | instskip(NEXT) | instid1(SALU_CYCLE_1)
	s_add_co_i32 s1, s1, s2
	s_mul_hi_u32 s1, s0, s1
	s_delay_alu instid0(SALU_CYCLE_1) | instskip(NEXT) | instid1(SALU_CYCLE_1)
	s_mul_i32 s2, s1, s16
	s_sub_co_i32 s0, s0, s2
	s_add_co_i32 s2, s1, 1
	s_sub_co_i32 s3, s0, s16
	s_cmp_ge_u32 s0, s16
	s_cselect_b32 s1, s2, s1
	s_cselect_b32 s0, s3, s0
	s_add_co_i32 s2, s1, 1
	s_cmp_ge_u32 s0, s16
	s_cselect_b32 s24, s2, s1
	s_delay_alu instid0(SALU_CYCLE_1)
	s_mov_b64 s[40:41], s[24:25]
.LBB51_13:                              ;   in Loop: Header=BB51_9 Depth=1
	s_delay_alu instid0(SALU_CYCLE_1)
	s_cmp_lg_u32 s20, s40
	s_mov_b32 s0, -1
                                        ; implicit-def: $vgpr4_vgpr5
                                        ; implicit-def: $sgpr29
                                        ; implicit-def: $sgpr17
                                        ; implicit-def: $sgpr24
                                        ; implicit-def: $sgpr33
	s_cbranch_scc0 .LBB51_18
; %bb.14:                               ;   in Loop: Header=BB51_9 Depth=1
	s_add_co_i32 s42, s36, s15
	v_max_num_f32_e64 v4, s28, s28
	s_add_co_i32 s0, s42, s16
	s_mov_b32 s33, s20
	s_lshl_b32 s0, s0, 1
	s_delay_alu instid0(SALU_CYCLE_1)
	s_add_co_i32 s0, s0, s21
	s_load_b64 s[38:39], s[10:11], s0 offset:0x0 scale_offset
	s_wait_xcnt 0x0
	v_readfirstlane_b32 s0, v4
	s_wait_kmcnt 0x0
	v_max_num_f32_e64 v5, s38, s38
	s_delay_alu instid0(VALU_DEP_1) | instskip(SKIP_1) | instid1(SALU_CYCLE_3)
	v_readfirstlane_b32 s1, v5
	s_max_num_f32 s17, s0, s1
	s_sub_f32 s37, s28, s17
	s_sub_f32 s38, s38, s17
	s_delay_alu instid0(SALU_CYCLE_2)
	s_cmp_nlt_f32 s37, 0xc2ce8ed0
	s_cselect_b32 s1, -1, 0
	s_cmp_ngt_f32 s37, 0x42b17218
	s_cselect_b32 s2, -1, 0
	s_cmp_ge_f32 s37, 0xc1a00000
	s_cselect_b32 s0, -1, 0
	s_cmp_nlt_f32 s38, 0xc2ce8ed0
	s_cselect_b32 s3, -1, 0
	s_cmp_ngt_f32 s38, 0x42b17218
	s_cselect_b32 s4, -1, 0
	s_cmp_ge_f32 s38, 0xc1a00000
	s_cselect_b32 s5, -1, 0
	s_and_b64 s[44:45], s[40:41], s[8:9]
	s_delay_alu instid0(SALU_CYCLE_1) | instskip(NEXT) | instid1(SALU_CYCLE_1)
	s_mul_u64 s[44:45], s[44:45], s[22:23]
	s_add_co_i32 s24, s45, s40
	s_delay_alu instid0(SALU_CYCLE_1) | instskip(NEXT) | instid1(SALU_CYCLE_1)
	s_lshr_b32 s24, s24, s13
	s_mul_i32 s29, s24, s14
	s_delay_alu instid0(SALU_CYCLE_1) | instskip(SKIP_3) | instid1(SALU_CYCLE_1)
	s_cmp_eq_u32 s29, s40
	s_cselect_b32 s29, -1, 0
	s_cmp_lt_u32 s24, s12
	s_cselect_b32 s24, -1, 0
	s_or_b32 s24, s24, s29
	s_mov_b32 s29, -1
	s_and_b32 vcc_lo, exec_lo, s24
	s_mov_b32 s24, s36
	s_cbranch_vccnz .LBB51_16
; %bb.15:                               ;   in Loop: Header=BB51_9 Depth=1
	s_add_co_i32 s24, s36, -1
	s_mov_b32 s29, 0
	s_mov_b32 s33, s40
.LBB51_16:                              ;   in Loop: Header=BB51_9 Depth=1
	v_lshl_add_u32 v4, s42, 7, v6
	s_mul_f32 s41, s37, 0x3fb8aa3b
	s_mul_f32 s40, s38, 0x3fb8aa3b
	s_delay_alu instid0(SALU_CYCLE_2)
	s_xor_b32 s43, s41, 0x80000000
	global_load_b32 v5, v4, s[26:27] scale_offset
	s_fmamk_f32 s43, s37, 0x3fb8aa3b, s43
	s_rndne_f32 s45, s41
	s_xor_b32 s42, s40, 0x80000000
	s_rndne_f32 s44, s40
	s_fmamk_f32 s37, s37, 0x32a5705f, s43
	s_sub_f32 s41, s41, s45
	s_fmamk_f32 s42, s38, 0x3fb8aa3b, s42
	s_sub_f32 s40, s40, s44
	s_delay_alu instid0(SALU_CYCLE_1) | instskip(NEXT) | instid1(SALU_CYCLE_1)
	s_add_f32 s37, s41, s37
	s_fmamk_f32 s38, s38, 0x32a5705f, s42
	s_cvt_i32_f32 s41, s45
	s_delay_alu instid0(SALU_CYCLE_1) | instskip(NEXT) | instid1(SALU_CYCLE_1)
	v_s_exp_f32 s37, s37
	s_add_f32 s38, s40, s38
	s_cvt_i32_f32 s40, s44
	s_delay_alu instid0(SALU_CYCLE_2) | instskip(NEXT) | instid1(TRANS32_DEP_2)
	v_s_exp_f32 s38, s38
	v_ldexp_f32 v8, s37, s41
	s_wait_xcnt 0x0
	s_delay_alu instid0(TRANS32_DEP_1) | instskip(NEXT) | instid1(VALU_DEP_2)
	v_ldexp_f32 v4, s38, s40
	v_cndmask_b32_e64 v8, 0, v8, s1
	s_delay_alu instid0(VALU_DEP_1) | instskip(NEXT) | instid1(VALU_DEP_1)
	v_cndmask_b32_e64 v9, 0x7f800000, v8, s2
	v_dual_cndmask_b32 v4, 0, v4, s3 :: v_dual_cndmask_b32 v10, 0, v9, s0
	s_delay_alu instid0(VALU_DEP_1) | instskip(NEXT) | instid1(VALU_DEP_1)
	v_cndmask_b32_e64 v4, 0x7f800000, v4, s4
	v_dual_cndmask_b32 v8, 0, v4, s5 :: v_dual_mov_b32 v4, s39
	s_wait_loadcnt 0x0
	s_delay_alu instid0(VALU_DEP_1) | instskip(NEXT) | instid1(VALU_DEP_1)
	v_pk_mul_f32 v[4:5], v[4:5], v[8:9] op_sel_hi:[1,0]
	v_pk_fma_f32 v[4:5], v[0:1], v[10:11], v[4:5] op_sel_hi:[1,0,1]
	s_cbranch_execz .LBB51_19
.LBB51_17:                              ;   in Loop: Header=BB51_9 Depth=1
	s_and_not1_b32 vcc_lo, exec_lo, s29
	s_cbranch_vccnz .LBB51_20
	s_branch .LBB51_23
.LBB51_18:                              ;   in Loop: Header=BB51_9 Depth=1
	s_and_not1_b32 vcc_lo, exec_lo, s0
	s_cbranch_vccnz .LBB51_17
.LBB51_19:                              ;   in Loop: Header=BB51_9 Depth=1
	s_wait_loadcnt 0x0
	v_mov_b64_e32 v[4:5], v[0:1]
	s_add_co_i32 s24, s36, -1
	s_mov_b32 s33, s20
	s_mov_b32 s17, s28
	s_cbranch_execz .LBB51_23
.LBB51_20:                              ;   in Loop: Header=BB51_9 Depth=1
	s_wait_loadcnt 0x0
	s_delay_alu instid0(VALU_DEP_1)
	v_mov_b64_e32 v[0:1], v[4:5]
	s_mov_b32 s20, s33
	s_mov_b32 s36, s24
	;; [unrolled: 1-line block ×3, first 2 shown]
	s_branch .LBB51_9
.LBB51_21:
                                        ; implicit-def: $sgpr20_sgpr21
	s_branch .LBB51_2
.LBB51_22:
                                        ; implicit-def: $sgpr24_sgpr25
	s_load_b96 s[12:14], s[0:1], 0x44
	s_branch .LBB51_5
.LBB51_23:
	s_delay_alu instid0(VALU_DEP_1) | instskip(SKIP_1) | instid1(VALU_DEP_1)
	v_div_scale_f32 v0, null, v4, v4, v5
	s_wait_loadcnt 0x0
	v_rcp_f32_e32 v1, v0
	v_nop
	s_delay_alu instid0(TRANS32_DEP_1) | instskip(NEXT) | instid1(VALU_DEP_1)
	v_fma_f32 v6, -v0, v1, 1.0
	v_fmac_f32_e32 v1, v6, v1
	v_div_scale_f32 v6, vcc_lo, v5, v4, v5
	s_delay_alu instid0(VALU_DEP_1) | instskip(NEXT) | instid1(VALU_DEP_1)
	v_mul_f32_e32 v7, v6, v1
	v_fma_f32 v8, -v0, v7, v6
	s_delay_alu instid0(VALU_DEP_1) | instskip(NEXT) | instid1(VALU_DEP_1)
	v_fmac_f32_e32 v7, v8, v1
	v_fma_f32 v0, -v0, v7, v6
	s_delay_alu instid0(VALU_DEP_1) | instskip(NEXT) | instid1(VALU_DEP_1)
	v_div_fmas_f32 v0, v0, v1, v7
	v_div_fixup_f32 v0, v0, v4, v5
	global_store_b32 v[2:3], v0, off
.LBB51_24:
	s_endpgm
	.section	.rodata,"a",@progbits
	.p2align	6, 0x0
	.amdhsa_kernel _ZL33flash_attn_stream_k_fixup_generalILi64ELi1ELi2EEvPfPK15HIP_vector_typeIfLj2EEiiiiS1_IjLj3EES5_S5_S5_
		.amdhsa_group_segment_fixed_size 0
		.amdhsa_private_segment_fixed_size 0
		.amdhsa_kernarg_size 336
		.amdhsa_user_sgpr_count 2
		.amdhsa_user_sgpr_dispatch_ptr 0
		.amdhsa_user_sgpr_queue_ptr 0
		.amdhsa_user_sgpr_kernarg_segment_ptr 1
		.amdhsa_user_sgpr_dispatch_id 0
		.amdhsa_user_sgpr_kernarg_preload_length 0
		.amdhsa_user_sgpr_kernarg_preload_offset 0
		.amdhsa_user_sgpr_private_segment_size 0
		.amdhsa_wavefront_size32 1
		.amdhsa_uses_dynamic_stack 0
		.amdhsa_enable_private_segment 0
		.amdhsa_system_sgpr_workgroup_id_x 1
		.amdhsa_system_sgpr_workgroup_id_y 1
		.amdhsa_system_sgpr_workgroup_id_z 1
		.amdhsa_system_sgpr_workgroup_info 0
		.amdhsa_system_vgpr_workitem_id 0
		.amdhsa_next_free_vgpr 12
		.amdhsa_next_free_sgpr 46
		.amdhsa_named_barrier_count 0
		.amdhsa_reserve_vcc 1
		.amdhsa_float_round_mode_32 0
		.amdhsa_float_round_mode_16_64 0
		.amdhsa_float_denorm_mode_32 3
		.amdhsa_float_denorm_mode_16_64 3
		.amdhsa_fp16_overflow 0
		.amdhsa_memory_ordered 1
		.amdhsa_forward_progress 1
		.amdhsa_inst_pref_size 26
		.amdhsa_round_robin_scheduling 0
		.amdhsa_exception_fp_ieee_invalid_op 0
		.amdhsa_exception_fp_denorm_src 0
		.amdhsa_exception_fp_ieee_div_zero 0
		.amdhsa_exception_fp_ieee_overflow 0
		.amdhsa_exception_fp_ieee_underflow 0
		.amdhsa_exception_fp_ieee_inexact 0
		.amdhsa_exception_int_div_zero 0
	.end_amdhsa_kernel
	.section	.text._ZL33flash_attn_stream_k_fixup_generalILi64ELi1ELi2EEvPfPK15HIP_vector_typeIfLj2EEiiiiS1_IjLj3EES5_S5_S5_,"axG",@progbits,_ZL33flash_attn_stream_k_fixup_generalILi64ELi1ELi2EEvPfPK15HIP_vector_typeIfLj2EEiiiiS1_IjLj3EES5_S5_S5_,comdat
.Lfunc_end51:
	.size	_ZL33flash_attn_stream_k_fixup_generalILi64ELi1ELi2EEvPfPK15HIP_vector_typeIfLj2EEiiiiS1_IjLj3EES5_S5_S5_, .Lfunc_end51-_ZL33flash_attn_stream_k_fixup_generalILi64ELi1ELi2EEvPfPK15HIP_vector_typeIfLj2EEiiiiS1_IjLj3EES5_S5_S5_
                                        ; -- End function
	.set _ZL33flash_attn_stream_k_fixup_generalILi64ELi1ELi2EEvPfPK15HIP_vector_typeIfLj2EEiiiiS1_IjLj3EES5_S5_S5_.num_vgpr, 12
	.set _ZL33flash_attn_stream_k_fixup_generalILi64ELi1ELi2EEvPfPK15HIP_vector_typeIfLj2EEiiiiS1_IjLj3EES5_S5_S5_.num_agpr, 0
	.set _ZL33flash_attn_stream_k_fixup_generalILi64ELi1ELi2EEvPfPK15HIP_vector_typeIfLj2EEiiiiS1_IjLj3EES5_S5_S5_.numbered_sgpr, 46
	.set _ZL33flash_attn_stream_k_fixup_generalILi64ELi1ELi2EEvPfPK15HIP_vector_typeIfLj2EEiiiiS1_IjLj3EES5_S5_S5_.num_named_barrier, 0
	.set _ZL33flash_attn_stream_k_fixup_generalILi64ELi1ELi2EEvPfPK15HIP_vector_typeIfLj2EEiiiiS1_IjLj3EES5_S5_S5_.private_seg_size, 0
	.set _ZL33flash_attn_stream_k_fixup_generalILi64ELi1ELi2EEvPfPK15HIP_vector_typeIfLj2EEiiiiS1_IjLj3EES5_S5_S5_.uses_vcc, 1
	.set _ZL33flash_attn_stream_k_fixup_generalILi64ELi1ELi2EEvPfPK15HIP_vector_typeIfLj2EEiiiiS1_IjLj3EES5_S5_S5_.uses_flat_scratch, 0
	.set _ZL33flash_attn_stream_k_fixup_generalILi64ELi1ELi2EEvPfPK15HIP_vector_typeIfLj2EEiiiiS1_IjLj3EES5_S5_S5_.has_dyn_sized_stack, 0
	.set _ZL33flash_attn_stream_k_fixup_generalILi64ELi1ELi2EEvPfPK15HIP_vector_typeIfLj2EEiiiiS1_IjLj3EES5_S5_S5_.has_recursion, 0
	.set _ZL33flash_attn_stream_k_fixup_generalILi64ELi1ELi2EEvPfPK15HIP_vector_typeIfLj2EEiiiiS1_IjLj3EES5_S5_S5_.has_indirect_call, 0
	.section	.AMDGPU.csdata,"",@progbits
; Kernel info:
; codeLenInByte = 3328
; TotalNumSgprs: 48
; NumVgprs: 12
; ScratchSize: 0
; MemoryBound: 0
; FloatMode: 240
; IeeeMode: 1
; LDSByteSize: 0 bytes/workgroup (compile time only)
; SGPRBlocks: 0
; VGPRBlocks: 0
; NumSGPRsForWavesPerEU: 48
; NumVGPRsForWavesPerEU: 12
; NamedBarCnt: 0
; Occupancy: 16
; WaveLimiterHint : 0
; COMPUTE_PGM_RSRC2:SCRATCH_EN: 0
; COMPUTE_PGM_RSRC2:USER_SGPR: 2
; COMPUTE_PGM_RSRC2:TRAP_HANDLER: 0
; COMPUTE_PGM_RSRC2:TGID_X_EN: 1
; COMPUTE_PGM_RSRC2:TGID_Y_EN: 1
; COMPUTE_PGM_RSRC2:TGID_Z_EN: 1
; COMPUTE_PGM_RSRC2:TIDIG_COMP_CNT: 0
	.section	.text._ZL15flash_attn_tileILi64ELi64ELi64ELi1ELb0EEvPKcS1_S1_S1_S1_PKiPfP15HIP_vector_typeIfLj2EEffffjfiS5_IjLj3EEiiiiiiiiiiiliiliiiiil,"axG",@progbits,_ZL15flash_attn_tileILi64ELi64ELi64ELi1ELb0EEvPKcS1_S1_S1_S1_PKiPfP15HIP_vector_typeIfLj2EEffffjfiS5_IjLj3EEiiiiiiiiiiiliiliiiiil,comdat
	.globl	_ZL15flash_attn_tileILi64ELi64ELi64ELi1ELb0EEvPKcS1_S1_S1_S1_PKiPfP15HIP_vector_typeIfLj2EEffffjfiS5_IjLj3EEiiiiiiiiiiiliiliiiiil ; -- Begin function _ZL15flash_attn_tileILi64ELi64ELi64ELi1ELb0EEvPKcS1_S1_S1_S1_PKiPfP15HIP_vector_typeIfLj2EEffffjfiS5_IjLj3EEiiiiiiiiiiiliiliiiiil
	.p2align	8
	.type	_ZL15flash_attn_tileILi64ELi64ELi64ELi1ELb0EEvPKcS1_S1_S1_S1_PKiPfP15HIP_vector_typeIfLj2EEffffjfiS5_IjLj3EEiiiiiiiiiiiliiliiiiil,@function
_ZL15flash_attn_tileILi64ELi64ELi64ELi1ELb0EEvPKcS1_S1_S1_S1_PKiPfP15HIP_vector_typeIfLj2EEffffjfiS5_IjLj3EEiiiiiiiiiiiliiliiiiil: ; @_ZL15flash_attn_tileILi64ELi64ELi64ELi1ELb0EEvPKcS1_S1_S1_S1_PKiPfP15HIP_vector_typeIfLj2EEffffjfiS5_IjLj3EEiiiiiiiiiiiliiliiiiil
; %bb.0:
	s_clause 0x1
	s_load_b128 s[20:23], s[0:1], 0x5c
	s_load_b64 s[2:3], s[0:1], 0x80
	s_bfe_u32 s6, ttmp6, 0x40014
	s_lshr_b32 s5, ttmp7, 16
	s_add_co_i32 s6, s6, 1
	s_bfe_u32 s7, ttmp6, 0x40008
	s_mul_i32 s6, s5, s6
	s_getreg_b32 s43, hwreg(HW_REG_IB_STS2, 6, 4)
	s_add_co_i32 s7, s7, s6
	s_load_b64 s[30:31], s[0:1], 0xb8
	s_mov_b32 s39, 0
	s_mov_b64 s[36:37], 0
	s_wait_kmcnt 0x0
	s_cvt_f32_u32 s4, s23
	s_sub_co_i32 s8, 0, s23
	s_delay_alu instid0(SALU_CYCLE_2) | instskip(SKIP_1) | instid1(TRANS32_DEP_1)
	v_rcp_iflag_f32_e32 v1, s4
	v_nop
	v_readfirstlane_b32 s4, v1
	s_mul_f32 s4, s4, 0x4f7ffffe
	s_delay_alu instid0(SALU_CYCLE_3) | instskip(NEXT) | instid1(SALU_CYCLE_3)
	s_cvt_u32_f32 s4, s4
	s_mul_i32 s8, s8, s4
	s_delay_alu instid0(SALU_CYCLE_1) | instskip(NEXT) | instid1(SALU_CYCLE_1)
	s_mul_hi_u32 s8, s4, s8
	s_add_co_i32 s4, s4, s8
	s_cmp_eq_u32 s43, 0
	s_cselect_b32 s5, s5, s7
	s_delay_alu instid0(SALU_CYCLE_1) | instskip(NEXT) | instid1(SALU_CYCLE_1)
	s_mul_hi_u32 s4, s5, s4
	s_mul_i32 s6, s4, s23
	s_add_co_i32 s7, s4, 1
	s_sub_co_i32 s6, s5, s6
	s_delay_alu instid0(SALU_CYCLE_1)
	s_sub_co_i32 s8, s6, s23
	s_cmp_ge_u32 s6, s23
	s_cselect_b32 s4, s7, s4
	s_cselect_b32 s6, s8, s6
	s_add_co_i32 s7, s4, 1
	s_cmp_ge_u32 s6, s23
	s_cselect_b32 s34, s7, s4
	s_abs_i32 s4, s3
	s_mul_i32 s8, s34, s23
	s_cvt_f32_u32 s6, s4
	s_sub_co_i32 s7, 0, s4
	s_abs_i32 s9, s23
	s_sub_co_i32 s33, s5, s8
	v_rcp_iflag_f32_e32 v1, s6
	s_xor_b32 s3, s23, s3
	s_delay_alu instid0(SALU_CYCLE_1) | instskip(SKIP_1) | instid1(TRANS32_DEP_1)
	s_ashr_i32 s3, s3, 31
	v_nop
	v_readfirstlane_b32 s6, v1
	s_mul_f32 s6, s6, 0x4f7ffffe
	s_delay_alu instid0(SALU_CYCLE_3) | instskip(NEXT) | instid1(SALU_CYCLE_3)
	s_cvt_u32_f32 s6, s6
	s_mul_i32 s7, s7, s6
	s_delay_alu instid0(SALU_CYCLE_1) | instskip(NEXT) | instid1(SALU_CYCLE_1)
	s_mul_hi_u32 s7, s6, s7
	s_add_co_i32 s6, s6, s7
	s_delay_alu instid0(SALU_CYCLE_1) | instskip(NEXT) | instid1(SALU_CYCLE_1)
	s_mul_hi_u32 s5, s9, s6
	s_mul_i32 s6, s5, s4
	s_add_co_i32 s7, s5, 1
	s_sub_co_i32 s6, s9, s6
	s_delay_alu instid0(SALU_CYCLE_1)
	s_sub_co_i32 s8, s6, s4
	s_cmp_ge_u32 s6, s4
	s_cselect_b32 s5, s7, s5
	s_cselect_b32 s6, s8, s6
	s_add_co_i32 s7, s5, 1
	s_cmp_ge_u32 s6, s4
	s_cselect_b32 s4, s7, s5
	s_abs_i32 s38, s33
	s_xor_b32 s4, s4, s3
	s_delay_alu instid0(SALU_CYCLE_1) | instskip(NEXT) | instid1(SALU_CYCLE_1)
	s_sub_co_i32 s28, s4, s3
	s_abs_i32 s3, s28
	s_delay_alu instid0(SALU_CYCLE_1) | instskip(SKIP_1) | instid1(SALU_CYCLE_2)
	s_cvt_f32_u32 s4, s3
	s_sub_co_i32 s25, 0, s3
	v_rcp_iflag_f32_e32 v1, s4
	s_load_b512 s[4:19], s[0:1], 0x0
	v_nop
	s_delay_alu instid0(TRANS32_DEP_1) | instskip(SKIP_1) | instid1(SALU_CYCLE_3)
	v_readfirstlane_b32 s24, v1
	s_mul_f32 s24, s24, 0x4f7ffffe
	s_cvt_u32_f32 s24, s24
	s_delay_alu instid0(SALU_CYCLE_3) | instskip(NEXT) | instid1(SALU_CYCLE_1)
	s_mul_i32 s25, s25, s24
	s_mul_hi_u32 s25, s24, s25
	s_delay_alu instid0(SALU_CYCLE_1)
	s_add_co_i32 s40, s24, s25
	s_wait_kmcnt 0x0
	s_cmp_eq_u64 s[10:11], 0
	s_cbranch_scc1 .LBB52_2
; %bb.1:
	s_abs_i32 s26, s30
	s_abs_i32 s27, s34
	s_cvt_f32_u32 s24, s26
	s_sub_co_i32 s25, 0, s26
	s_delay_alu instid0(SALU_CYCLE_2) | instskip(SKIP_1) | instid1(TRANS32_DEP_1)
	v_rcp_iflag_f32_e32 v1, s24
	v_nop
	v_readfirstlane_b32 s24, v1
	s_mul_f32 s24, s24, 0x4f7ffffe
	s_delay_alu instid0(SALU_CYCLE_3) | instskip(NEXT) | instid1(SALU_CYCLE_3)
	s_cvt_u32_f32 s24, s24
	s_mul_i32 s25, s25, s24
	s_delay_alu instid0(SALU_CYCLE_1) | instskip(NEXT) | instid1(SALU_CYCLE_1)
	s_mul_hi_u32 s25, s24, s25
	s_add_co_i32 s24, s24, s25
	s_delay_alu instid0(SALU_CYCLE_1) | instskip(SKIP_2) | instid1(SALU_CYCLE_1)
	s_mul_hi_u32 s29, s27, s24
	s_load_b64 s[24:25], s[0:1], 0xc8
	s_mul_i32 s29, s29, s26
	s_sub_co_i32 s27, s27, s29
	s_ashr_i32 s29, s34, 31
	s_sub_co_i32 s30, s27, s26
	s_cmp_ge_u32 s27, s26
	s_cselect_b32 s27, s30, s27
	s_delay_alu instid0(SALU_CYCLE_1) | instskip(SKIP_2) | instid1(SALU_CYCLE_1)
	s_sub_co_i32 s30, s27, s26
	s_cmp_ge_u32 s27, s26
	s_cselect_b32 s26, s30, s27
	s_xor_b32 s26, s26, s29
	s_delay_alu instid0(SALU_CYCLE_1) | instskip(NEXT) | instid1(SALU_CYCLE_1)
	s_sub_co_i32 s26, s26, s29
	s_ashr_i32 s27, s26, 31
	s_wait_kmcnt 0x0
	s_mul_u64 s[24:25], s[24:25], s[26:27]
	s_delay_alu instid0(SALU_CYCLE_1)
	s_add_nc_u64 s[36:37], s[10:11], s[24:25]
.LBB52_2:
	s_clause 0x1
	s_load_b128 s[24:27], s[0:1], 0x40
	s_load_b32 s10, s[0:1], 0x50
	v_mov_b32_e32 v173, 1.0
	s_mov_b32 s41, s39
	s_wait_kmcnt 0x0
	s_cmp_le_f32 s25, 0
	s_cbranch_scc1 .LBB52_4
; %bb.3:
	v_sub_co_u32 v1, s10, s33, s10
	s_and_b32 s25, s10, exec_lo
	s_cselect_b32 s25, s26, s27
	s_add_co_i32 s26, s33, 1
	v_readfirstlane_b32 s11, v1
	s_lshl_b32 s11, s11, 1
	s_delay_alu instid0(SALU_CYCLE_1) | instskip(SKIP_4) | instid1(SALU_CYCLE_3)
	s_or_b32 s11, s11, 1
	s_and_b32 s10, s10, exec_lo
	s_cselect_b32 s10, s26, s11
	s_cmp_neq_f32 s25, 1.0
	s_cvt_f32_i32 s10, s10
	s_cselect_b32 s11, s10, 1.0
	s_delay_alu instid0(SALU_CYCLE_1) | instskip(SKIP_1) | instid1(SALU_CYCLE_1)
	s_cmp_neq_f32 s11, 0
	s_cselect_b32 s10, s25, 1.0
	v_cvt_f64_f32_e64 v[2:3], |s10|
	s_delay_alu instid0(VALU_DEP_1) | instskip(SKIP_1) | instid1(VALU_DEP_1)
	v_frexp_exp_i32_f64_e32 v1, v[2:3]
	v_frexp_mant_f32_e64 v2, |s10|
	v_readfirstlane_b32 s25, v2
	s_cmp_lt_f32 s25, 0x3f2aaaab
	s_cselect_b32 vcc_lo, -1, 0
	s_delay_alu instid0(SALU_CYCLE_1) | instskip(SKIP_1) | instid1(SALU_CYCLE_1)
	s_and_b32 s26, vcc_lo, exec_lo
	s_cselect_b32 s26, 2.0, 1.0
	s_mul_f32 s25, s25, s26
	s_delay_alu instid0(SALU_CYCLE_3) | instskip(SKIP_1) | instid1(SALU_CYCLE_2)
	s_add_f32 s26, s25, 1.0
	s_add_f32 s29, s25, -1.0
	v_s_rcp_f32 s27, s26
	s_add_f32 s42, s26, -1.0
	v_subrev_co_ci_u32_e64 v1, null, 0, v1, vcc_lo
	s_delay_alu instid0(SALU_CYCLE_2) | instskip(NEXT) | instid1(TRANS32_DEP_1)
	s_sub_f32 s25, s25, s42
	s_mul_f32 s30, s29, s27
	v_cvt_f32_i32_e32 v1, v1
	s_delay_alu instid0(SALU_CYCLE_2) | instskip(NEXT) | instid1(SALU_CYCLE_3)
	s_mul_f32 s35, s26, s30
	v_dual_mov_b32 v3, s29 :: v_dual_mov_b32 v4, s35
	s_xor_b32 s44, s35, 0x80000000
	s_delay_alu instid0(SALU_CYCLE_1) | instskip(NEXT) | instid1(SALU_CYCLE_3)
	s_fmac_f32 s44, s30, s26
	s_fmac_f32 s44, s30, s25
	s_delay_alu instid0(SALU_CYCLE_3) | instskip(NEXT) | instid1(SALU_CYCLE_3)
	s_add_f32 s25, s35, s44
	v_dual_mov_b32 v6, s44 :: v_dual_mov_b32 v7, s25
	s_sub_f32 s26, s29, s25
	s_delay_alu instid0(SALU_CYCLE_3) | instskip(NEXT) | instid1(VALU_DEP_1)
	v_dual_mov_b32 v2, s25 :: v_dual_mov_b32 v5, s26
	v_pk_add_f32 v[2:3], v[2:3], v[4:5] neg_lo:[0,1] neg_hi:[0,1]
	s_delay_alu instid0(VALU_DEP_1) | instskip(NEXT) | instid1(VALU_DEP_1)
	v_pk_add_f32 v[2:3], v[2:3], v[6:7] neg_lo:[0,1] neg_hi:[0,1]
	v_readfirstlane_b32 s25, v3
	s_delay_alu instid0(VALU_DEP_2) | instskip(SKIP_1) | instid1(SALU_CYCLE_3)
	v_readfirstlane_b32 s29, v2
	s_add_f32 s25, s29, s25
	s_add_f32 s25, s26, s25
	s_delay_alu instid0(SALU_CYCLE_3) | instskip(NEXT) | instid1(SALU_CYCLE_3)
	s_mul_f32 s25, s27, s25
	s_add_f32 s26, s30, s25
	s_delay_alu instid0(SALU_CYCLE_3) | instskip(SKIP_1) | instid1(SALU_CYCLE_2)
	s_sub_f32 s27, s26, s30
	s_mul_f32 s29, s26, s26
	s_sub_f32 s25, s25, s27
	s_delay_alu instid0(SALU_CYCLE_2) | instskip(NEXT) | instid1(SALU_CYCLE_1)
	s_xor_b32 s27, s29, 0x80000000
	s_fmac_f32 s27, s26, s26
	s_delay_alu instid0(SALU_CYCLE_1) | instskip(NEXT) | instid1(SALU_CYCLE_3)
	s_add_f32 s30, s25, s25
	s_fmac_f32 s27, s26, s30
	s_mov_b32 s30, 0x3e76c4e1
	s_delay_alu instid0(SALU_CYCLE_2) | instskip(NEXT) | instid1(SALU_CYCLE_3)
	s_add_f32 s44, s29, s27
	s_fmaak_f32 s30, s44, s30, 0x3e91f4c4
	s_sub_f32 s29, s44, s29
	s_delay_alu instid0(SALU_CYCLE_2) | instskip(NEXT) | instid1(SALU_CYCLE_2)
	s_fmaak_f32 s30, s44, s30, 0x3ecccdef
	s_sub_f32 s29, s27, s29
	s_delay_alu instid0(SALU_CYCLE_2) | instskip(NEXT) | instid1(SALU_CYCLE_3)
	s_mul_f32 s35, s44, s30
	s_xor_b32 s42, s35, 0x80000000
	s_delay_alu instid0(SALU_CYCLE_1) | instskip(NEXT) | instid1(SALU_CYCLE_3)
	s_fmac_f32 s42, s44, s30
	s_fmac_f32 s42, s29, s30
	s_delay_alu instid0(SALU_CYCLE_3) | instskip(NEXT) | instid1(SALU_CYCLE_3)
	s_add_f32 s30, s35, s42
	s_sub_f32 s27, s30, s35
	s_add_f32 s35, s30, 0x3f2aaaaa
	s_delay_alu instid0(SALU_CYCLE_2) | instskip(NEXT) | instid1(SALU_CYCLE_2)
	s_sub_f32 s27, s42, s27
	s_add_f32 s42, s35, 0xbf2aaaaa
	s_delay_alu instid0(SALU_CYCLE_2) | instskip(NEXT) | instid1(SALU_CYCLE_2)
	s_add_f32 s27, s27, 0x31739010
	s_sub_f32 s45, s30, s42
	s_delay_alu instid0(SALU_CYCLE_2) | instskip(NEXT) | instid1(SALU_CYCLE_2)
	v_mov_b64_e32 v[2:3], s[26:27]
	v_mov_b64_e32 v[4:5], s[44:45]
	s_delay_alu instid0(VALU_DEP_1) | instskip(SKIP_2) | instid1(VALU_DEP_3)
	v_pk_mul_f32 v[6:7], v[2:3], v[4:5]
	v_pk_add_f32 v[2:3], v[2:3], v[4:5]
	v_mov_b32_e32 v9, s35
	v_xor_b32_e32 v8, 0x80000000, v6
	s_delay_alu instid0(VALU_DEP_3) | instskip(NEXT) | instid1(VALU_DEP_2)
	v_mov_b32_e32 v7, v3
	v_fmac_f32_e64 v8, s44, s26
	s_delay_alu instid0(VALU_DEP_1) | instskip(NEXT) | instid1(VALU_DEP_1)
	v_fmac_f32_e64 v8, s44, s25
	v_fmac_f32_e64 v8, s29, s26
	s_delay_alu instid0(VALU_DEP_1) | instskip(NEXT) | instid1(VALU_DEP_1)
	v_pk_add_f32 v[4:5], v[6:7], v[8:9]
	v_dual_mov_b32 v2, v5 :: v_dual_sub_f32 v7, s35, v5
	v_mul_f32_e32 v12, 0x3f317218, v1
	s_delay_alu instid0(VALU_DEP_2) | instskip(NEXT) | instid1(VALU_DEP_3)
	v_pk_mul_f32 v[10:11], v[4:5], v[2:3]
	v_add_f32_e32 v3, v3, v7
	s_delay_alu instid0(VALU_DEP_3) | instskip(NEXT) | instid1(VALU_DEP_3)
	v_xor_b32_e32 v7, 0x80000000, v12
	v_xor_b32_e32 v2, 0x80000000, v10
	s_delay_alu instid0(VALU_DEP_2) | instskip(NEXT) | instid1(VALU_DEP_2)
	v_dual_sub_f32 v6, v4, v6 :: v_dual_fmac_f32 v7, 0x3f317218, v1
	v_fmac_f32_e32 v2, v4, v5
	s_delay_alu instid0(VALU_DEP_2) | instskip(NEXT) | instid1(VALU_DEP_2)
	v_sub_f32_e32 v6, v8, v6
	v_fmac_f32_e32 v2, v4, v3
	s_delay_alu instid0(VALU_DEP_1) | instskip(SKIP_3) | instid1(VALU_DEP_2)
	v_fmac_f32_e32 v2, v6, v5
	v_fmamk_f32 v4, v1, 0xb102e308, v7
	v_ldexp_f32 v5, s26, 1
	v_ldexp_f32 v1, s25, 1
	v_dual_add_f32 v13, v10, v2 :: v_dual_mov_b32 v11, v5
	s_delay_alu instid0(VALU_DEP_1) | instskip(SKIP_1) | instid1(VALU_DEP_2)
	v_pk_add_f32 v[6:7], v[12:13], v[4:5]
	v_dual_mov_b32 v8, v13 :: v_dual_mov_b32 v3, v13
	v_dual_mov_b32 v9, v7 :: v_dual_mov_b32 v5, v6
	v_mov_b32_e32 v14, v7
	s_delay_alu instid0(VALU_DEP_2) | instskip(NEXT) | instid1(VALU_DEP_1)
	v_pk_add_f32 v[8:9], v[8:9], v[10:11] neg_lo:[0,1] neg_hi:[0,1]
	v_pk_add_f32 v[2:3], v[2:3], v[8:9] neg_lo:[0,1] neg_hi:[0,1]
	s_delay_alu instid0(VALU_DEP_1) | instskip(NEXT) | instid1(VALU_DEP_1)
	v_add_f32_e32 v1, v1, v2
	v_add_f32_e32 v13, v1, v3
	s_delay_alu instid0(VALU_DEP_1) | instskip(SKIP_1) | instid1(VALU_DEP_2)
	v_pk_add_f32 v[2:3], v[6:7], v[12:13]
	v_pk_add_f32 v[8:9], v[6:7], v[12:13] neg_lo:[0,1] neg_hi:[0,1]
	v_mov_b32_e32 v9, v3
	s_delay_alu instid0(VALU_DEP_1) | instskip(SKIP_2) | instid1(VALU_DEP_3)
	v_pk_add_f32 v[10:11], v[4:5], v[8:9]
	v_pk_add_f32 v[4:5], v[4:5], v[8:9] neg_lo:[0,1] neg_hi:[0,1]
	v_dual_mov_b32 v16, v3 :: v_dual_mov_b32 v5, v6
	v_dual_mov_b32 v12, v11 :: v_dual_mov_b32 v17, v11
	s_delay_alu instid0(VALU_DEP_3) | instskip(NEXT) | instid1(VALU_DEP_2)
	v_readfirstlane_b32 s25, v4
	v_pk_add_f32 v[8:9], v[12:13], v[6:7] neg_lo:[0,1] neg_hi:[0,1]
	s_delay_alu instid0(VALU_DEP_2) | instskip(NEXT) | instid1(VALU_DEP_2)
	v_dual_mov_b32 v4, v13 :: v_dual_mov_b32 v10, s25
	v_dual_mov_b32 v15, v8 :: v_dual_mov_b32 v1, v8
	s_delay_alu instid0(VALU_DEP_1) | instskip(NEXT) | instid1(VALU_DEP_2)
	v_pk_add_f32 v[6:7], v[16:17], v[14:15] neg_lo:[0,1] neg_hi:[0,1]
	v_pk_add_f32 v[2:3], v[2:3], v[0:1] neg_lo:[0,1] neg_hi:[0,1]
	v_mov_b32_e32 v2, s25
	s_delay_alu instid0(VALU_DEP_3) | instskip(NEXT) | instid1(VALU_DEP_1)
	v_pk_add_f32 v[4:5], v[4:5], v[6:7] neg_lo:[0,1] neg_hi:[0,1]
	v_pk_add_f32 v[2:3], v[2:3], v[4:5]
	s_delay_alu instid0(VALU_DEP_1) | instskip(NEXT) | instid1(VALU_DEP_2)
	v_readfirstlane_b32 s26, v2
	v_mov_b32_e32 v6, v3
	s_delay_alu instid0(VALU_DEP_1) | instskip(NEXT) | instid1(VALU_DEP_3)
	v_pk_add_f32 v[6:7], v[2:3], v[6:7]
	v_mov_b32_e32 v2, s26
	s_delay_alu instid0(VALU_DEP_2) | instskip(SKIP_1) | instid1(VALU_DEP_2)
	v_pk_add_f32 v[8:9], v[12:13], v[6:7]
	v_mov_b32_e32 v5, v6
	v_readfirstlane_b32 s27, v8
	s_delay_alu instid0(VALU_DEP_1) | instskip(NEXT) | instid1(VALU_DEP_1)
	v_mov_b32_e32 v3, s27
	v_pk_add_f32 v[2:3], v[2:3], v[10:11] neg_lo:[0,1] neg_hi:[0,1]
	s_delay_alu instid0(VALU_DEP_1) | instskip(NEXT) | instid1(VALU_DEP_2)
	v_readfirstlane_b32 s29, v2
	v_pk_add_f32 v[2:3], v[4:5], v[2:3] neg_lo:[0,1] neg_hi:[0,1]
	s_sub_f32 s26, s26, s29
	s_delay_alu instid0(VALU_DEP_1) | instskip(NEXT) | instid1(SALU_CYCLE_2)
	v_readfirstlane_b32 s29, v2
	s_sub_f32 s25, s25, s26
	v_readfirstlane_b32 s26, v3
	s_delay_alu instid0(SALU_CYCLE_2) | instskip(NEXT) | instid1(SALU_CYCLE_3)
	s_add_f32 s25, s29, s25
	s_add_f32 s25, s25, s26
	s_delay_alu instid0(SALU_CYCLE_3) | instskip(NEXT) | instid1(SALU_CYCLE_3)
	s_add_f32 s26, s27, s25
	s_mul_f32 s29, s11, s26
	s_sub_f32 s27, s26, s27
	s_delay_alu instid0(SALU_CYCLE_2) | instskip(NEXT) | instid1(SALU_CYCLE_2)
	s_xor_b32 s30, s29, 0x80000000
	s_sub_f32 s25, s25, s27
	s_fmac_f32 s30, s11, s26
	s_delay_alu instid0(SALU_CYCLE_3) | instskip(SKIP_1) | instid1(SALU_CYCLE_2)
	s_fmac_f32 s30, s11, s25
	v_cmp_class_f32_e64 s25, s29, 0x204
	s_add_f32 s26, s29, s30
	s_and_b32 s25, s25, exec_lo
	s_delay_alu instid0(SALU_CYCLE_2) | instskip(SKIP_1) | instid1(SALU_CYCLE_1)
	s_sub_f32 s25, s26, s29
	s_cselect_b32 s26, s29, s26
	s_and_b32 s27, s26, 0x7fffffff
	s_delay_alu instid0(SALU_CYCLE_1) | instskip(SKIP_1) | instid1(SALU_CYCLE_2)
	s_sub_f32 s25, s30, s25
	s_cmp_neq_f32 s27, 0x7f800000
	s_cselect_b32 s25, s25, 0
	s_cmp_eq_f32 s26, 0x42b17218
	s_cselect_b32 s27, 0x37000000, 0
	s_delay_alu instid0(SALU_CYCLE_1) | instskip(SKIP_1) | instid1(SALU_CYCLE_2)
	s_sub_f32 s26, s26, s27
	s_add_f32 s25, s27, s25
	s_mul_f32 s29, s26, 0x3fb8aa3b
	s_delay_alu instid0(SALU_CYCLE_3) | instskip(SKIP_3) | instid1(SALU_CYCLE_1)
	s_xor_b32 s30, s29, 0x80000000
	s_rndne_f32 s35, s29
	s_fmamk_f32 s30, s26, 0x3fb8aa3b, s30
	s_cmp_nlt_f32 s26, 0xc2ce8ed0
	s_sub_f32 s29, s29, s35
	s_delay_alu instid0(SALU_CYCLE_1)
	s_fmamk_f32 s30, s26, 0x32a5705f, s30
	s_cselect_b32 vcc_lo, -1, 0
	s_cmp_ngt_f32 s26, 0x42b17218
	s_trunc_f32 s26, s11
	s_add_f32 s29, s29, s30
	s_cvt_i32_f32 s30, s35
	s_delay_alu instid0(SALU_CYCLE_2)
	v_s_exp_f32 s29, s29
	v_nop
	s_delay_alu instid0(TRANS32_DEP_1) | instid1(SALU_CYCLE_1)
	v_ldexp_f32 v1, s29, s30
	s_mul_f32 s29, s11, 0.5
	s_delay_alu instid0(VALU_DEP_1) | instskip(SKIP_3) | instid1(VALU_DEP_1)
	v_cndmask_b32_e32 v1, 0, v1, vcc_lo
	s_cselect_b32 vcc_lo, -1, 0
	s_cmp_eq_f32 s26, s11
	s_trunc_f32 s30, s29
	v_cndmask_b32_e32 v1, 0x7f800000, v1, vcc_lo
	s_cselect_b32 s35, -1, 0
	s_delay_alu instid0(SALU_CYCLE_1) | instskip(NEXT) | instid1(VALU_DEP_1)
	s_cmp_neq_f32 s30, s29
	v_fma_f32 v2, s25, v1, v1
	v_cmp_class_f32_e64 vcc_lo, v1, 0x204
	s_cselect_b32 s27, -1, 0
	s_delay_alu instid0(SALU_CYCLE_1)
	s_and_b32 s25, s35, s27
	v_cndmask_b32_e32 v1, v2, v1, vcc_lo
	s_and_b32 s27, s25, exec_lo
	s_cselect_b32 s27, s10, 1.0
	s_cmp_eq_f32 s26, s11
	v_cmp_class_f32_e64 s26, s10, 0x204
	v_bfi_b32 v1, 0x7fffffff, v1, s27
	s_cselect_b32 vcc_lo, -1, 0
	s_cmp_lt_f32 s10, 0
	s_delay_alu instid0(VALU_DEP_1) | instskip(SKIP_2) | instid1(VALU_DEP_1)
	v_cndmask_b32_e32 v2, 0x7fc00000, v1, vcc_lo
	s_cselect_b32 vcc_lo, -1, 0
	s_cmp_eq_f32 s10, 0
	v_cndmask_b32_e32 v1, v1, v2, vcc_lo
	s_cselect_b32 s27, -1, 0
	s_delay_alu instid0(SALU_CYCLE_1) | instskip(SKIP_2) | instid1(SALU_CYCLE_1)
	s_or_b32 vcc_lo, s27, s26
	s_cmp_lt_f32 s11, 0
	s_cselect_b32 s11, -1, 0
	s_xor_b32 s11, s11, s27
	s_delay_alu instid0(SALU_CYCLE_1)
	s_and_b32 s11, s11, exec_lo
	s_cselect_b32 s11, 0, 0x7f800000
	s_and_b32 s25, s25, exec_lo
	s_cselect_b32 s25, s10, 0
	s_cmp_o_f32 s10, s10
	v_mov_b32_e32 v2, s25
	s_delay_alu instid0(VALU_DEP_1) | instskip(NEXT) | instid1(VALU_DEP_1)
	v_bfi_b32 v2, 0x7fffffff, s11, v2
	v_cndmask_b32_e32 v1, v1, v2, vcc_lo
	s_cselect_b32 vcc_lo, -1, 0
	s_delay_alu instid0(VALU_DEP_1)
	v_cndmask_b32_e32 v173, 0x7fc00000, v1, vcc_lo
.LBB52_4:
	s_bfe_u32 s11, ttmp6, 0x4000c
	v_bfe_u32 v88, v0, 10, 10
	s_add_co_i32 s11, s11, 1
	s_and_b32 s25, ttmp6, 15
	s_mul_i32 s26, ttmp9, s11
	s_ashr_i32 s10, s33, 31
	s_ashr_i32 s11, s28, 31
	s_add_co_i32 s25, s25, s26
	s_cmp_eq_u32 s43, 0
	v_dual_lshlrev_b32 v23, 4, v88 :: v_dual_mov_b32 v159, 0
	s_cselect_b32 s25, ttmp9, s25
	v_and_b32_e32 v136, 0x3ff, v0
	s_lshl_b32 s42, s25, 6
	s_delay_alu instid0(VALU_DEP_2) | instid1(SALU_CYCLE_1)
	v_dual_add_nc_u32 v49, s42, v23 :: v_dual_bitop2_b32 v42, 1, v23 bitop3:0x54
	s_delay_alu instid0(VALU_DEP_2) | instskip(NEXT) | instid1(VALU_DEP_2)
	v_dual_lshlrev_b32 v158, 3, v136 :: v_dual_bitop2_b32 v40, 3, v23 bitop3:0x54
	v_dual_add_nc_u32 v10, s42, v42 :: v_dual_bitop2_b32 v41, 2, v23 bitop3:0x54
	s_delay_alu instid0(VALU_DEP_3)
	v_mul_hi_u32 v0, v49, s20
	v_or_b32_e32 v39, 4, v23
	s_load_b96 s[28:30], s[0:1], 0x70
	v_add_nc_u32_e32 v13, s42, v40
	v_mul_hi_u32 v1, v10, s20
	v_dual_add_nc_u32 v152, s42, v41 :: v_dual_bitop2_b32 v145, 6, v23 bitop3:0x54
	v_or_b32_e32 v38, 5, v23
	s_delay_alu instid0(VALU_DEP_4)
	v_mul_hi_u32 v3, v13, s20
	s_clause 0x1
	scratch_store_b32 off, v10, off offset:64
	scratch_store_b32 off, v23, off offset:60
	v_dual_add_nc_u32 v0, v49, v0 :: v_dual_add_nc_u32 v15, s42, v39
	v_mul_hi_u32 v2, v152, s20
	v_dual_add_nc_u32 v19, s42, v145 :: v_dual_add_nc_u32 v149, s42, v38
	s_delay_alu instid0(VALU_DEP_3) | instskip(NEXT) | instid1(VALU_DEP_4)
	v_lshrrev_b32_e32 v0, s21, v0
	v_mul_hi_u32 v6, v15, s20
	v_or_b32_e32 v144, 7, v23
	s_clause 0x1
	scratch_store_b32 off, v13, off offset:76
	scratch_store_b32 off, v15, off offset:84
	v_mul_lo_u32 v4, v0, s22
	v_add_nc_u32_e32 v1, v10, v1
	s_wait_kmcnt 0x0
	s_mul_i32 s26, s34, s30
	s_mul_i32 s44, s33, s29
	s_ashr_i32 s27, s26, 31
	s_ashr_i32 s45, s44, 31
	v_dual_lshrrev_b32 v0, s21, v1 :: v_dual_add_nc_u32 v1, v152, v2
	s_add_nc_u64 s[4:5], s[4:5], s[26:27]
	v_add_nc_u32_e32 v8, v13, v3
	s_add_nc_u64 s[4:5], s[4:5], s[44:45]
	s_delay_alu instid0(VALU_DEP_2)
	v_mul_lo_u32 v5, v0, s22
	v_lshrrev_b32_e32 v2, s21, v1
	v_add_nc_u64_e32 v[0:1], s[4:5], v[158:159]
	v_sub_nc_u32_e32 v158, v49, v4
	v_mul_hi_u32 v9, v149, s20
	v_add_nc_u32_e32 v11, v15, v6
	v_mul_lo_u32 v7, v2, s22
	v_add_nc_u32_e32 v187, s42, v144
	v_dual_lshrrev_b32 v8, s21, v8 :: v_dual_bitop2_b32 v148, 9, v23 bitop3:0x54
	s_delay_alu instid0(VALU_DEP_4) | instskip(SKIP_2) | instid1(VALU_DEP_3)
	v_dual_lshrrev_b32 v11, s21, v11 :: v_dual_sub_nc_u32 v4, v10, v5
	s_wait_xcnt 0x3
	v_mul_hi_u32 v10, v19, s20
	v_mul_lo_u32 v8, v8, s22
	v_dual_mov_b32 v5, v159 :: v_dual_add_nc_u32 v9, v149, v9
	v_mul_hi_u32 v12, v187, s20
	v_dual_mov_b32 v7, v159 :: v_dual_sub_nc_u32 v6, v152, v7
	v_mul_lo_u32 v11, v11, s22
	s_delay_alu instid0(VALU_DEP_4) | instskip(SKIP_3) | instid1(VALU_DEP_3)
	v_dual_lshrrev_b32 v9, s21, v9 :: v_dual_bitop2_b32 v48, 15, v23 bitop3:0x54
	v_dual_add_nc_u32 v10, v19, v10 :: v_dual_bitop2_b32 v47, 14, v23 bitop3:0x54
	v_sub_nc_u32_e32 v8, v13, v8
	s_wait_xcnt 0x1
	v_mul_lo_u32 v13, v9, s22
	v_dual_mov_b32 v9, v159 :: v_dual_bitop2_b32 v151, 8, v23 bitop3:0x54
	v_dual_lshrrev_b32 v10, s21, v10 :: v_dual_add_nc_u32 v12, v187, v12
	v_add_nc_u32_e32 v143, s42, v148
	s_delay_alu instid0(VALU_DEP_3) | instskip(NEXT) | instid1(VALU_DEP_3)
	v_dual_add_nc_u32 v33, s42, v48 :: v_dual_add_nc_u32 v147, s42, v151
	v_mul_lo_u32 v14, v10, s22
	s_wait_xcnt 0x0
	v_dual_sub_nc_u32 v10, v15, v11 :: v_dual_lshrrev_b32 v15, s21, v12
	v_mov_b32_e32 v11, v159
	v_mul_hi_u32 v16, v147, s20
	v_sub_nc_u32_e32 v12, v149, v13
	v_mul_hi_u32 v18, v143, s20
	v_or_b32_e32 v146, 10, v23
	v_mul_lo_u32 v17, v15, s22
	v_add_nc_u32_e32 v31, s42, v47
	s_clause 0x1
	scratch_store_b32 off, v19, off offset:92
	scratch_store_b32 off, v33, off offset:104
	v_sub_nc_u32_e32 v14, v19, v14
	v_dual_add_nc_u32 v142, s42, v146 :: v_dual_bitop2_b32 v135, 11, v23 bitop3:0x54
	s_wait_xcnt 0x1
	v_add_nc_u32_e32 v19, v147, v16
	v_mul_hi_u32 v27, v33, s20
	v_add_nc_u32_e32 v18, v143, v18
	v_mul_hi_u32 v20, v142, s20
	s_delay_alu instid0(VALU_DEP_4) | instskip(NEXT) | instid1(VALU_DEP_3)
	v_dual_sub_nc_u32 v16, v187, v17 :: v_dual_lshrrev_b32 v19, s21, v19
	v_dual_mov_b32 v17, v159 :: v_dual_lshrrev_b32 v18, s21, v18
	v_or_b32_e32 v132, 12, v23
	s_ashr_i32 s29, s28, 31
	s_delay_alu instid0(VALU_DEP_3)
	v_mul_lo_u32 v19, v19, s22
	s_lshr_b64 s[4:5], s[28:29], 2
	v_mul_lo_u32 v21, v18, s22
	v_mul_u64_e32 v[2:3], s[4:5], v[158:159]
	v_dual_add_nc_u32 v18, v142, v20 :: v_dual_add_nc_u32 v140, s42, v135
	v_dual_add_nc_u32 v134, s42, v132 :: v_dual_bitop2_b32 v131, 13, v23 bitop3:0x54
	v_dual_mov_b32 v13, v159 :: v_dual_mov_b32 v15, v159
	s_delay_alu instid0(VALU_DEP_3) | instskip(NEXT) | instid1(VALU_DEP_3)
	v_mul_hi_u32 v20, v140, s20
	v_mul_hi_u32 v22, v134, s20
	s_delay_alu instid0(VALU_DEP_4) | instskip(SKIP_3) | instid1(VALU_DEP_4)
	v_dual_lshrrev_b32 v23, s21, v18 :: v_dual_add_nc_u32 v133, s42, v131
	v_mul_u64_e32 v[4:5], s[4:5], v[4:5]
	v_mul_u64_e32 v[6:7], s[4:5], v[6:7]
	;; [unrolled: 1-line block ×3, first 2 shown]
	v_mul_lo_u32 v23, v23, s22
	v_mul_u64_e32 v[10:11], s[4:5], v[10:11]
	v_mul_u64_e32 v[12:13], s[4:5], v[12:13]
	v_mul_u64_e32 v[14:15], s[4:5], v[14:15]
	v_dual_add_nc_u32 v26, v140, v20 :: v_dual_sub_nc_u32 v18, v147, v19
	v_mov_b32_e32 v19, v159
	v_mul_hi_u32 v24, v133, s20
	v_add_nc_u32_e32 v22, v134, v22
	v_mul_hi_u32 v25, v31, s20
	v_dual_sub_nc_u32 v20, v143, v21 :: v_dual_lshrrev_b32 v26, s21, v26
	s_delay_alu instid0(VALU_DEP_3)
	v_dual_mov_b32 v21, v159 :: v_dual_lshrrev_b32 v28, s21, v22
	v_sub_nc_u32_e32 v22, v142, v23
	scratch_store_b32 off, v31, off offset:100 ; 4-byte Folded Spill
	v_mul_u64_e32 v[16:17], s[4:5], v[16:17]
	v_mul_u64_e32 v[18:19], s[4:5], v[18:19]
	v_add_nc_u32_e32 v24, v133, v24
	v_mul_u64_e32 v[20:21], s[4:5], v[20:21]
	v_add_nc_u32_e32 v23, v31, v25
	v_mul_lo_u32 v25, v26, s22
	s_delay_alu instid0(VALU_DEP_4) | instskip(SKIP_1) | instid1(VALU_DEP_4)
	v_dual_add_nc_u32 v26, v33, v27 :: v_dual_lshrrev_b32 v24, s21, v24
	v_mul_lo_u32 v27, v28, s22
	v_dual_mov_b32 v23, v159 :: v_dual_lshrrev_b32 v28, s21, v23
	v_lshl_add_u64 v[2:3], v[2:3], 2, v[0:1]
	s_delay_alu instid0(VALU_DEP_4) | instskip(SKIP_1) | instid1(VALU_DEP_4)
	v_mul_lo_u32 v29, v24, s22
	v_lshrrev_b32_e32 v24, s21, v26
	v_mul_lo_u32 v30, v28, s22
	v_mul_u64_e32 v[22:23], s[4:5], v[22:23]
	v_lshl_add_u64 v[4:5], v[4:5], 2, v[0:1]
	v_lshl_add_u64 v[6:7], v[6:7], 2, v[0:1]
	v_mul_lo_u32 v32, v24, s22
	v_dual_sub_nc_u32 v24, v140, v25 :: v_dual_sub_nc_u32 v26, v134, v27
	v_dual_mov_b32 v25, v159 :: v_dual_mov_b32 v27, v159
	v_dual_mov_b32 v29, v159 :: v_dual_sub_nc_u32 v28, v133, v29
	v_sub_nc_u32_e32 v30, v31, v30
	s_wait_xcnt 0x0
	v_mov_b32_e32 v31, v159
	v_mul_u64_e32 v[24:25], s[4:5], v[24:25]
	v_mul_u64_e32 v[26:27], s[4:5], v[26:27]
	v_dual_mov_b32 v33, v159 :: v_dual_sub_nc_u32 v32, v33, v32
	v_lshlrev_b32_e32 v177, 11, v88
	v_mul_u64_e32 v[28:29], s[4:5], v[28:29]
	v_mul_u64_e32 v[30:31], s[4:5], v[30:31]
	v_lshl_add_u64 v[8:9], v[8:9], 2, v[0:1]
	v_mul_u64_e32 v[32:33], s[4:5], v[32:33]
	v_lshl_add_u64 v[10:11], v[10:11], 2, v[0:1]
	s_clause 0x3
	global_load_b64 v[2:3], v[2:3], off
	global_load_b64 v[4:5], v[4:5], off
	;; [unrolled: 1-line block ×4, first 2 shown]
	v_lshl_add_u64 v[12:13], v[12:13], 2, v[0:1]
	v_lshl_add_u64 v[14:15], v[14:15], 2, v[0:1]
	;; [unrolled: 1-line block ×5, first 2 shown]
	s_clause 0x3
	global_load_b64 v[10:11], v[10:11], off
	global_load_b64 v[12:13], v[12:13], off
	;; [unrolled: 1-line block ×4, first 2 shown]
	v_lshl_add_u64 v[22:23], v[22:23], 2, v[0:1]
	s_clause 0x1
	global_load_b64 v[18:19], v[18:19], off
	global_load_b64 v[20:21], v[20:21], off
	s_mul_u64 s[4:5], s[38:39], s[40:41]
	s_mov_b32 s29, 0
	global_load_b64 v[22:23], v[22:23], off
	s_cmp_eq_u64 s[14:15], 0
	v_lshl_add_u64 v[24:25], v[24:25], 2, v[0:1]
	v_lshl_add_u64 v[26:27], v[26:27], 2, v[0:1]
	;; [unrolled: 1-line block ×4, first 2 shown]
	global_load_b64 v[24:25], v[24:25], off
	v_lshl_add_u64 v[0:1], v[32:33], 2, v[0:1]
	s_clause 0x3
	global_load_b64 v[26:27], v[26:27], off
	global_load_b64 v[32:33], v[28:29], off
	;; [unrolled: 1-line block ×4, first 2 shown]
	s_wait_xcnt 0x0
	v_lshl_add_u32 v0, v136, 2, 0x4400
	s_clause 0x6
	scratch_store_b32 off, v42, off offset:68
	scratch_store_b32 off, v41, off offset:72
	;; [unrolled: 1-line block ×7, first 2 shown]
	v_lshl_add_u32 v28, v42, 7, v0
	v_lshl_add_u32 v29, v41, 7, v0
	v_lshl_add_u32 v30, v40, 7, v0
	v_lshl_add_u32 v31, v39, 7, v0
	s_wait_xcnt 0x2
	v_lshl_add_u32 v38, v38, 7, v0
	v_lshl_add_u32 v39, v145, 7, v0
	;; [unrolled: 1-line block ×9, first 2 shown]
	s_wait_xcnt 0x1
	v_lshl_add_u32 v47, v47, 7, v0
	s_wait_loadcnt 0xf
	v_fma_mixlo_f16 v2, s24, v2, 0
	v_fma_mixlo_f16 v3, s24, v3, 0
	s_wait_loadcnt 0xe
	v_fma_mixlo_f16 v4, s24, v4, 0
	v_fma_mixlo_f16 v5, s24, v5, 0
	;; [unrolled: 3-line block ×4, first 2 shown]
	v_dual_add_nc_u32 v1, v0, v177 :: v_dual_lshlrev_b32 v3, 16, v3
	s_wait_loadcnt 0xb
	v_fma_mixlo_f16 v10, s24, v10, 0
	v_fma_mixlo_f16 v11, s24, v11, 0
	s_wait_loadcnt 0xa
	v_fma_mixlo_f16 v12, s24, v12, 0
	v_fma_mixlo_f16 v13, s24, v13, 0
	;; [unrolled: 3-line block ×7, first 2 shown]
	v_and_b32_e32 v2, 0xffff, v2
	v_dual_lshlrev_b32 v5, 16, v5 :: v_dual_lshlrev_b32 v7, 16, v7
	v_and_b32_e32 v4, 0xffff, v4
	v_and_b32_e32 v6, 0xffff, v6
	s_wait_loadcnt 0x4
	v_fma_mixlo_f16 v24, s24, v24, 0
	v_fma_mixlo_f16 v25, s24, v25, 0
	s_wait_loadcnt 0x3
	v_fma_mixlo_f16 v26, s24, v26, 0
	v_fma_mixlo_f16 v27, s24, v27, 0
	;; [unrolled: 3-line block ×5, first 2 shown]
	v_dual_lshlrev_b32 v9, 16, v9 :: v_dual_lshlrev_b32 v11, 16, v11
	v_and_b32_e32 v8, 0xffff, v8
	v_and_b32_e32 v10, 0xffff, v10
	v_dual_lshlrev_b32 v13, 16, v13 :: v_dual_lshlrev_b32 v15, 16, v15
	v_and_b32_e32 v12, 0xffff, v12
	v_and_b32_e32 v14, 0xffff, v14
	;; [unrolled: 3-line block ×6, first 2 shown]
	v_dual_lshlrev_b32 v37, 16, v37 :: v_dual_bitop2_b32 v2, v3, v2 bitop3:0x54
	v_and_b32_e32 v36, 0xffff, v36
	v_or_b32_e32 v3, v5, v4
	v_or_b32_e32 v4, v7, v6
	;; [unrolled: 1-line block ×4, first 2 shown]
	v_lshl_add_u32 v0, v48, 7, v0
	v_or_b32_e32 v7, v13, v12
	v_or_b32_e32 v8, v15, v14
	;; [unrolled: 1-line block ×11, first 2 shown]
	ds_store_b32 v1, v2
	ds_store_b32 v28, v3
	;; [unrolled: 1-line block ×16, first 2 shown]
	s_wait_storecnt_dscnt 0x0
	s_barrier_signal -1
	s_barrier_wait -1
	s_cbranch_scc1 .LBB52_6
; %bb.5:
	s_load_b32 s2, s[0:1], 0xd0
	s_wait_kmcnt 0x0
	s_mul_i32 s2, s2, s34
	s_delay_alu instid0(SALU_CYCLE_1)
	s_add_co_i32 s2, s2, s25
	s_load_b32 s2, s[14:15], s2 offset:0x0 scale_offset
.LBB52_6:
	s_wait_xcnt 0x0
	s_clause 0x2
	s_load_b64 s[14:15], s[0:1], 0x8c
	s_load_b128 s[24:27], s[0:1], 0x98
	s_load_b64 s[40:41], s[0:1], 0xa8
	s_mul_i32 s4, s5, s3
	s_mov_b32 s28, s20
	s_sub_co_i32 s4, s38, s4
	s_ashr_i32 s30, s31, 1
	s_ashr_i32 s35, s34, 31
	s_xor_b32 s11, s10, s11
	s_add_co_i32 s20, s5, 1
	s_sub_co_i32 s31, s4, s3
	v_dual_lshrrev_b32 v2, 3, v136 :: v_dual_lshlrev_b32 v181, 2, v136
	v_mul_u32_u24_e32 v137, 0x90, v136
	v_or_b32_e32 v156, 1, v49
	v_or_b32_e32 v106, 2, v49
	;; [unrolled: 1-line block ×6, first 2 shown]
	s_wait_kmcnt 0x0
	s_ashr_i32 s10, s14, 2
	s_ashr_i32 s14, s26, 2
	s_cmp_ge_u32 s4, s3
	s_mul_u64 s[24:25], s[24:25], s[34:35]
	s_cselect_b32 s20, s20, s5
	s_cselect_b32 s4, s31, s4
	s_add_co_i32 s26, s20, 1
	s_cmp_ge_u32 s4, s3
	s_add_nc_u64 s[4:5], s[6:7], s[24:25]
	s_cselect_b32 s3, s26, s20
	s_bfe_u32 s6, ttmp6, 0x40010
	s_xor_b32 s3, s3, s11
	s_and_b32 s20, ttmp7, 0xffff
	s_add_co_i32 s6, s6, 1
	s_sub_co_i32 s3, s3, s11
	s_bfe_u32 s7, ttmp6, 0x40004
	s_mul_i32 s11, s20, s6
	s_mul_i32 s6, s3, s15
	;; [unrolled: 1-line block ×3, first 2 shown]
	s_add_co_i32 s3, s7, s11
	s_ashr_i32 s7, s6, 31
	s_ashr_i32 s27, s26, 31
	s_cmp_eq_u32 s43, 0
	s_mul_u64 s[38:39], s[40:41], s[34:35]
	s_cselect_b32 s20, s20, s3
	v_or_b32_e32 v86, 7, v49
	v_or_b32_e32 v78, 8, v49
	;; [unrolled: 1-line block ×9, first 2 shown]
	v_add_nc_u32_e32 v183, 0x2400, v177
	v_mbcnt_lo_u32_b32 v1, -1, 0
	s_add_nc_u64 s[4:5], s[4:5], s[6:7]
	s_sub_co_i32 s3, s2, 64
	s_lshl_b32 s24, s20, 6
	s_add_nc_u64 s[6:7], s[8:9], s[38:39]
	s_cmp_ge_i32 s24, s3
	s_add_nc_u64 s[26:27], s[6:7], s[26:27]
	s_clause 0x3
	scratch_store_b32 off, v49, off offset:48
	scratch_store_b32 off, v140, off offset:36
	;; [unrolled: 1-line block ×4, first 2 shown]
	s_cbranch_scc1 .LBB52_75
; %bb.7:
	v_dual_mov_b32 v89, 0 :: v_dual_bitop2_b32 v0, 28, v181 bitop3:0x40
	v_lshl_add_u32 v1, v88, 2, v2
	s_lshl_b32 s6, s10, 4
	s_clause 0x5
	scratch_store_b32 off, v149, off offset:136
	scratch_store_b32 off, v187, off offset:132
	;; [unrolled: 1-line block ×6, first 2 shown]
	v_dual_mov_b32 v157, v89 :: v_dual_add_nc_u32 v108, 0x4400, v177
	v_dual_mov_b32 v107, v89 :: v_dual_lshlrev_b32 v30, 2, v0
	v_dual_mov_b32 v155, v89 :: v_dual_mov_b32 v103, v89
	s_delay_alu instid0(VALU_DEP_3) | instskip(SKIP_1) | instid1(VALU_DEP_4)
	v_mul_u64_e32 v[2:3], s[28:29], v[156:157]
	v_dual_mov_b32 v101, v89 :: v_dual_mov_b32 v99, v89
	v_mul_u64_e32 v[4:5], s[28:29], v[106:107]
	v_mul_lo_u32 v90, s10, v1
	v_mul_u64_e32 v[6:7], s[28:29], v[154:155]
	s_delay_alu instid0(VALU_DEP_4)
	v_mul_u64_e32 v[10:11], s[28:29], v[100:101]
	v_dual_mov_b32 v65, v89 :: v_dual_mov_b32 v87, v89
	v_mov_b32_e32 v79, v89
	v_mul_u64_e32 v[12:13], s[28:29], v[98:99]
	v_mul_u64_e32 v[8:9], s[28:29], v[102:103]
	v_mov_b32_e32 v12, v76
	v_mul_u64_e32 v[14:15], s[28:29], v[86:87]
	v_mul_u64_e32 v[16:17], s[28:29], v[78:79]
	v_add_nc_u32_e32 v92, s6, v90
	scratch_store_b32 off, v88, off offset:252 ; 4-byte Folded Spill
	v_dual_mov_b32 v77, v89 :: v_dual_mov_b32 v75, v89
	v_dual_mov_b32 v73, v89 :: v_dual_mov_b32 v71, v89
	v_add_nc_u32_e32 v94, s6, v92
	s_delay_alu instid0(VALU_DEP_3) | instskip(NEXT) | instid1(VALU_DEP_4)
	v_mul_u64_e32 v[18:19], s[28:29], v[76:77]
	v_mul_u64_e32 v[20:21], s[28:29], v[74:75]
	s_delay_alu instid0(VALU_DEP_4) | instskip(SKIP_4) | instid1(VALU_DEP_2)
	v_mul_u64_e32 v[22:23], s[28:29], v[72:73]
	v_dual_mov_b32 v69, v89 :: v_dual_mov_b32 v67, v89
	v_mul_u64_e32 v[24:25], s[28:29], v[70:71]
	s_ashr_i32 s11, s10, 31
	s_cmp_lg_u64 s[36:37], 0
	v_mul_u64_e32 v[26:27], s[28:29], v[68:69]
	v_mul_u64_e32 v[28:29], s[28:29], v[66:67]
	v_add_nc_u32_e32 v4, v156, v3
	v_mul_u64_e32 v[2:3], s[28:29], v[64:65]
	v_ashrrev_i32_e32 v91, 31, v90
	s_cselect_b32 s8, -1, 0
	v_dual_add_nc_u32 v96, s6, v94 :: v_dual_ashrrev_i32 v93, 31, v92
	v_dual_lshrrev_b32 v2, s21, v4 :: v_dual_add_nc_u32 v4, v106, v5
	v_add_nc_u32_e32 v5, v154, v7
	v_add_nc_u32_e32 v7, v100, v11
	scratch_store_b64 off, v[12:13], off offset:188 ; 8-byte Folded Spill
	v_mul_lo_u32 v2, v2, s22
	v_dual_lshrrev_b32 v4, s21, v4 :: v_dual_mov_b32 v10, v156
	s_wait_xcnt 0x0
	v_dual_mov_b32 v12, v74 :: v_dual_lshrrev_b32 v5, s21, v5
	v_dual_add_nc_u32 v6, v102, v9 :: v_dual_lshrrev_b32 v7, s21, v7
	s_delay_alu instid0(VALU_DEP_3) | instskip(SKIP_1) | instid1(VALU_DEP_4)
	v_mul_lo_u32 v4, v4, s22
	v_add_nc_u32_e32 v9, v86, v15
	v_mul_lo_u32 v5, v5, s22
	scratch_store_b64 off, v[12:13], off offset:180 ; 8-byte Folded Spill
	v_sub_nc_u32_e32 v2, v156, v2
	scratch_store_b64 off, v[10:11], off offset:244 ; 8-byte Folded Spill
	s_wait_xcnt 0x0
	v_dual_mov_b32 v10, v106 :: v_dual_mov_b32 v12, v72
	v_dual_add_nc_u32 v8, v98, v13 :: v_dual_lshrrev_b32 v6, s21, v6
	v_mul_lo_u32 v2, v2, s30
	v_sub_nc_u32_e32 v4, v106, v4
	v_mul_lo_u32 v7, v7, s22
	s_delay_alu instid0(VALU_DEP_4) | instskip(SKIP_1) | instid1(VALU_DEP_4)
	v_dual_lshrrev_b32 v8, s21, v8 :: v_dual_lshrrev_b32 v9, s21, v9
	v_mul_lo_u32 v6, v6, s22
	v_mul_lo_u32 v4, v4, s30
	s_lshl_b32 s6, s14, 4
	v_sub_nc_u32_e32 v5, v154, v5
	v_mul_lo_u32 v8, v8, s22
	v_mul_lo_u32 v9, v9, s22
	s_clause 0x1
	scratch_store_b32 off, v2, off offset:16
	scratch_store_b64 off, v[10:11], off offset:52
	s_wait_xcnt 0x1
	v_add_nc_u32_e32 v2, v78, v17
	s_wait_xcnt 0x0
	v_mov_b32_e32 v10, v154
	v_mad_u32_u24 v109, 0x90, v1, v30
	v_sub_nc_u32_e32 v6, v102, v6
	scratch_store_b32 off, v4, off offset:20 ; 4-byte Folded Spill
	v_lshrrev_b32_e32 v2, s21, v2
	scratch_store_b64 off, v[10:11], off offset:236 ; 8-byte Folded Spill
	s_wait_xcnt 0x0
	v_mov_b32_e32 v10, v102
	v_mul_lo_u32 v4, v5, s30
	v_lshl_or_b32 v124, v1, 7, v30
	v_mul_lo_u32 v2, v2, s22
	v_dual_ashrrev_i32 v95, 31, v94 :: v_dual_ashrrev_i32 v97, 31, v96
	scratch_store_b64 off, v[10:11], off offset:228 ; 8-byte Folded Spill
	s_wait_xcnt 0x0
	v_dual_mov_b32 v10, v98 :: v_dual_mov_b32 v153, 0xfeffffff
	v_dual_lshlrev_b32 v88, 2, v0 :: v_dual_add_nc_u32 v3, v64, v3
	v_mbcnt_lo_u32_b32 v127, -1, 0
	v_dual_mov_b32 v179, v89 :: v_dual_mov_b32 v182, v89
	s_delay_alu instid0(VALU_DEP_3) | instskip(SKIP_2) | instid1(VALU_DEP_3)
	v_dual_sub_nc_u32 v2, v78, v2 :: v_dual_lshrrev_b32 v3, s21, v3
	v_dual_mov_b32 v184, v89 :: v_dual_mov_b32 v185, v89
	v_dual_mov_b32 v189, v89 :: v_dual_mov_b32 v32, v89
	v_mul_lo_u32 v3, v3, s22
	s_delay_alu instid0(VALU_DEP_4)
	v_mul_lo_u32 v117, v2, s30
	v_mov_b32_e32 v2, v70
	scratch_store_b32 off, v4, off offset:24 ; 4-byte Folded Spill
	s_wait_xcnt 0x0
	v_dual_mov_b32 v4, v100 :: v_dual_mov_b32 v33, v89
	v_dual_mov_b32 v34, v89 :: v_dual_mov_b32 v35, v89
	v_mov_b32_e32 v36, v89
	scratch_store_b64 off, v[4:5], off offset:220 ; 8-byte Folded Spill
	s_wait_xcnt 0x0
	v_sub_nc_u32_e32 v4, v100, v7
	v_mul_lo_u32 v5, v6, s30
	v_sub_nc_u32_e32 v7, v98, v8
	scratch_store_b64 off, v[10:11], off offset:212 ; 8-byte Folded Spill
	v_mul_lo_u32 v98, s14, v1
	v_add_nc_u32_e32 v6, v74, v21
	v_mul_lo_u32 v4, v4, s30
	v_mul_lo_u32 v115, v7, s30
	v_dual_mov_b32 v37, v89 :: v_dual_mov_b32 v38, v89
	s_delay_alu instid0(VALU_DEP_4)
	v_dual_lshrrev_b32 v6, s21, v6 :: v_dual_add_nc_u32 v8, v72, v23
	scratch_store_b32 off, v5, off offset:28 ; 4-byte Folded Spill
	s_wait_xcnt 0x0
	v_dual_mov_b32 v10, v78 :: v_dual_add_nc_u32 v5, v76, v19
	v_mul_lo_u32 v6, v6, s22
	v_dual_lshrrev_b32 v7, s21, v8 :: v_dual_add_nc_u32 v100, s6, v98
	v_dual_mov_b32 v39, v89 :: v_dual_mov_b32 v40, v89
	v_dual_mov_b32 v41, v89 :: v_dual_mov_b32 v42, v89
	s_delay_alu instid0(VALU_DEP_3)
	v_mul_lo_u32 v7, v7, s22
	v_dual_mov_b32 v43, v89 :: v_dual_mov_b32 v44, v89
	v_dual_mov_b32 v45, v89 :: v_dual_mov_b32 v46, v89
	v_dual_mov_b32 v47, v89 :: v_dual_sub_nc_u32 v6, v74, v6
	v_dual_mov_b32 v190, v89 :: v_dual_mov_b32 v191, v89
	v_mov_b32_e32 v175, v89
	s_delay_alu instid0(VALU_DEP_3)
	v_mul_lo_u32 v119, v6, s30
	v_dual_mov_b32 v6, v66 :: v_dual_sub_nc_u32 v7, v72, v7
	scratch_store_b64 off, v[10:11], off offset:196 ; 8-byte Folded Spill
	s_wait_xcnt 0x0
	v_add_nc_u32_e32 v10, v66, v29
	v_add_nc_u32_e32 v8, v70, v25
	v_mul_lo_u32 v120, v7, s30
	scratch_store_b64 off, v[6:7], off offset:148 ; 8-byte Folded Spill
	s_wait_xcnt 0x0
	v_dual_mov_b32 v6, v64 :: v_dual_lshrrev_b32 v10, s21, v10
	v_lshrrev_b32_e32 v8, s21, v8
	scratch_store_b32 off, v4, off offset:32 ; 4-byte Folded Spill
	s_wait_xcnt 0x0
	v_mov_b32_e32 v4, v86
	scratch_store_b64 off, v[2:3], off offset:164 ; 8-byte Folded Spill
	v_mul_lo_u32 v10, v10, s22
	v_mul_lo_u32 v8, v8, s22
	s_wait_xcnt 0x0
	v_sub_nc_u32_e32 v3, v64, v3
	scratch_store_b64 off, v[4:5], off offset:204 ; 8-byte Folded Spill
	s_wait_xcnt 0x0
	v_dual_sub_nc_u32 v4, v86, v9 :: v_dual_add_nc_u32 v9, v68, v27
	v_lshrrev_b32_e32 v5, s21, v5
	v_mul_lo_u32 v125, v3, s30
	v_lshlrev_b32_e32 v1, 4, v136
	s_delay_alu instid0(VALU_DEP_4) | instskip(SKIP_4) | instid1(VALU_DEP_4)
	v_mul_lo_u32 v116, v4, s30
	v_lshrrev_b32_e32 v9, s21, v9
	v_mul_lo_u32 v5, v5, s22
	v_dual_sub_nc_u32 v2, v70, v8 :: v_dual_mov_b32 v4, v68
	v_add_nc_u32_e32 v102, s6, v100
	v_mul_lo_u32 v9, v9, s22
	v_dual_ashrrev_i32 v99, 31, v98 :: v_dual_ashrrev_i32 v101, 31, v100
	s_delay_alu instid0(VALU_DEP_4) | instskip(NEXT) | instid1(VALU_DEP_4)
	v_mul_lo_u32 v121, v2, s30
	v_dual_add_nc_u32 v104, s6, v102 :: v_dual_ashrrev_i32 v103, 31, v102
	v_dual_add_nc_u32 v126, v183, v1 :: v_dual_mov_b32 v178, v89
	s_delay_alu instid0(VALU_DEP_2) | instskip(SKIP_2) | instid1(VALU_DEP_3)
	v_dual_sub_nc_u32 v5, v76, v5 :: v_dual_ashrrev_i32 v105, 31, v104
	v_dual_mov_b32 v180, v89 :: v_dual_mov_b32 v186, v89
	v_dual_mov_b32 v172, v89 :: v_dual_mov_b32 v176, v89
	v_mul_lo_u32 v118, v5, s30
	s_clause 0x1
	scratch_store_b64 off, v[4:5], off offset:156
	scratch_store_b64 off, v[6:7], off offset:140
	s_wait_xcnt 0x1
	v_dual_sub_nc_u32 v4, v68, v9 :: v_dual_sub_nc_u32 v5, v66, v10
	v_dual_mov_b32 v188, v89 :: v_dual_mov_b32 v138, v89
	v_dual_mov_b32 v139, v89 :: v_dual_mov_b32 v140, 0xfeffffff
	s_delay_alu instid0(VALU_DEP_3) | instskip(NEXT) | instid1(VALU_DEP_4)
	v_mul_lo_u32 v122, v4, s30
	v_mul_lo_u32 v123, v5, s30
	v_dual_mov_b32 v151, 0xfeffffff :: v_dual_mov_b32 v134, 0xfeffffff
	v_dual_mov_b32 v149, 0xfeffffff :: v_dual_mov_b32 v132, 0xfeffffff
	;; [unrolled: 1-line block ×4, first 2 shown]
	v_mov_b32_e32 v143, 0xfeffffff
	v_mov_b32_e32 v141, 0xfeffffff
	;; [unrolled: 1-line block ×6, first 2 shown]
	s_ashr_i32 s15, s14, 31
	s_add_nc_u64 s[6:7], s[0:1], 0xd0
	scratch_store_b64 off, v[12:13], off offset:172 ; 8-byte Folded Spill
.LBB52_8:                               ; =>This Inner Loop Header: Depth=1
	s_ashr_i32 s25, s24, 31
	v_dual_mov_b32 v107, 0 :: v_dual_add_nc_u32 v4, 0x900, v109
	s_mul_u64 s[38:39], s[24:25], s[10:11]
	v_dual_mov_b32 v152, 0 :: v_dual_mov_b32 v148, 0
	s_lshl_b64 s[38:39], s[38:39], 2
	v_dual_mov_b32 v146, 0 :: v_dual_mov_b32 v144, 0
	s_add_nc_u64 s[38:39], s[4:5], s[38:39]
	v_dual_mov_b32 v142, 0 :: v_dual_mov_b32 v106, 0
	v_lshl_add_u64 v[0:1], v[90:91], 2, s[38:39]
	v_dual_mov_b32 v170, 0 :: v_dual_mov_b32 v167, 0
	v_dual_mov_b32 v165, 0 :: v_dual_mov_b32 v163, 0
	s_delay_alu instid0(VALU_DEP_3)
	v_add_nc_u64_e32 v[0:1], v[0:1], v[88:89]
	v_dual_mov_b32 v161, 0 :: v_dual_mov_b32 v157, 0
	v_dual_mov_b32 v155, 0 :: v_dual_mov_b32 v114, 0
	v_dual_mov_b32 v113, 0 :: v_dual_mov_b32 v112, 0
	global_load_b128 v[0:3], v[0:1], off
	v_dual_mov_b32 v111, 0 :: v_dual_mov_b32 v110, 0
	v_dual_mov_b32 v174, 0 :: v_dual_mov_b32 v187, 0
	;; [unrolled: 1-line block ×6, first 2 shown]
	v_mov_b32_e32 v150, 0
	s_and_not1_b32 vcc_lo, exec_lo, s8
	v_dual_mov_b32 v171, 0 :: v_dual_mov_b32 v169, 0
	s_wait_loadcnt 0x0
	ds_store_b128 v109, v[0:3]
	s_wait_xcnt 0x0
	v_lshl_add_u64 v[0:1], v[92:93], 2, s[38:39]
	s_delay_alu instid0(VALU_DEP_1)
	v_add_nc_u64_e32 v[0:1], v[0:1], v[88:89]
	global_load_b128 v[0:3], v[0:1], off
	s_wait_loadcnt 0x0
	ds_store_b128 v4, v[0:3]
	s_wait_xcnt 0x0
	v_lshl_add_u64 v[0:1], v[94:95], 2, s[38:39]
	v_add_nc_u32_e32 v4, 0x1200, v109
	s_delay_alu instid0(VALU_DEP_2)
	v_add_nc_u64_e32 v[0:1], v[0:1], v[88:89]
	global_load_b128 v[0:3], v[0:1], off
	s_wait_loadcnt 0x0
	ds_store_b128 v4, v[0:3]
	s_wait_xcnt 0x0
	v_lshl_add_u64 v[0:1], v[96:97], 2, s[38:39]
	v_add_nc_u32_e32 v4, 0x1b00, v109
	s_delay_alu instid0(VALU_DEP_2)
	v_add_nc_u64_e32 v[0:1], v[0:1], v[88:89]
	global_load_b128 v[0:3], v[0:1], off
	s_wait_loadcnt 0x0
	ds_store_b128 v4, v[0:3]
	s_wait_storecnt_dscnt 0x0
	s_barrier_signal -1
	s_barrier_wait -1
	ds_load_b128 v[84:87], v137
	s_wait_xcnt 0x0
	ds_load_b128 v[0:3], v137 offset:4608
	ds_load_b128 v[80:83], v108
	ds_load_b128 v[76:79], v108 offset:128
	ds_load_b128 v[72:75], v108 offset:256
	;; [unrolled: 1-line block ×15, first 2 shown]
	s_wait_dscnt 0xf
	;;#ASMSTART
	v_dot2_f32_f16 v152, v84, v80, v152
	;;#ASMEND
	;;#ASMSTART
	v_dot2_f32_f16 v152, v85, v81, v152
	;;#ASMEND
	;;#ASMSTART
	v_dot2_f32_f16 v152, v86, v82, v152
	;;#ASMEND
	;;#ASMSTART
	v_dot2_f32_f16 v152, v87, v83, v152
	;;#ASMEND
	s_wait_dscnt 0xe
	;;#ASMSTART
	v_dot2_f32_f16 v148, v84, v76, v148
	;;#ASMEND
	;;#ASMSTART
	v_dot2_f32_f16 v148, v85, v77, v148
	;;#ASMEND
	;;#ASMSTART
	v_dot2_f32_f16 v148, v86, v78, v148
	;;#ASMEND
	;;#ASMSTART
	v_dot2_f32_f16 v148, v87, v79, v148
	;;#ASMEND
	;; [unrolled: 13-line block ×16, first 2 shown]
	;;#ASMSTART
	v_dot2_f32_f16 v114, v0, v80, v114
	;;#ASMEND
	;;#ASMSTART
	v_dot2_f32_f16 v114, v1, v81, v114
	;;#ASMEND
	;; [unrolled: 3-line block ×64, first 2 shown]
	ds_load_b128 v[80:83], v137 offset:16
	ds_load_b128 v[0:3], v137 offset:4624
	ds_load_b128 v[84:87], v108 offset:16
	ds_load_b128 v[76:79], v108 offset:144
	ds_load_b128 v[72:75], v108 offset:272
	ds_load_b128 v[68:71], v108 offset:400
	ds_load_b128 v[64:67], v108 offset:528
	ds_load_b128 v[60:63], v108 offset:656
	ds_load_b128 v[56:59], v108 offset:784
	ds_load_b128 v[52:55], v108 offset:912
	ds_load_b128 v[48:51], v108 offset:1040
	ds_load_b128 v[28:31], v108 offset:1168
	ds_load_b128 v[24:27], v108 offset:1296
	ds_load_b128 v[20:23], v108 offset:1424
	ds_load_b128 v[16:19], v108 offset:1552
	ds_load_b128 v[12:15], v108 offset:1680
	ds_load_b128 v[8:11], v108 offset:1808
	ds_load_b128 v[4:7], v108 offset:1936
	s_wait_dscnt 0xf
	;;#ASMSTART
	v_dot2_f32_f16 v152, v80, v84, v152
	;;#ASMEND
	;;#ASMSTART
	v_dot2_f32_f16 v152, v81, v85, v152
	;;#ASMEND
	;;#ASMSTART
	v_dot2_f32_f16 v152, v82, v86, v152
	;;#ASMEND
	;;#ASMSTART
	v_dot2_f32_f16 v152, v83, v87, v152
	;;#ASMEND
	s_wait_dscnt 0xe
	;;#ASMSTART
	v_dot2_f32_f16 v148, v80, v76, v148
	;;#ASMEND
	;;#ASMSTART
	v_dot2_f32_f16 v148, v81, v77, v148
	;;#ASMEND
	;;#ASMSTART
	v_dot2_f32_f16 v148, v82, v78, v148
	;;#ASMEND
	;;#ASMSTART
	v_dot2_f32_f16 v148, v83, v79, v148
	;;#ASMEND
	;; [unrolled: 13-line block ×16, first 2 shown]
	;;#ASMSTART
	v_dot2_f32_f16 v114, v0, v84, v114
	;;#ASMEND
	;;#ASMSTART
	v_dot2_f32_f16 v114, v1, v85, v114
	;;#ASMEND
	;; [unrolled: 3-line block ×64, first 2 shown]
	ds_load_b128 v[80:83], v137 offset:32
	ds_load_b128 v[0:3], v137 offset:4640
	;; [unrolled: 1-line block ×18, first 2 shown]
	s_wait_dscnt 0xf
	;;#ASMSTART
	v_dot2_f32_f16 v152, v80, v84, v152
	;;#ASMEND
	;;#ASMSTART
	v_dot2_f32_f16 v152, v81, v85, v152
	;;#ASMEND
	;;#ASMSTART
	v_dot2_f32_f16 v152, v82, v86, v152
	;;#ASMEND
	;;#ASMSTART
	v_dot2_f32_f16 v152, v83, v87, v152
	;;#ASMEND
	s_wait_dscnt 0xe
	;;#ASMSTART
	v_dot2_f32_f16 v148, v80, v76, v148
	;;#ASMEND
	;;#ASMSTART
	v_dot2_f32_f16 v148, v81, v77, v148
	;;#ASMEND
	;;#ASMSTART
	v_dot2_f32_f16 v148, v82, v78, v148
	;;#ASMEND
	;;#ASMSTART
	v_dot2_f32_f16 v148, v83, v79, v148
	;;#ASMEND
	;; [unrolled: 13-line block ×16, first 2 shown]
	;;#ASMSTART
	v_dot2_f32_f16 v114, v0, v84, v114
	;;#ASMEND
	;;#ASMSTART
	v_dot2_f32_f16 v114, v1, v85, v114
	;;#ASMEND
	;; [unrolled: 3-line block ×64, first 2 shown]
	ds_load_b128 v[80:83], v137 offset:48
	ds_load_b128 v[0:3], v137 offset:4656
	;; [unrolled: 1-line block ×18, first 2 shown]
	s_wait_dscnt 0xf
	;;#ASMSTART
	v_dot2_f32_f16 v152, v80, v84, v152
	;;#ASMEND
	;;#ASMSTART
	v_dot2_f32_f16 v152, v81, v85, v152
	;;#ASMEND
	;;#ASMSTART
	v_dot2_f32_f16 v152, v82, v86, v152
	;;#ASMEND
	;;#ASMSTART
	v_dot2_f32_f16 v152, v83, v87, v152
	;;#ASMEND
	s_wait_dscnt 0xe
	;;#ASMSTART
	v_dot2_f32_f16 v148, v80, v76, v148
	;;#ASMEND
	;;#ASMSTART
	v_dot2_f32_f16 v148, v81, v77, v148
	;;#ASMEND
	;;#ASMSTART
	v_dot2_f32_f16 v148, v82, v78, v148
	;;#ASMEND
	;;#ASMSTART
	v_dot2_f32_f16 v148, v83, v79, v148
	;;#ASMEND
	;; [unrolled: 13-line block ×16, first 2 shown]
	;;#ASMSTART
	v_dot2_f32_f16 v114, v0, v84, v114
	;;#ASMEND
	;;#ASMSTART
	v_dot2_f32_f16 v114, v1, v85, v114
	;;#ASMEND
	;; [unrolled: 3-line block ×64, first 2 shown]
	ds_load_b128 v[80:83], v137 offset:64
	ds_load_b128 v[0:3], v137 offset:4672
	;; [unrolled: 1-line block ×18, first 2 shown]
	s_wait_dscnt 0xf
	;;#ASMSTART
	v_dot2_f32_f16 v152, v80, v84, v152
	;;#ASMEND
	;;#ASMSTART
	v_dot2_f32_f16 v152, v81, v85, v152
	;;#ASMEND
	;;#ASMSTART
	v_dot2_f32_f16 v152, v82, v86, v152
	;;#ASMEND
	;;#ASMSTART
	v_dot2_f32_f16 v152, v83, v87, v152
	;;#ASMEND
	s_wait_dscnt 0xe
	;;#ASMSTART
	v_dot2_f32_f16 v148, v80, v76, v148
	;;#ASMEND
	;;#ASMSTART
	v_dot2_f32_f16 v148, v81, v77, v148
	;;#ASMEND
	;;#ASMSTART
	v_dot2_f32_f16 v148, v82, v78, v148
	;;#ASMEND
	;;#ASMSTART
	v_dot2_f32_f16 v148, v83, v79, v148
	;;#ASMEND
	;; [unrolled: 13-line block ×16, first 2 shown]
	;;#ASMSTART
	v_dot2_f32_f16 v114, v0, v84, v114
	;;#ASMEND
	;;#ASMSTART
	v_dot2_f32_f16 v114, v1, v85, v114
	;;#ASMEND
	;; [unrolled: 3-line block ×64, first 2 shown]
	ds_load_b128 v[80:83], v137 offset:80
	ds_load_b128 v[0:3], v137 offset:4688
	;; [unrolled: 1-line block ×18, first 2 shown]
	s_wait_dscnt 0xf
	;;#ASMSTART
	v_dot2_f32_f16 v152, v80, v84, v152
	;;#ASMEND
	;;#ASMSTART
	v_dot2_f32_f16 v152, v81, v85, v152
	;;#ASMEND
	;;#ASMSTART
	v_dot2_f32_f16 v152, v82, v86, v152
	;;#ASMEND
	;;#ASMSTART
	v_dot2_f32_f16 v152, v83, v87, v152
	;;#ASMEND
	s_wait_dscnt 0xe
	;;#ASMSTART
	v_dot2_f32_f16 v148, v80, v76, v148
	;;#ASMEND
	;;#ASMSTART
	v_dot2_f32_f16 v148, v81, v77, v148
	;;#ASMEND
	;;#ASMSTART
	v_dot2_f32_f16 v148, v82, v78, v148
	;;#ASMEND
	;;#ASMSTART
	v_dot2_f32_f16 v148, v83, v79, v148
	;;#ASMEND
	s_wait_dscnt 0xd
	;;#ASMSTART
	v_dot2_f32_f16 v146, v80, v72, v146
	;;#ASMEND
	;;#ASMSTART
	v_dot2_f32_f16 v146, v81, v73, v146
	;;#ASMEND
	;;#ASMSTART
	v_dot2_f32_f16 v146, v82, v74, v146
	;;#ASMEND
	;;#ASMSTART
	v_dot2_f32_f16 v146, v83, v75, v146
	;;#ASMEND
	s_wait_dscnt 0xc
	;;#ASMSTART
	v_dot2_f32_f16 v144, v80, v68, v144
	;;#ASMEND
	;;#ASMSTART
	v_dot2_f32_f16 v144, v81, v69, v144
	;;#ASMEND
	;;#ASMSTART
	v_dot2_f32_f16 v144, v82, v70, v144
	;;#ASMEND
	;;#ASMSTART
	v_dot2_f32_f16 v144, v83, v71, v144
	;;#ASMEND
	s_wait_dscnt 0xb
	;;#ASMSTART
	v_dot2_f32_f16 v142, v80, v64, v142
	;;#ASMEND
	;;#ASMSTART
	v_dot2_f32_f16 v142, v81, v65, v142
	;;#ASMEND
	;;#ASMSTART
	v_dot2_f32_f16 v142, v82, v66, v142
	;;#ASMEND
	;;#ASMSTART
	v_dot2_f32_f16 v142, v83, v67, v142
	;;#ASMEND
	s_wait_dscnt 0xa
	;;#ASMSTART
	v_dot2_f32_f16 v106, v80, v60, v106
	;;#ASMEND
	;;#ASMSTART
	v_dot2_f32_f16 v106, v81, v61, v106
	;;#ASMEND
	;;#ASMSTART
	v_dot2_f32_f16 v106, v82, v62, v106
	;;#ASMEND
	;;#ASMSTART
	v_dot2_f32_f16 v106, v83, v63, v106
	;;#ASMEND
	s_wait_dscnt 0x9
	;;#ASMSTART
	v_dot2_f32_f16 v107, v80, v56, v107
	;;#ASMEND
	;;#ASMSTART
	v_dot2_f32_f16 v107, v81, v57, v107
	;;#ASMEND
	;;#ASMSTART
	v_dot2_f32_f16 v107, v82, v58, v107
	;;#ASMEND
	;;#ASMSTART
	v_dot2_f32_f16 v107, v83, v59, v107
	;;#ASMEND
	s_wait_dscnt 0x8
	;;#ASMSTART
	v_dot2_f32_f16 v171, v80, v52, v171
	;;#ASMEND
	;;#ASMSTART
	v_dot2_f32_f16 v171, v81, v53, v171
	;;#ASMEND
	;;#ASMSTART
	v_dot2_f32_f16 v171, v82, v54, v171
	;;#ASMEND
	;;#ASMSTART
	v_dot2_f32_f16 v171, v83, v55, v171
	;;#ASMEND
	s_wait_dscnt 0x7
	;;#ASMSTART
	v_dot2_f32_f16 v170, v80, v48, v170
	;;#ASMEND
	;;#ASMSTART
	v_dot2_f32_f16 v170, v81, v49, v170
	;;#ASMEND
	;;#ASMSTART
	v_dot2_f32_f16 v170, v82, v50, v170
	;;#ASMEND
	;;#ASMSTART
	v_dot2_f32_f16 v170, v83, v51, v170
	;;#ASMEND
	s_wait_dscnt 0x6
	;;#ASMSTART
	v_dot2_f32_f16 v169, v80, v28, v169
	;;#ASMEND
	;;#ASMSTART
	v_dot2_f32_f16 v169, v81, v29, v169
	;;#ASMEND
	;;#ASMSTART
	v_dot2_f32_f16 v169, v82, v30, v169
	;;#ASMEND
	;;#ASMSTART
	v_dot2_f32_f16 v169, v83, v31, v169
	;;#ASMEND
	s_wait_dscnt 0x5
	;;#ASMSTART
	v_dot2_f32_f16 v167, v80, v24, v167
	;;#ASMEND
	;;#ASMSTART
	v_dot2_f32_f16 v167, v81, v25, v167
	;;#ASMEND
	;;#ASMSTART
	v_dot2_f32_f16 v167, v82, v26, v167
	;;#ASMEND
	;;#ASMSTART
	v_dot2_f32_f16 v167, v83, v27, v167
	;;#ASMEND
	s_wait_dscnt 0x4
	;;#ASMSTART
	v_dot2_f32_f16 v165, v80, v20, v165
	;;#ASMEND
	;;#ASMSTART
	v_dot2_f32_f16 v165, v81, v21, v165
	;;#ASMEND
	;;#ASMSTART
	v_dot2_f32_f16 v165, v82, v22, v165
	;;#ASMEND
	;;#ASMSTART
	v_dot2_f32_f16 v165, v83, v23, v165
	;;#ASMEND
	s_wait_dscnt 0x3
	;;#ASMSTART
	v_dot2_f32_f16 v163, v80, v16, v163
	;;#ASMEND
	;;#ASMSTART
	v_dot2_f32_f16 v163, v81, v17, v163
	;;#ASMEND
	;;#ASMSTART
	v_dot2_f32_f16 v163, v82, v18, v163
	;;#ASMEND
	;;#ASMSTART
	v_dot2_f32_f16 v163, v83, v19, v163
	;;#ASMEND
	s_wait_dscnt 0x2
	;;#ASMSTART
	v_dot2_f32_f16 v161, v80, v12, v161
	;;#ASMEND
	;;#ASMSTART
	v_dot2_f32_f16 v161, v81, v13, v161
	;;#ASMEND
	;;#ASMSTART
	v_dot2_f32_f16 v161, v82, v14, v161
	;;#ASMEND
	;;#ASMSTART
	v_dot2_f32_f16 v161, v83, v15, v161
	;;#ASMEND
	s_wait_dscnt 0x1
	;;#ASMSTART
	v_dot2_f32_f16 v157, v80, v8, v157
	;;#ASMEND
	;;#ASMSTART
	v_dot2_f32_f16 v157, v81, v9, v157
	;;#ASMEND
	;;#ASMSTART
	v_dot2_f32_f16 v157, v82, v10, v157
	;;#ASMEND
	;;#ASMSTART
	v_dot2_f32_f16 v157, v83, v11, v157
	;;#ASMEND
	s_wait_dscnt 0x0
	;;#ASMSTART
	v_dot2_f32_f16 v155, v80, v4, v155
	;;#ASMEND
	;;#ASMSTART
	v_dot2_f32_f16 v155, v81, v5, v155
	;;#ASMEND
	;;#ASMSTART
	v_dot2_f32_f16 v155, v82, v6, v155
	;;#ASMEND
	;;#ASMSTART
	v_dot2_f32_f16 v155, v83, v7, v155
	;;#ASMEND
	;;#ASMSTART
	v_dot2_f32_f16 v114, v0, v84, v114
	;;#ASMEND
	;;#ASMSTART
	v_dot2_f32_f16 v114, v1, v85, v114
	;;#ASMEND
	;; [unrolled: 3-line block ×64, first 2 shown]
	ds_load_b128 v[0:3], v137 offset:96
	ds_load_b128 v[4:7], v137 offset:4704
	;; [unrolled: 1-line block ×18, first 2 shown]
	s_wait_dscnt 0xf
	;;#ASMSTART
	v_dot2_f32_f16 v152, v0, v8, v152
	;;#ASMEND
	;;#ASMSTART
	v_dot2_f32_f16 v152, v1, v9, v152
	;;#ASMEND
	;;#ASMSTART
	v_dot2_f32_f16 v152, v2, v10, v152
	;;#ASMEND
	;;#ASMSTART
	v_dot2_f32_f16 v152, v3, v11, v152
	;;#ASMEND
	s_wait_dscnt 0xe
	;;#ASMSTART
	v_dot2_f32_f16 v148, v0, v12, v148
	;;#ASMEND
	;;#ASMSTART
	v_dot2_f32_f16 v148, v1, v13, v148
	;;#ASMEND
	;;#ASMSTART
	v_dot2_f32_f16 v148, v2, v14, v148
	;;#ASMEND
	;;#ASMSTART
	v_dot2_f32_f16 v148, v3, v15, v148
	;;#ASMEND
	s_wait_dscnt 0xd
	;;#ASMSTART
	v_dot2_f32_f16 v146, v0, v16, v146
	;;#ASMEND
	;;#ASMSTART
	v_dot2_f32_f16 v146, v1, v17, v146
	;;#ASMEND
	;;#ASMSTART
	v_dot2_f32_f16 v146, v2, v18, v146
	;;#ASMEND
	;;#ASMSTART
	v_dot2_f32_f16 v146, v3, v19, v146
	;;#ASMEND
	s_wait_dscnt 0xc
	;;#ASMSTART
	v_dot2_f32_f16 v144, v0, v20, v144
	;;#ASMEND
	;;#ASMSTART
	v_dot2_f32_f16 v144, v1, v21, v144
	;;#ASMEND
	;;#ASMSTART
	v_dot2_f32_f16 v144, v2, v22, v144
	;;#ASMEND
	;;#ASMSTART
	v_dot2_f32_f16 v144, v3, v23, v144
	;;#ASMEND
	s_wait_dscnt 0xb
	;;#ASMSTART
	v_dot2_f32_f16 v142, v0, v24, v142
	;;#ASMEND
	;;#ASMSTART
	v_dot2_f32_f16 v142, v1, v25, v142
	;;#ASMEND
	;;#ASMSTART
	v_dot2_f32_f16 v142, v2, v26, v142
	;;#ASMEND
	;;#ASMSTART
	v_dot2_f32_f16 v142, v3, v27, v142
	;;#ASMEND
	s_wait_dscnt 0xa
	;;#ASMSTART
	v_dot2_f32_f16 v106, v0, v28, v106
	;;#ASMEND
	;;#ASMSTART
	v_dot2_f32_f16 v106, v1, v29, v106
	;;#ASMEND
	;;#ASMSTART
	v_dot2_f32_f16 v106, v2, v30, v106
	;;#ASMEND
	;;#ASMSTART
	v_dot2_f32_f16 v106, v3, v31, v106
	;;#ASMEND
	s_wait_dscnt 0x9
	;;#ASMSTART
	v_dot2_f32_f16 v107, v0, v48, v107
	;;#ASMEND
	;;#ASMSTART
	v_dot2_f32_f16 v107, v1, v49, v107
	;;#ASMEND
	;;#ASMSTART
	v_dot2_f32_f16 v107, v2, v50, v107
	;;#ASMEND
	;;#ASMSTART
	v_dot2_f32_f16 v107, v3, v51, v107
	;;#ASMEND
	s_wait_dscnt 0x8
	;;#ASMSTART
	v_dot2_f32_f16 v171, v0, v52, v171
	;;#ASMEND
	;;#ASMSTART
	v_dot2_f32_f16 v171, v1, v53, v171
	;;#ASMEND
	;;#ASMSTART
	v_dot2_f32_f16 v171, v2, v54, v171
	;;#ASMEND
	;;#ASMSTART
	v_dot2_f32_f16 v171, v3, v55, v171
	;;#ASMEND
	s_wait_dscnt 0x7
	;;#ASMSTART
	v_dot2_f32_f16 v170, v0, v56, v170
	;;#ASMEND
	;;#ASMSTART
	v_dot2_f32_f16 v170, v1, v57, v170
	;;#ASMEND
	;;#ASMSTART
	v_dot2_f32_f16 v170, v2, v58, v170
	;;#ASMEND
	;;#ASMSTART
	v_dot2_f32_f16 v170, v3, v59, v170
	;;#ASMEND
	s_wait_dscnt 0x6
	;;#ASMSTART
	v_dot2_f32_f16 v169, v0, v60, v169
	;;#ASMEND
	;;#ASMSTART
	v_dot2_f32_f16 v169, v1, v61, v169
	;;#ASMEND
	;;#ASMSTART
	v_dot2_f32_f16 v169, v2, v62, v169
	;;#ASMEND
	;;#ASMSTART
	v_dot2_f32_f16 v169, v3, v63, v169
	;;#ASMEND
	s_wait_dscnt 0x5
	;;#ASMSTART
	v_dot2_f32_f16 v167, v0, v64, v167
	;;#ASMEND
	;;#ASMSTART
	v_dot2_f32_f16 v167, v1, v65, v167
	;;#ASMEND
	;;#ASMSTART
	v_dot2_f32_f16 v167, v2, v66, v167
	;;#ASMEND
	;;#ASMSTART
	v_dot2_f32_f16 v167, v3, v67, v167
	;;#ASMEND
	s_wait_dscnt 0x4
	;;#ASMSTART
	v_dot2_f32_f16 v165, v0, v68, v165
	;;#ASMEND
	;;#ASMSTART
	v_dot2_f32_f16 v165, v1, v69, v165
	;;#ASMEND
	;;#ASMSTART
	v_dot2_f32_f16 v165, v2, v70, v165
	;;#ASMEND
	;;#ASMSTART
	v_dot2_f32_f16 v165, v3, v71, v165
	;;#ASMEND
	s_wait_dscnt 0x3
	;;#ASMSTART
	v_dot2_f32_f16 v163, v0, v72, v163
	;;#ASMEND
	;;#ASMSTART
	v_dot2_f32_f16 v163, v1, v73, v163
	;;#ASMEND
	;;#ASMSTART
	v_dot2_f32_f16 v163, v2, v74, v163
	;;#ASMEND
	;;#ASMSTART
	v_dot2_f32_f16 v163, v3, v75, v163
	;;#ASMEND
	s_wait_dscnt 0x2
	;;#ASMSTART
	v_dot2_f32_f16 v161, v0, v76, v161
	;;#ASMEND
	;;#ASMSTART
	v_dot2_f32_f16 v161, v1, v77, v161
	;;#ASMEND
	;;#ASMSTART
	v_dot2_f32_f16 v161, v2, v78, v161
	;;#ASMEND
	;;#ASMSTART
	v_dot2_f32_f16 v161, v3, v79, v161
	;;#ASMEND
	s_wait_dscnt 0x1
	;;#ASMSTART
	v_dot2_f32_f16 v157, v0, v80, v157
	;;#ASMEND
	;;#ASMSTART
	v_dot2_f32_f16 v157, v1, v81, v157
	;;#ASMEND
	;;#ASMSTART
	v_dot2_f32_f16 v157, v2, v82, v157
	;;#ASMEND
	;;#ASMSTART
	v_dot2_f32_f16 v157, v3, v83, v157
	;;#ASMEND
	s_wait_dscnt 0x0
	;;#ASMSTART
	v_dot2_f32_f16 v155, v0, v84, v155
	;;#ASMEND
	;;#ASMSTART
	v_dot2_f32_f16 v155, v1, v85, v155
	;;#ASMEND
	;;#ASMSTART
	v_dot2_f32_f16 v155, v2, v86, v155
	;;#ASMEND
	;;#ASMSTART
	v_dot2_f32_f16 v155, v3, v87, v155
	;;#ASMEND
	;;#ASMSTART
	v_dot2_f32_f16 v114, v4, v8, v114
	;;#ASMEND
	;;#ASMSTART
	v_dot2_f32_f16 v114, v5, v9, v114
	;;#ASMEND
	;; [unrolled: 3-line block ×64, first 2 shown]
	ds_load_b128 v[0:3], v137 offset:112
	ds_load_b128 v[4:7], v137 offset:4720
	;; [unrolled: 1-line block ×18, first 2 shown]
	s_wait_dscnt 0xf
	;;#ASMSTART
	v_dot2_f32_f16 v152, v0, v8, v152
	;;#ASMEND
	;;#ASMSTART
	v_dot2_f32_f16 v152, v1, v9, v152
	;;#ASMEND
	;;#ASMSTART
	v_dot2_f32_f16 v152, v2, v10, v152
	;;#ASMEND
	;;#ASMSTART
	v_dot2_f32_f16 v152, v3, v11, v152
	;;#ASMEND
	s_wait_dscnt 0xe
	;;#ASMSTART
	v_dot2_f32_f16 v148, v0, v12, v148
	;;#ASMEND
	;;#ASMSTART
	v_dot2_f32_f16 v148, v1, v13, v148
	;;#ASMEND
	;;#ASMSTART
	v_dot2_f32_f16 v148, v2, v14, v148
	;;#ASMEND
	;;#ASMSTART
	v_dot2_f32_f16 v148, v3, v15, v148
	;;#ASMEND
	;; [unrolled: 13-line block ×16, first 2 shown]
	;;#ASMSTART
	v_dot2_f32_f16 v114, v4, v8, v114
	;;#ASMEND
	;;#ASMSTART
	v_dot2_f32_f16 v114, v5, v9, v114
	;;#ASMEND
	;;#ASMSTART
	v_dot2_f32_f16 v114, v6, v10, v114
	;;#ASMEND
	;;#ASMSTART
	v_dot2_f32_f16 v114, v7, v11, v114
	;;#ASMEND
	;;#ASMSTART
	v_dot2_f32_f16 v113, v4, v12, v113
	;;#ASMEND
	;;#ASMSTART
	v_dot2_f32_f16 v113, v5, v13, v113
	;;#ASMEND
	;;#ASMSTART
	v_dot2_f32_f16 v113, v6, v14, v113
	;;#ASMEND
	;;#ASMSTART
	v_dot2_f32_f16 v113, v7, v15, v113
	;;#ASMEND
	;;#ASMSTART
	v_dot2_f32_f16 v112, v4, v16, v112
	;;#ASMEND
	;;#ASMSTART
	v_dot2_f32_f16 v112, v5, v17, v112
	;;#ASMEND
	;;#ASMSTART
	v_dot2_f32_f16 v112, v6, v18, v112
	;;#ASMEND
	;;#ASMSTART
	v_dot2_f32_f16 v112, v7, v19, v112
	;;#ASMEND
	;;#ASMSTART
	v_dot2_f32_f16 v111, v4, v20, v111
	;;#ASMEND
	;;#ASMSTART
	v_dot2_f32_f16 v111, v5, v21, v111
	;;#ASMEND
	;;#ASMSTART
	v_dot2_f32_f16 v111, v6, v22, v111
	;;#ASMEND
	;;#ASMSTART
	v_dot2_f32_f16 v111, v7, v23, v111
	;;#ASMEND
	;;#ASMSTART
	v_dot2_f32_f16 v110, v4, v24, v110
	;;#ASMEND
	;;#ASMSTART
	v_dot2_f32_f16 v110, v5, v25, v110
	;;#ASMEND
	;;#ASMSTART
	v_dot2_f32_f16 v110, v6, v26, v110
	;;#ASMEND
	;;#ASMSTART
	v_dot2_f32_f16 v110, v7, v27, v110
	;;#ASMEND
	;;#ASMSTART
	v_dot2_f32_f16 v174, v4, v28, v174
	;;#ASMEND
	;;#ASMSTART
	v_dot2_f32_f16 v174, v5, v29, v174
	;;#ASMEND
	;;#ASMSTART
	v_dot2_f32_f16 v174, v6, v30, v174
	;;#ASMEND
	;;#ASMSTART
	v_dot2_f32_f16 v174, v7, v31, v174
	;;#ASMEND
	;;#ASMSTART
	v_dot2_f32_f16 v187, v4, v48, v187
	;;#ASMEND
	;;#ASMSTART
	v_dot2_f32_f16 v187, v5, v49, v187
	;;#ASMEND
	;;#ASMSTART
	v_dot2_f32_f16 v187, v6, v50, v187
	;;#ASMEND
	;;#ASMSTART
	v_dot2_f32_f16 v187, v7, v51, v187
	;;#ASMEND
	;;#ASMSTART
	v_dot2_f32_f16 v159, v4, v52, v159
	;;#ASMEND
	;;#ASMSTART
	v_dot2_f32_f16 v159, v5, v53, v159
	;;#ASMEND
	;;#ASMSTART
	v_dot2_f32_f16 v159, v6, v54, v159
	;;#ASMEND
	;;#ASMSTART
	v_dot2_f32_f16 v159, v7, v55, v159
	;;#ASMEND
	;;#ASMSTART
	v_dot2_f32_f16 v168, v4, v56, v168
	;;#ASMEND
	;;#ASMSTART
	v_dot2_f32_f16 v168, v5, v57, v168
	;;#ASMEND
	;;#ASMSTART
	v_dot2_f32_f16 v168, v6, v58, v168
	;;#ASMEND
	;;#ASMSTART
	v_dot2_f32_f16 v168, v7, v59, v168
	;;#ASMEND
	;;#ASMSTART
	v_dot2_f32_f16 v166, v4, v60, v166
	;;#ASMEND
	;;#ASMSTART
	v_dot2_f32_f16 v166, v5, v61, v166
	;;#ASMEND
	;;#ASMSTART
	v_dot2_f32_f16 v166, v6, v62, v166
	;;#ASMEND
	;;#ASMSTART
	v_dot2_f32_f16 v166, v7, v63, v166
	;;#ASMEND
	;;#ASMSTART
	v_dot2_f32_f16 v164, v4, v64, v164
	;;#ASMEND
	;;#ASMSTART
	v_dot2_f32_f16 v164, v5, v65, v164
	;;#ASMEND
	;;#ASMSTART
	v_dot2_f32_f16 v164, v6, v66, v164
	;;#ASMEND
	;;#ASMSTART
	v_dot2_f32_f16 v164, v7, v67, v164
	;;#ASMEND
	;;#ASMSTART
	v_dot2_f32_f16 v160, v4, v68, v160
	;;#ASMEND
	;;#ASMSTART
	v_dot2_f32_f16 v160, v5, v69, v160
	;;#ASMEND
	v_mul_lo_u32 v1, v158, s30
	;;#ASMSTART
	v_dot2_f32_f16 v160, v6, v70, v160
	;;#ASMEND
	;;#ASMSTART
	v_dot2_f32_f16 v160, v7, v71, v160
	;;#ASMEND
	;; [unrolled: 3-line block ×8, first 2 shown]
	v_add_nc_u32_e32 v0, s24, v136
	;;#ASMSTART
	v_dot2_f32_f16 v162, v6, v78, v162
	;;#ASMEND
	;;#ASMSTART
	v_dot2_f32_f16 v162, v7, v79, v162
	;;#ASMEND
	;;#ASMSTART
	v_dot2_f32_f16 v156, v4, v80, v156
	;;#ASMEND
	;;#ASMSTART
	v_dot2_f32_f16 v156, v5, v81, v156
	;;#ASMEND
	;;#ASMSTART
	v_dot2_f32_f16 v156, v6, v82, v156
	;;#ASMEND
	;;#ASMSTART
	v_dot2_f32_f16 v156, v7, v83, v156
	;;#ASMEND
	;;#ASMSTART
	v_dot2_f32_f16 v150, v4, v84, v150
	;;#ASMEND
	v_dual_mov_b32 v4, 0 :: v_dual_add_nc_u32 v1, v0, v1
	;;#ASMSTART
	v_dot2_f32_f16 v150, v5, v85, v150
	;;#ASMEND
	;;#ASMSTART
	v_dot2_f32_f16 v150, v6, v86, v150
	;;#ASMEND
	;; [unrolled: 3-line block ×3, first 2 shown]
	s_cbranch_vccnz .LBB52_10
; %bb.9:                                ;   in Loop: Header=BB52_8 Depth=1
	global_load_u16 v2, v1, s[36:37] scale_offset
	s_wait_loadcnt 0x0
	v_cvt_f32_f16_e32 v2, v2
	s_delay_alu instid0(VALU_DEP_1)
	v_mul_f32_e32 v4, v173, v2
.LBB52_10:                              ;   in Loop: Header=BB52_8 Depth=1
	v_dual_mov_b32 v3, 0 :: v_dual_mov_b32 v2, 0
	s_and_not1_b32 vcc_lo, exec_lo, s8
	s_cbranch_vccnz .LBB52_12
; %bb.11:                               ;   in Loop: Header=BB52_8 Depth=1
	global_load_u16 v1, v1, s[36:37] offset:64 scale_offset
	s_wait_loadcnt 0x0
	v_cvt_f32_f16_e32 v1, v1
	s_delay_alu instid0(VALU_DEP_1)
	v_mul_f32_e32 v2, v173, v1
.LBB52_12:                              ;   in Loop: Header=BB52_8 Depth=1
	s_delay_alu instid0(VALU_DEP_2) | instskip(NEXT) | instid1(VALU_DEP_1)
	v_dual_add_f32 v4, v152, v4 :: v_dual_bitop2_b32 v1, 16, v127 bitop3:0x14
	v_dual_add_f32 v2, v114, v2 :: v_dual_add_f32 v5, 0x40051340, v4
	s_delay_alu instid0(VALU_DEP_2) | instskip(NEXT) | instid1(VALU_DEP_2)
	v_cmp_gt_i32_e32 vcc_lo, 32, v1
	v_dual_add_f32 v6, 0x40051340, v2 :: v_dual_cndmask_b32 v1, v127, v1
	s_delay_alu instid0(VALU_DEP_1) | instskip(NEXT) | instid1(VALU_DEP_2)
	v_lshlrev_b32_e32 v17, 2, v1
	v_max3_num_f32 v1, v153, v5, v6
	v_xor_b32_e32 v6, 8, v127
	ds_bpermute_b32 v5, v17, v1
	v_cmp_gt_i32_e32 vcc_lo, 32, v6
	s_wait_dscnt 0x0
	v_dual_cndmask_b32 v6, v127, v6 :: v_dual_max_num_f32 v7, v5, v5
	s_delay_alu instid0(VALU_DEP_1) | instskip(SKIP_3) | instid1(VALU_DEP_1)
	v_dual_lshlrev_b32 v5, 2, v6 :: v_dual_max_num_f32 v1, v1, v7
	ds_bpermute_b32 v6, v5, v1
	s_wait_dscnt 0x0
	v_dual_max_num_f32 v6, v6, v6 :: v_dual_bitop2_b32 v7, 4, v127 bitop3:0x14
	v_cmp_gt_i32_e32 vcc_lo, 32, v7
	s_delay_alu instid0(VALU_DEP_2) | instskip(NEXT) | instid1(VALU_DEP_1)
	v_dual_max_num_f32 v1, v1, v6 :: v_dual_cndmask_b32 v7, v127, v7, vcc_lo
	v_lshlrev_b32_e32 v10, 2, v7
	v_xor_b32_e32 v7, 2, v127
	s_delay_alu instid0(VALU_DEP_1) | instskip(SKIP_4) | instid1(VALU_DEP_1)
	v_cmp_gt_i32_e32 vcc_lo, 32, v7
	v_cndmask_b32_e32 v7, v127, v7, vcc_lo
	ds_bpermute_b32 v6, v10, v1
	s_wait_dscnt 0x0
	v_dual_max_num_f32 v6, v6, v6 :: v_dual_lshlrev_b32 v11, 2, v7
	v_max_num_f32_e32 v1, v1, v6
	ds_bpermute_b32 v6, v11, v1
	s_wait_dscnt 0x0
	v_dual_max_num_f32 v6, v6, v6 :: v_dual_bitop2_b32 v7, 1, v127 bitop3:0x14
	s_delay_alu instid0(VALU_DEP_1) | instskip(NEXT) | instid1(VALU_DEP_2)
	v_cmp_gt_i32_e32 vcc_lo, 32, v7
	v_dual_max_num_f32 v22, v1, v6 :: v_dual_cndmask_b32 v7, v127, v7
	scratch_load_b32 v1, off, off offset:16 ; 4-byte Folded Reload
	s_and_not1_b32 vcc_lo, exec_lo, s8
	s_wait_loadcnt 0x0
	v_dual_lshlrev_b32 v16, 2, v7 :: v_dual_add_nc_u32 v1, v0, v1
	ds_bpermute_b32 v23, v16, v22
	s_cbranch_vccnz .LBB52_14
; %bb.13:                               ;   in Loop: Header=BB52_8 Depth=1
	global_load_u16 v3, v1, s[36:37] scale_offset
	s_wait_loadcnt 0x0
	v_cvt_f32_f16_e32 v3, v3
	s_delay_alu instid0(VALU_DEP_1)
	v_mul_f32_e32 v3, v173, v3
.LBB52_14:                              ;   in Loop: Header=BB52_8 Depth=1
	v_dual_mov_b32 v6, 0 :: v_dual_mov_b32 v7, 0
	s_and_not1_b32 vcc_lo, exec_lo, s8
	s_cbranch_vccnz .LBB52_16
; %bb.15:                               ;   in Loop: Header=BB52_8 Depth=1
	global_load_u16 v1, v1, s[36:37] offset:64 scale_offset
	s_wait_loadcnt 0x0
	v_cvt_f32_f16_e32 v1, v1
	s_delay_alu instid0(VALU_DEP_1)
	v_mul_f32_e32 v7, v173, v1
.LBB52_16:                              ;   in Loop: Header=BB52_8 Depth=1
	s_delay_alu instid0(VALU_DEP_2) | instskip(NEXT) | instid1(VALU_DEP_2)
	v_add_f32_e32 v1, v148, v3
	v_add_f32_e32 v3, v113, v7
	s_and_not1_b32 vcc_lo, exec_lo, s8
	s_delay_alu instid0(VALU_DEP_1) | instskip(NEXT) | instid1(VALU_DEP_1)
	v_dual_add_f32 v8, 0x40051340, v3 :: v_dual_add_f32 v7, 0x40051340, v1
	v_max3_num_f32 v7, v151, v7, v8
	ds_bpermute_b32 v8, v17, v7
	s_wait_dscnt 0x0
	v_max_num_f32_e32 v8, v8, v8
	s_delay_alu instid0(VALU_DEP_1) | instskip(SKIP_3) | instid1(VALU_DEP_1)
	v_max_num_f32_e32 v7, v7, v8
	ds_bpermute_b32 v8, v5, v7
	s_wait_dscnt 0x0
	v_max_num_f32_e32 v8, v8, v8
	v_max_num_f32_e32 v7, v7, v8
	ds_bpermute_b32 v8, v10, v7
	s_wait_dscnt 0x0
	v_max_num_f32_e32 v8, v8, v8
	s_delay_alu instid0(VALU_DEP_1) | instskip(SKIP_3) | instid1(VALU_DEP_1)
	v_max_num_f32_e32 v7, v7, v8
	ds_bpermute_b32 v8, v11, v7
	s_wait_dscnt 0x0
	v_max_num_f32_e32 v8, v8, v8
	v_max_num_f32_e32 v28, v7, v8
	scratch_load_b32 v7, off, off offset:20 ; 4-byte Folded Reload
	s_wait_loadcnt 0x0
	v_add_nc_u32_e32 v8, v0, v7
	ds_bpermute_b32 v29, v16, v28
	s_cbranch_vccnz .LBB52_18
; %bb.17:                               ;   in Loop: Header=BB52_8 Depth=1
	global_load_u16 v6, v8, s[36:37] scale_offset
	s_wait_loadcnt 0x0
	v_cvt_f32_f16_e32 v6, v6
	s_delay_alu instid0(VALU_DEP_1)
	v_mul_f32_e32 v6, v173, v6
.LBB52_18:                              ;   in Loop: Header=BB52_8 Depth=1
	v_dual_mov_b32 v7, 0 :: v_dual_mov_b32 v9, 0
	s_and_not1_b32 vcc_lo, exec_lo, s8
	s_cbranch_vccnz .LBB52_20
; %bb.19:                               ;   in Loop: Header=BB52_8 Depth=1
	global_load_u16 v8, v8, s[36:37] offset:64 scale_offset
	s_wait_loadcnt 0x0
	v_cvt_f32_f16_e32 v8, v8
	s_delay_alu instid0(VALU_DEP_1)
	v_mul_f32_e32 v9, v173, v8
.LBB52_20:                              ;   in Loop: Header=BB52_8 Depth=1
	s_delay_alu instid0(VALU_DEP_1) | instskip(SKIP_1) | instid1(VALU_DEP_1)
	v_dual_add_f32 v6, v146, v6 :: v_dual_add_f32 v8, v112, v9
	s_and_not1_b32 vcc_lo, exec_lo, s8
	v_dual_add_f32 v9, 0x40051340, v6 :: v_dual_add_f32 v12, 0x40051340, v8
	s_delay_alu instid0(VALU_DEP_1) | instskip(SKIP_3) | instid1(VALU_DEP_1)
	v_max3_num_f32 v9, v149, v9, v12
	ds_bpermute_b32 v12, v17, v9
	s_wait_dscnt 0x0
	v_max_num_f32_e32 v12, v12, v12
	v_max_num_f32_e32 v9, v9, v12
	ds_bpermute_b32 v12, v5, v9
	s_wait_dscnt 0x0
	v_max_num_f32_e32 v12, v12, v12
	s_delay_alu instid0(VALU_DEP_1) | instskip(SKIP_3) | instid1(VALU_DEP_1)
	v_max_num_f32_e32 v9, v9, v12
	ds_bpermute_b32 v12, v10, v9
	s_wait_dscnt 0x0
	v_max_num_f32_e32 v12, v12, v12
	v_max_num_f32_e32 v9, v9, v12
	ds_bpermute_b32 v12, v11, v9
	s_wait_dscnt 0x0
	v_max_num_f32_e32 v12, v12, v12
	s_delay_alu instid0(VALU_DEP_1)
	v_max_num_f32_e32 v48, v9, v12
	scratch_load_b32 v9, off, off offset:24 ; 4-byte Folded Reload
	s_wait_loadcnt 0x0
	v_add_nc_u32_e32 v9, v0, v9
	ds_bpermute_b32 v49, v16, v48
	s_cbranch_vccnz .LBB52_22
; %bb.21:                               ;   in Loop: Header=BB52_8 Depth=1
	global_load_u16 v7, v9, s[36:37] scale_offset
	s_wait_loadcnt 0x0
	v_cvt_f32_f16_e32 v7, v7
	s_delay_alu instid0(VALU_DEP_1)
	v_mul_f32_e32 v7, v173, v7
.LBB52_22:                              ;   in Loop: Header=BB52_8 Depth=1
	v_dual_mov_b32 v12, 0 :: v_dual_mov_b32 v13, 0
	s_and_not1_b32 vcc_lo, exec_lo, s8
	s_cbranch_vccnz .LBB52_24
; %bb.23:                               ;   in Loop: Header=BB52_8 Depth=1
	global_load_u16 v9, v9, s[36:37] offset:64 scale_offset
	s_wait_loadcnt 0x0
	v_cvt_f32_f16_e32 v9, v9
	s_delay_alu instid0(VALU_DEP_1)
	v_mul_f32_e32 v13, v173, v9
.LBB52_24:                              ;   in Loop: Header=BB52_8 Depth=1
	s_delay_alu instid0(VALU_DEP_1) | instskip(SKIP_1) | instid1(VALU_DEP_1)
	v_dual_add_f32 v7, v144, v7 :: v_dual_add_f32 v9, v111, v13
	s_and_not1_b32 vcc_lo, exec_lo, s8
	v_dual_add_f32 v13, 0x40051340, v7 :: v_dual_add_f32 v14, 0x40051340, v9
	s_delay_alu instid0(VALU_DEP_1) | instskip(SKIP_3) | instid1(VALU_DEP_1)
	v_max3_num_f32 v13, v147, v13, v14
	ds_bpermute_b32 v14, v17, v13
	s_wait_dscnt 0x0
	v_max_num_f32_e32 v14, v14, v14
	v_max_num_f32_e32 v13, v13, v14
	ds_bpermute_b32 v14, v5, v13
	s_wait_dscnt 0x0
	v_max_num_f32_e32 v14, v14, v14
	s_delay_alu instid0(VALU_DEP_1) | instskip(SKIP_3) | instid1(VALU_DEP_1)
	v_max_num_f32_e32 v13, v13, v14
	ds_bpermute_b32 v14, v10, v13
	s_wait_dscnt 0x0
	v_max_num_f32_e32 v14, v14, v14
	v_max_num_f32_e32 v13, v13, v14
	ds_bpermute_b32 v14, v11, v13
	s_wait_dscnt 0x0
	v_max_num_f32_e32 v14, v14, v14
	s_delay_alu instid0(VALU_DEP_1)
	v_max_num_f32_e32 v50, v13, v14
	scratch_load_b32 v13, off, off offset:28 ; 4-byte Folded Reload
	s_wait_loadcnt 0x0
	v_add_nc_u32_e32 v14, v0, v13
	ds_bpermute_b32 v51, v16, v50
	s_cbranch_vccnz .LBB52_26
; %bb.25:                               ;   in Loop: Header=BB52_8 Depth=1
	global_load_u16 v12, v14, s[36:37] scale_offset
	s_wait_loadcnt 0x0
	v_cvt_f32_f16_e32 v12, v12
	s_delay_alu instid0(VALU_DEP_1)
	v_mul_f32_e32 v12, v173, v12
.LBB52_26:                              ;   in Loop: Header=BB52_8 Depth=1
	v_dual_mov_b32 v13, 0 :: v_dual_mov_b32 v15, 0
	s_and_not1_b32 vcc_lo, exec_lo, s8
	s_cbranch_vccnz .LBB52_28
; %bb.27:                               ;   in Loop: Header=BB52_8 Depth=1
	global_load_u16 v14, v14, s[36:37] offset:64 scale_offset
	s_wait_loadcnt 0x0
	v_cvt_f32_f16_e32 v14, v14
	s_delay_alu instid0(VALU_DEP_1)
	v_mul_f32_e32 v15, v173, v14
.LBB52_28:                              ;   in Loop: Header=BB52_8 Depth=1
	s_delay_alu instid0(VALU_DEP_2) | instskip(NEXT) | instid1(VALU_DEP_2)
	v_add_f32_e32 v12, v142, v12
	v_add_f32_e32 v14, v110, v15
	s_and_not1_b32 vcc_lo, exec_lo, s8
	s_delay_alu instid0(VALU_DEP_1) | instskip(NEXT) | instid1(VALU_DEP_1)
	v_dual_add_f32 v15, 0x40051340, v12 :: v_dual_add_f32 v18, 0x40051340, v14
	v_max3_num_f32 v15, v145, v15, v18
	ds_bpermute_b32 v18, v17, v15
	s_wait_dscnt 0x0
	v_max_num_f32_e32 v18, v18, v18
	s_delay_alu instid0(VALU_DEP_1) | instskip(SKIP_3) | instid1(VALU_DEP_1)
	v_max_num_f32_e32 v15, v15, v18
	ds_bpermute_b32 v18, v5, v15
	s_wait_dscnt 0x0
	v_max_num_f32_e32 v18, v18, v18
	v_max_num_f32_e32 v15, v15, v18
	ds_bpermute_b32 v18, v10, v15
	s_wait_dscnt 0x0
	v_max_num_f32_e32 v18, v18, v18
	s_delay_alu instid0(VALU_DEP_1) | instskip(SKIP_3) | instid1(VALU_DEP_1)
	v_max_num_f32_e32 v15, v15, v18
	ds_bpermute_b32 v18, v11, v15
	s_wait_dscnt 0x0
	v_max_num_f32_e32 v18, v18, v18
	v_max_num_f32_e32 v52, v15, v18
	scratch_load_b32 v15, off, off offset:32 ; 4-byte Folded Reload
	ds_bpermute_b32 v63, v16, v52
	s_wait_loadcnt 0x0
	v_add_nc_u32_e32 v15, v0, v15
	s_cbranch_vccnz .LBB52_30
; %bb.29:                               ;   in Loop: Header=BB52_8 Depth=1
	global_load_u16 v13, v15, s[36:37] scale_offset
	s_wait_loadcnt 0x0
	v_cvt_f32_f16_e32 v13, v13
	s_delay_alu instid0(VALU_DEP_1)
	v_mul_f32_e32 v13, v173, v13
.LBB52_30:                              ;   in Loop: Header=BB52_8 Depth=1
	v_dual_mov_b32 v18, 0 :: v_dual_mov_b32 v19, 0
	s_and_not1_b32 vcc_lo, exec_lo, s8
	s_cbranch_vccnz .LBB52_32
; %bb.31:                               ;   in Loop: Header=BB52_8 Depth=1
	global_load_u16 v15, v15, s[36:37] offset:64 scale_offset
	s_wait_loadcnt 0x0
	v_cvt_f32_f16_e32 v15, v15
	s_delay_alu instid0(VALU_DEP_1)
	v_mul_f32_e32 v19, v173, v15
.LBB52_32:                              ;   in Loop: Header=BB52_8 Depth=1
	s_delay_alu instid0(VALU_DEP_1) | instskip(SKIP_2) | instid1(VALU_DEP_1)
	v_add_f32_e32 v15, v174, v19
	v_add_f32_e32 v13, v106, v13
	s_and_not1_b32 vcc_lo, exec_lo, s8
	v_dual_add_f32 v20, 0x40051340, v15 :: v_dual_add_f32 v19, 0x40051340, v13
	s_delay_alu instid0(VALU_DEP_1) | instskip(SKIP_3) | instid1(VALU_DEP_1)
	v_max3_num_f32 v19, v143, v19, v20
	ds_bpermute_b32 v20, v17, v19
	s_wait_dscnt 0x0
	v_max_num_f32_e32 v20, v20, v20
	v_max_num_f32_e32 v19, v19, v20
	ds_bpermute_b32 v20, v5, v19
	s_wait_dscnt 0x0
	v_max_num_f32_e32 v20, v20, v20
	s_delay_alu instid0(VALU_DEP_1) | instskip(SKIP_3) | instid1(VALU_DEP_1)
	v_max_num_f32_e32 v19, v19, v20
	ds_bpermute_b32 v20, v10, v19
	s_wait_dscnt 0x0
	v_max_num_f32_e32 v20, v20, v20
	v_max_num_f32_e32 v19, v19, v20
	ds_bpermute_b32 v20, v11, v19
	s_wait_dscnt 0x0
	v_max_num_f32_e32 v20, v20, v20
	s_delay_alu instid0(VALU_DEP_1)
	v_dual_max_num_f32 v53, v19, v20 :: v_dual_add_nc_u32 v20, v0, v115
	ds_bpermute_b32 v64, v16, v53
	s_cbranch_vccnz .LBB52_34
; %bb.33:                               ;   in Loop: Header=BB52_8 Depth=1
	global_load_u16 v18, v20, s[36:37] scale_offset
	s_wait_loadcnt 0x0
	v_cvt_f32_f16_e32 v18, v18
	s_delay_alu instid0(VALU_DEP_1)
	v_mul_f32_e32 v18, v173, v18
.LBB52_34:                              ;   in Loop: Header=BB52_8 Depth=1
	v_dual_mov_b32 v19, 0 :: v_dual_mov_b32 v21, 0
	s_and_not1_b32 vcc_lo, exec_lo, s8
	s_cbranch_vccnz .LBB52_36
; %bb.35:                               ;   in Loop: Header=BB52_8 Depth=1
	global_load_u16 v20, v20, s[36:37] offset:64 scale_offset
	s_wait_loadcnt 0x0
	v_cvt_f32_f16_e32 v20, v20
	s_delay_alu instid0(VALU_DEP_1)
	v_mul_f32_e32 v21, v173, v20
.LBB52_36:                              ;   in Loop: Header=BB52_8 Depth=1
	s_delay_alu instid0(VALU_DEP_2) | instskip(NEXT) | instid1(VALU_DEP_2)
	v_add_f32_e32 v18, v107, v18
	v_add_f32_e32 v20, v187, v21
	s_and_not1_b32 vcc_lo, exec_lo, s8
	s_delay_alu instid0(VALU_DEP_1) | instskip(NEXT) | instid1(VALU_DEP_1)
	v_dual_add_f32 v21, 0x40051340, v18 :: v_dual_add_f32 v24, 0x40051340, v20
	v_max3_num_f32 v21, v141, v21, v24
	ds_bpermute_b32 v24, v17, v21
	s_wait_dscnt 0x0
	v_max_num_f32_e32 v24, v24, v24
	s_delay_alu instid0(VALU_DEP_1) | instskip(SKIP_3) | instid1(VALU_DEP_1)
	v_max_num_f32_e32 v21, v21, v24
	ds_bpermute_b32 v24, v5, v21
	s_wait_dscnt 0x0
	v_max_num_f32_e32 v24, v24, v24
	v_max_num_f32_e32 v21, v21, v24
	ds_bpermute_b32 v24, v10, v21
	s_wait_dscnt 0x0
	v_max_num_f32_e32 v24, v24, v24
	s_delay_alu instid0(VALU_DEP_1) | instskip(SKIP_3) | instid1(VALU_DEP_1)
	v_max_num_f32_e32 v21, v21, v24
	ds_bpermute_b32 v24, v11, v21
	s_wait_dscnt 0x0
	v_max_num_f32_e32 v24, v24, v24
	v_max_num_f32_e32 v54, v21, v24
	v_add_nc_u32_e32 v21, v0, v116
	ds_bpermute_b32 v66, v16, v54
	s_cbranch_vccnz .LBB52_38
; %bb.37:                               ;   in Loop: Header=BB52_8 Depth=1
	global_load_u16 v19, v21, s[36:37] scale_offset
	s_wait_loadcnt 0x0
	v_cvt_f32_f16_e32 v19, v19
	s_delay_alu instid0(VALU_DEP_1)
	v_mul_f32_e32 v19, v173, v19
.LBB52_38:                              ;   in Loop: Header=BB52_8 Depth=1
	v_dual_mov_b32 v24, 0 :: v_dual_mov_b32 v25, 0
	s_and_not1_b32 vcc_lo, exec_lo, s8
	s_cbranch_vccnz .LBB52_40
; %bb.39:                               ;   in Loop: Header=BB52_8 Depth=1
	global_load_u16 v21, v21, s[36:37] offset:64 scale_offset
	s_wait_loadcnt 0x0
	v_cvt_f32_f16_e32 v21, v21
	s_delay_alu instid0(VALU_DEP_1)
	v_mul_f32_e32 v25, v173, v21
.LBB52_40:                              ;   in Loop: Header=BB52_8 Depth=1
	s_delay_alu instid0(VALU_DEP_1) | instskip(SKIP_2) | instid1(VALU_DEP_1)
	v_add_f32_e32 v21, v159, v25
	v_add_f32_e32 v19, v171, v19
	s_and_not1_b32 vcc_lo, exec_lo, s8
	v_dual_add_f32 v26, 0x40051340, v21 :: v_dual_add_f32 v25, 0x40051340, v19
	s_delay_alu instid0(VALU_DEP_1) | instskip(SKIP_3) | instid1(VALU_DEP_1)
	v_max3_num_f32 v25, v140, v25, v26
	ds_bpermute_b32 v26, v17, v25
	s_wait_dscnt 0x0
	v_max_num_f32_e32 v26, v26, v26
	v_max_num_f32_e32 v25, v25, v26
	ds_bpermute_b32 v26, v5, v25
	s_wait_dscnt 0x0
	v_max_num_f32_e32 v26, v26, v26
	s_delay_alu instid0(VALU_DEP_1) | instskip(SKIP_3) | instid1(VALU_DEP_1)
	v_max_num_f32_e32 v25, v25, v26
	ds_bpermute_b32 v26, v10, v25
	s_wait_dscnt 0x0
	v_max_num_f32_e32 v26, v26, v26
	v_max_num_f32_e32 v25, v25, v26
	ds_bpermute_b32 v26, v11, v25
	s_wait_dscnt 0x0
	v_max_num_f32_e32 v26, v26, v26
	s_delay_alu instid0(VALU_DEP_1)
	v_dual_max_num_f32 v55, v25, v26 :: v_dual_add_nc_u32 v26, v0, v117
	ds_bpermute_b32 v68, v16, v55
	s_cbranch_vccnz .LBB52_42
; %bb.41:                               ;   in Loop: Header=BB52_8 Depth=1
	global_load_u16 v24, v26, s[36:37] scale_offset
	s_wait_loadcnt 0x0
	v_cvt_f32_f16_e32 v24, v24
	s_delay_alu instid0(VALU_DEP_1)
	v_mul_f32_e32 v24, v173, v24
.LBB52_42:                              ;   in Loop: Header=BB52_8 Depth=1
	v_dual_mov_b32 v25, 0 :: v_dual_mov_b32 v27, 0
	s_and_not1_b32 vcc_lo, exec_lo, s8
	s_cbranch_vccnz .LBB52_44
; %bb.43:                               ;   in Loop: Header=BB52_8 Depth=1
	global_load_u16 v26, v26, s[36:37] offset:64 scale_offset
	s_wait_loadcnt 0x0
	v_cvt_f32_f16_e32 v26, v26
	s_delay_alu instid0(VALU_DEP_1)
	v_mul_f32_e32 v27, v173, v26
.LBB52_44:                              ;   in Loop: Header=BB52_8 Depth=1
	s_delay_alu instid0(VALU_DEP_1) | instskip(SKIP_1) | instid1(VALU_DEP_1)
	v_dual_add_f32 v24, v170, v24 :: v_dual_add_f32 v26, v168, v27
	s_and_not1_b32 vcc_lo, exec_lo, s8
	v_dual_add_f32 v27, 0x40051340, v24 :: v_dual_add_f32 v30, 0x40051340, v26
	s_delay_alu instid0(VALU_DEP_1) | instskip(SKIP_3) | instid1(VALU_DEP_1)
	v_max3_num_f32 v27, v135, v27, v30
	ds_bpermute_b32 v30, v17, v27
	s_wait_dscnt 0x0
	v_max_num_f32_e32 v30, v30, v30
	v_max_num_f32_e32 v27, v27, v30
	ds_bpermute_b32 v30, v5, v27
	s_wait_dscnt 0x0
	v_max_num_f32_e32 v30, v30, v30
	s_delay_alu instid0(VALU_DEP_1) | instskip(SKIP_3) | instid1(VALU_DEP_1)
	v_max_num_f32_e32 v27, v27, v30
	ds_bpermute_b32 v30, v10, v27
	s_wait_dscnt 0x0
	v_max_num_f32_e32 v30, v30, v30
	v_max_num_f32_e32 v27, v27, v30
	ds_bpermute_b32 v30, v11, v27
	s_wait_dscnt 0x0
	v_max_num_f32_e32 v30, v30, v30
	s_delay_alu instid0(VALU_DEP_1)
	v_max_num_f32_e32 v56, v27, v30
	v_add_nc_u32_e32 v27, v0, v118
	ds_bpermute_b32 v69, v16, v56
	s_cbranch_vccnz .LBB52_46
; %bb.45:                               ;   in Loop: Header=BB52_8 Depth=1
	global_load_u16 v25, v27, s[36:37] scale_offset
	s_wait_loadcnt 0x0
	v_cvt_f32_f16_e32 v25, v25
	s_delay_alu instid0(VALU_DEP_1)
	v_mul_f32_e32 v25, v173, v25
.LBB52_46:                              ;   in Loop: Header=BB52_8 Depth=1
	v_dual_mov_b32 v30, 0 :: v_dual_mov_b32 v31, 0
	s_and_not1_b32 vcc_lo, exec_lo, s8
	s_cbranch_vccnz .LBB52_48
; %bb.47:                               ;   in Loop: Header=BB52_8 Depth=1
	global_load_u16 v27, v27, s[36:37] offset:64 scale_offset
	s_wait_loadcnt 0x0
	v_cvt_f32_f16_e32 v27, v27
	s_delay_alu instid0(VALU_DEP_1)
	v_mul_f32_e32 v31, v173, v27
.LBB52_48:                              ;   in Loop: Header=BB52_8 Depth=1
	s_delay_alu instid0(VALU_DEP_1) | instskip(SKIP_1) | instid1(VALU_DEP_1)
	v_dual_add_f32 v25, v169, v25 :: v_dual_add_f32 v27, v166, v31
	s_and_not1_b32 vcc_lo, exec_lo, s8
	v_add_f32_e32 v31, 0x40051340, v25
	s_delay_alu instid0(VALU_DEP_2) | instskip(NEXT) | instid1(VALU_DEP_1)
	v_add_f32_e32 v57, 0x40051340, v27
	v_max3_num_f32 v31, v134, v31, v57
	ds_bpermute_b32 v57, v17, v31
	s_wait_dscnt 0x0
	v_max_num_f32_e32 v57, v57, v57
	s_delay_alu instid0(VALU_DEP_1) | instskip(SKIP_3) | instid1(VALU_DEP_1)
	v_max_num_f32_e32 v31, v31, v57
	ds_bpermute_b32 v57, v5, v31
	s_wait_dscnt 0x0
	v_max_num_f32_e32 v57, v57, v57
	v_max_num_f32_e32 v31, v31, v57
	ds_bpermute_b32 v57, v10, v31
	s_wait_dscnt 0x0
	v_max_num_f32_e32 v57, v57, v57
	s_delay_alu instid0(VALU_DEP_1) | instskip(SKIP_3) | instid1(VALU_DEP_1)
	v_max_num_f32_e32 v31, v31, v57
	ds_bpermute_b32 v57, v11, v31
	s_wait_dscnt 0x0
	v_max_num_f32_e32 v57, v57, v57
	v_dual_max_num_f32 v57, v31, v57 :: v_dual_add_nc_u32 v31, v0, v119
	ds_bpermute_b32 v70, v16, v57
	s_cbranch_vccnz .LBB52_50
; %bb.49:                               ;   in Loop: Header=BB52_8 Depth=1
	global_load_u16 v30, v31, s[36:37] scale_offset
	s_wait_loadcnt 0x0
	v_cvt_f32_f16_e32 v30, v30
	s_delay_alu instid0(VALU_DEP_1)
	v_mul_f32_e32 v30, v173, v30
.LBB52_50:                              ;   in Loop: Header=BB52_8 Depth=1
	v_dual_mov_b32 v59, 0 :: v_dual_mov_b32 v58, 0
	s_and_not1_b32 vcc_lo, exec_lo, s8
	s_cbranch_vccnz .LBB52_52
; %bb.51:                               ;   in Loop: Header=BB52_8 Depth=1
	global_load_u16 v31, v31, s[36:37] offset:64 scale_offset
	s_wait_loadcnt 0x0
	v_cvt_f32_f16_e32 v31, v31
	s_delay_alu instid0(VALU_DEP_1)
	v_mul_f32_e32 v58, v173, v31
.LBB52_52:                              ;   in Loop: Header=BB52_8 Depth=1
	s_delay_alu instid0(VALU_DEP_2) | instskip(NEXT) | instid1(VALU_DEP_2)
	v_add_f32_e32 v30, v167, v30
	v_add_f32_e32 v31, v164, v58
	s_and_not1_b32 vcc_lo, exec_lo, s8
	s_delay_alu instid0(VALU_DEP_2) | instskip(NEXT) | instid1(VALU_DEP_2)
	v_dual_add_f32 v58, 0x40051340, v30 :: v_dual_add_nc_u32 v61, v0, v120
	v_add_f32_e32 v60, 0x40051340, v31
	s_delay_alu instid0(VALU_DEP_1) | instskip(SKIP_3) | instid1(VALU_DEP_1)
	v_max3_num_f32 v58, v133, v58, v60
	ds_bpermute_b32 v60, v17, v58
	s_wait_dscnt 0x0
	v_max_num_f32_e32 v60, v60, v60
	v_max_num_f32_e32 v58, v58, v60
	ds_bpermute_b32 v60, v5, v58
	s_wait_dscnt 0x0
	v_max_num_f32_e32 v60, v60, v60
	s_delay_alu instid0(VALU_DEP_1) | instskip(SKIP_3) | instid1(VALU_DEP_1)
	v_max_num_f32_e32 v58, v58, v60
	ds_bpermute_b32 v60, v10, v58
	s_wait_dscnt 0x0
	v_max_num_f32_e32 v60, v60, v60
	v_max_num_f32_e32 v58, v58, v60
	ds_bpermute_b32 v60, v11, v58
	s_wait_dscnt 0x0
	v_max_num_f32_e32 v60, v60, v60
	s_delay_alu instid0(VALU_DEP_1)
	v_max_num_f32_e32 v58, v58, v60
	ds_bpermute_b32 v71, v16, v58
	s_cbranch_vccnz .LBB52_54
; %bb.53:                               ;   in Loop: Header=BB52_8 Depth=1
	global_load_u16 v59, v61, s[36:37] scale_offset
	s_wait_loadcnt 0x0
	v_cvt_f32_f16_e32 v59, v59
	s_delay_alu instid0(VALU_DEP_1)
	v_mul_f32_e32 v59, v173, v59
.LBB52_54:                              ;   in Loop: Header=BB52_8 Depth=1
	v_dual_mov_b32 v60, 0 :: v_dual_mov_b32 v62, 0
	s_and_not1_b32 vcc_lo, exec_lo, s8
	s_cbranch_vccnz .LBB52_56
; %bb.55:                               ;   in Loop: Header=BB52_8 Depth=1
	global_load_u16 v61, v61, s[36:37] offset:64 scale_offset
	s_wait_loadcnt 0x0
	v_cvt_f32_f16_e32 v61, v61
	s_delay_alu instid0(VALU_DEP_1)
	v_mul_f32_e32 v62, v173, v61
.LBB52_56:                              ;   in Loop: Header=BB52_8 Depth=1
	s_delay_alu instid0(VALU_DEP_1) | instskip(SKIP_1) | instid1(VALU_DEP_1)
	v_dual_add_f32 v67, v165, v59 :: v_dual_add_f32 v65, v160, v62
	s_and_not1_b32 vcc_lo, exec_lo, s8
	v_dual_add_f32 v59, 0x40051340, v67 :: v_dual_add_nc_u32 v62, v0, v121
	s_delay_alu instid0(VALU_DEP_2) | instskip(NEXT) | instid1(VALU_DEP_1)
	v_add_f32_e32 v61, 0x40051340, v65
	v_max3_num_f32 v59, v132, v59, v61
	ds_bpermute_b32 v61, v17, v59
	s_wait_dscnt 0x0
	v_max_num_f32_e32 v61, v61, v61
	s_delay_alu instid0(VALU_DEP_1) | instskip(SKIP_3) | instid1(VALU_DEP_1)
	v_max_num_f32_e32 v59, v59, v61
	ds_bpermute_b32 v61, v5, v59
	s_wait_dscnt 0x0
	v_max_num_f32_e32 v61, v61, v61
	v_max_num_f32_e32 v59, v59, v61
	ds_bpermute_b32 v61, v10, v59
	s_wait_dscnt 0x0
	v_max_num_f32_e32 v61, v61, v61
	s_delay_alu instid0(VALU_DEP_1) | instskip(SKIP_3) | instid1(VALU_DEP_1)
	v_max_num_f32_e32 v59, v59, v61
	ds_bpermute_b32 v61, v11, v59
	s_wait_dscnt 0x0
	v_max_num_f32_e32 v61, v61, v61
	v_max_num_f32_e32 v59, v59, v61
	ds_bpermute_b32 v72, v16, v59
	s_cbranch_vccnz .LBB52_58
; %bb.57:                               ;   in Loop: Header=BB52_8 Depth=1
	global_load_u16 v60, v62, s[36:37] scale_offset
	s_wait_loadcnt 0x0
	v_cvt_f32_f16_e32 v60, v60
	s_delay_alu instid0(VALU_DEP_1)
	v_mul_f32_e32 v60, v173, v60
.LBB52_58:                              ;   in Loop: Header=BB52_8 Depth=1
	v_dual_mov_b32 v61, 0 :: v_dual_mov_b32 v73, 0
	s_and_not1_b32 vcc_lo, exec_lo, s8
	s_cbranch_vccnz .LBB52_60
; %bb.59:                               ;   in Loop: Header=BB52_8 Depth=1
	global_load_u16 v62, v62, s[36:37] offset:64 scale_offset
	s_wait_loadcnt 0x0
	v_cvt_f32_f16_e32 v62, v62
	s_delay_alu instid0(VALU_DEP_1)
	v_mul_f32_e32 v73, v173, v62
.LBB52_60:                              ;   in Loop: Header=BB52_8 Depth=1
	s_delay_alu instid0(VALU_DEP_1) | instskip(SKIP_2) | instid1(VALU_DEP_2)
	v_dual_add_f32 v78, v163, v60 :: v_dual_add_f32 v75, v154, v73
	v_add_nc_u32_e32 v74, v0, v122
	s_and_not1_b32 vcc_lo, exec_lo, s8
	v_add_f32_e32 v60, 0x40051340, v78
	s_delay_alu instid0(VALU_DEP_3) | instskip(NEXT) | instid1(VALU_DEP_1)
	v_add_f32_e32 v62, 0x40051340, v75
	v_max3_num_f32 v60, v131, v60, v62
	ds_bpermute_b32 v62, v17, v60
	s_wait_dscnt 0x0
	v_max_num_f32_e32 v62, v62, v62
	s_delay_alu instid0(VALU_DEP_1) | instskip(SKIP_3) | instid1(VALU_DEP_1)
	v_max_num_f32_e32 v60, v60, v62
	ds_bpermute_b32 v62, v5, v60
	s_wait_dscnt 0x0
	v_max_num_f32_e32 v62, v62, v62
	v_max_num_f32_e32 v60, v60, v62
	ds_bpermute_b32 v62, v10, v60
	s_wait_dscnt 0x0
	v_max_num_f32_e32 v62, v62, v62
	s_delay_alu instid0(VALU_DEP_1) | instskip(SKIP_3) | instid1(VALU_DEP_1)
	v_max_num_f32_e32 v60, v60, v62
	ds_bpermute_b32 v62, v11, v60
	s_wait_dscnt 0x0
	v_max_num_f32_e32 v62, v62, v62
	v_max_num_f32_e32 v60, v60, v62
	ds_bpermute_b32 v73, v16, v60
	s_cbranch_vccnz .LBB52_62
; %bb.61:                               ;   in Loop: Header=BB52_8 Depth=1
	global_load_u16 v61, v74, s[36:37] scale_offset
	s_wait_loadcnt 0x0
	v_cvt_f32_f16_e32 v61, v61
	s_delay_alu instid0(VALU_DEP_1)
	v_mul_f32_e32 v61, v173, v61
.LBB52_62:                              ;   in Loop: Header=BB52_8 Depth=1
	v_dual_mov_b32 v62, 0 :: v_dual_mov_b32 v76, 0
	s_and_not1_b32 vcc_lo, exec_lo, s8
	s_cbranch_vccnz .LBB52_64
; %bb.63:                               ;   in Loop: Header=BB52_8 Depth=1
	global_load_u16 v74, v74, s[36:37] offset:64 scale_offset
	s_wait_loadcnt 0x0
	v_cvt_f32_f16_e32 v74, v74
	s_delay_alu instid0(VALU_DEP_1)
	v_mul_f32_e32 v76, v173, v74
.LBB52_64:                              ;   in Loop: Header=BB52_8 Depth=1
	s_delay_alu instid0(VALU_DEP_1) | instskip(SKIP_2) | instid1(VALU_DEP_2)
	v_dual_add_f32 v79, v161, v61 :: v_dual_add_f32 v76, v162, v76
	s_and_not1_b32 vcc_lo, exec_lo, s8
	v_add_nc_u32_e32 v77, v0, v123
	v_dual_add_f32 v61, 0x40051340, v79 :: v_dual_add_f32 v74, 0x40051340, v76
	s_delay_alu instid0(VALU_DEP_1) | instskip(SKIP_3) | instid1(VALU_DEP_1)
	v_max3_num_f32 v61, v130, v61, v74
	ds_bpermute_b32 v74, v17, v61
	s_wait_dscnt 0x0
	v_max_num_f32_e32 v74, v74, v74
	v_max_num_f32_e32 v61, v61, v74
	ds_bpermute_b32 v74, v5, v61
	s_wait_dscnt 0x0
	v_max_num_f32_e32 v74, v74, v74
	s_delay_alu instid0(VALU_DEP_1) | instskip(SKIP_3) | instid1(VALU_DEP_1)
	v_max_num_f32_e32 v61, v61, v74
	ds_bpermute_b32 v74, v10, v61
	s_wait_dscnt 0x0
	v_max_num_f32_e32 v74, v74, v74
	v_max_num_f32_e32 v61, v61, v74
	ds_bpermute_b32 v74, v11, v61
	s_wait_dscnt 0x0
	v_max_num_f32_e32 v74, v74, v74
	s_delay_alu instid0(VALU_DEP_1)
	v_max_num_f32_e32 v61, v61, v74
	ds_bpermute_b32 v74, v16, v61
	s_cbranch_vccnz .LBB52_66
; %bb.65:                               ;   in Loop: Header=BB52_8 Depth=1
	global_load_u16 v62, v77, s[36:37] scale_offset
	s_wait_loadcnt 0x0
	v_cvt_f32_f16_e32 v62, v62
	s_delay_alu instid0(VALU_DEP_1)
	v_mul_f32_e32 v62, v173, v62
.LBB52_66:                              ;   in Loop: Header=BB52_8 Depth=1
	v_dual_mov_b32 v81, 0 :: v_dual_mov_b32 v82, 0
	s_and_not1_b32 vcc_lo, exec_lo, s8
	s_cbranch_vccnz .LBB52_68
; %bb.67:                               ;   in Loop: Header=BB52_8 Depth=1
	global_load_u16 v77, v77, s[36:37] offset:64 scale_offset
	s_wait_loadcnt 0x0
	v_cvt_f32_f16_e32 v77, v77
	s_delay_alu instid0(VALU_DEP_1)
	v_mul_f32_e32 v82, v173, v77
.LBB52_68:                              ;   in Loop: Header=BB52_8 Depth=1
	s_delay_alu instid0(VALU_DEP_2) | instskip(NEXT) | instid1(VALU_DEP_2)
	v_dual_add_f32 v80, v157, v62 :: v_dual_add_nc_u32 v0, v0, v125
	v_add_f32_e32 v77, v156, v82
	s_and_not1_b32 vcc_lo, exec_lo, s8
	s_delay_alu instid0(VALU_DEP_2) | instskip(NEXT) | instid1(VALU_DEP_2)
	v_add_f32_e32 v62, 0x40051340, v80
	v_add_f32_e32 v82, 0x40051340, v77
	s_delay_alu instid0(VALU_DEP_1) | instskip(SKIP_3) | instid1(VALU_DEP_1)
	v_max3_num_f32 v62, v129, v62, v82
	ds_bpermute_b32 v82, v17, v62
	s_wait_dscnt 0x0
	v_max_num_f32_e32 v82, v82, v82
	v_max_num_f32_e32 v62, v62, v82
	ds_bpermute_b32 v82, v5, v62
	s_wait_dscnt 0x0
	v_max_num_f32_e32 v82, v82, v82
	s_delay_alu instid0(VALU_DEP_1) | instskip(SKIP_3) | instid1(VALU_DEP_1)
	v_max_num_f32_e32 v62, v62, v82
	ds_bpermute_b32 v82, v10, v62
	s_wait_dscnt 0x0
	v_max_num_f32_e32 v82, v82, v82
	v_max_num_f32_e32 v62, v62, v82
	ds_bpermute_b32 v82, v11, v62
	s_wait_dscnt 0x0
	v_max_num_f32_e32 v82, v82, v82
	s_delay_alu instid0(VALU_DEP_1)
	v_max_num_f32_e32 v62, v62, v82
	ds_bpermute_b32 v82, v16, v62
	s_cbranch_vccnz .LBB52_70
; %bb.69:                               ;   in Loop: Header=BB52_8 Depth=1
	global_load_u16 v81, v0, s[36:37] scale_offset
	s_wait_loadcnt 0x0
	v_cvt_f32_f16_e32 v81, v81
	s_delay_alu instid0(VALU_DEP_1)
	v_mul_f32_e32 v81, v173, v81
.LBB52_70:                              ;   in Loop: Header=BB52_8 Depth=1
	s_and_not1_b32 vcc_lo, exec_lo, s8
	s_cbranch_vccnz .LBB52_72
; %bb.71:                               ;   in Loop: Header=BB52_8 Depth=1
	global_load_u16 v0, v0, s[36:37] offset:64 scale_offset
	s_wait_loadcnt 0x0
	v_cvt_f32_f16_e32 v0, v0
	s_delay_alu instid0(VALU_DEP_1)
	v_mul_f32_e32 v0, v173, v0
	s_branch .LBB52_73
.LBB52_72:                              ;   in Loop: Header=BB52_8 Depth=1
	v_mov_b32_e32 v0, 0
.LBB52_73:                              ;   in Loop: Header=BB52_8 Depth=1
	s_wait_dscnt 0x0
	v_dual_add_f32 v81, v155, v81 :: v_dual_max_num_f32 v82, v82, v82
	s_delay_alu instid0(VALU_DEP_2) | instskip(SKIP_2) | instid1(VALU_DEP_4)
	v_add_f32_e32 v83, v150, v0
	v_dual_max_num_f32 v62, v62, v62 :: v_dual_max_num_f32 v61, v61, v61
	v_dual_max_num_f32 v74, v74, v74 :: v_dual_max_num_f32 v60, v60, v60
	v_add_f32_e32 v84, 0x40051340, v81
	s_delay_alu instid0(VALU_DEP_4) | instskip(SKIP_1) | instid1(VALU_DEP_4)
	v_add_f32_e32 v0, 0x40051340, v83
	v_dual_max_num_f32 v52, v52, v52 :: v_dual_max_num_f32 v51, v51, v51
	v_max_num_f32_e32 v61, v61, v74
	v_dual_max_num_f32 v50, v50, v50 :: v_dual_max_num_f32 v49, v49, v49
	s_delay_alu instid0(VALU_DEP_4) | instskip(SKIP_1) | instid1(VALU_DEP_3)
	v_max3_num_f32 v0, v128, v84, v0
	v_dual_max_num_f32 v48, v48, v48 :: v_dual_max_num_f32 v29, v29, v29
	v_dual_max_num_f32 v28, v28, v28 :: v_dual_max_num_f32 v51, v50, v51
	ds_bpermute_b32 v17, v17, v0
	v_dual_max_num_f32 v50, v48, v49 :: v_dual_max_num_f32 v23, v23, v23
	v_dual_max_num_f32 v49, v28, v29 :: v_dual_max_num_f32 v22, v22, v22
	;; [unrolled: 1-line block ×4, first 2 shown]
	s_delay_alu instid0(VALU_DEP_3) | instskip(NEXT) | instid1(VALU_DEP_3)
	v_max_num_f32_e32 v48, v22, v23
	v_dual_max_num_f32 v59, v59, v59 :: v_dual_max_num_f32 v60, v60, v73
	v_max_num_f32_e32 v58, v58, v58
	v_dual_max_num_f32 v70, v70, v70 :: v_dual_max_num_f32 v69, v69, v69
	s_delay_alu instid0(VALU_DEP_3) | instskip(NEXT) | instid1(VALU_DEP_3)
	v_dual_max_num_f32 v59, v59, v72 :: v_dual_max_num_f32 v57, v57, v57
	v_dual_max_num_f32 v58, v58, v71 :: v_dual_max_num_f32 v56, v56, v56
	;; [unrolled: 1-line block ×3, first 2 shown]
	s_wait_dscnt 0x0
	v_max_num_f32_e32 v17, v17, v17
	s_delay_alu instid0(VALU_DEP_3) | instskip(SKIP_1) | instid1(VALU_DEP_3)
	v_dual_max_num_f32 v57, v57, v70 :: v_dual_max_num_f32 v56, v56, v69
	v_dual_max_num_f32 v55, v55, v55 :: v_dual_max_num_f32 v54, v54, v54
	v_max_num_f32_e32 v0, v0, v17
	v_dual_max_num_f32 v64, v64, v64 :: v_dual_max_num_f32 v53, v53, v53
	v_max_num_f32_e32 v63, v63, v63
	s_delay_alu instid0(VALU_DEP_4) | instskip(SKIP_4) | instid1(VALU_DEP_3)
	v_max_num_f32_e32 v55, v55, v68
	ds_bpermute_b32 v5, v5, v0
	v_dual_max_num_f32 v54, v54, v66 :: v_dual_max_num_f32 v53, v53, v64
	v_max_num_f32_e32 v52, v52, v63
	v_dual_sub_f32 v7, v7, v51 :: v_dual_sub_f32 v9, v9, v51
	v_dual_sub_f32 v18, v18, v54 :: v_dual_sub_f32 v13, v13, v53
	v_sub_f32_e32 v15, v15, v53
	v_dual_sub_f32 v19, v19, v55 :: v_dual_sub_f32 v24, v24, v56
	v_dual_sub_f32 v26, v26, v56 :: v_dual_sub_f32 v25, v25, v57
	v_sub_f32_e32 v27, v27, v57
	s_wait_dscnt 0x0
	s_barrier_signal -1
	s_barrier_wait -1
	s_mul_u64 s[38:39], s[24:25], s[14:15]
	v_sub_f32_e32 v1, v1, v49
	v_max_num_f32_e32 v5, v5, v5
	s_lshl_b64 s[38:39], s[38:39], 2
	v_sub_f32_e32 v2, v2, v48
	s_add_nc_u64 s[38:39], s[26:27], s[38:39]
	v_sub_f32_e32 v3, v3, v49
	v_dual_max_num_f32 v0, v0, v5 :: v_dual_sub_f32 v6, v6, v50
	v_sub_f32_e32 v8, v8, v50
	v_dual_sub_f32 v12, v12, v52 :: v_dual_sub_f32 v14, v14, v52
	ds_bpermute_b32 v5, v10, v0
	v_dual_sub_f32 v20, v20, v54 :: v_dual_sub_f32 v21, v21, v55
	v_dual_sub_f32 v31, v31, v58 :: v_dual_sub_f32 v30, v30, v58
	;; [unrolled: 1-line block ×3, first 2 shown]
	v_sub_f32_e32 v75, v75, v60
	v_dual_sub_f32 v79, v79, v61 :: v_dual_sub_f32 v76, v76, v61
	v_dual_sub_f32 v77, v77, v62 :: v_dual_sub_f32 v80, v80, v62
	s_wait_dscnt 0x0
	v_max_num_f32_e32 v5, v5, v5
	s_delay_alu instid0(VALU_DEP_1) | instskip(SKIP_3) | instid1(VALU_DEP_1)
	v_max_num_f32_e32 v0, v0, v5
	ds_bpermute_b32 v5, v11, v0
	s_wait_dscnt 0x0
	v_max_num_f32_e32 v5, v5, v5
	v_max_num_f32_e32 v0, v0, v5
	ds_bpermute_b32 v5, v16, v0
	s_wait_dscnt 0x0
	v_max_num_f32_e32 v5, v5, v5
	s_delay_alu instid0(VALU_DEP_1) | instskip(NEXT) | instid1(VALU_DEP_1)
	v_dual_max_num_f32 v63, v0, v5 :: v_dual_sub_f32 v5, v153, v48
	v_dual_sub_f32 v0, v4, v48 :: v_dual_sub_f32 v81, v81, v63
	s_delay_alu instid0(VALU_DEP_1) | instskip(NEXT) | instid1(VALU_DEP_1)
	v_dual_sub_f32 v83, v83, v63 :: v_dual_mul_f32 v4, 0x3fb8aa3b, v0
	v_fma_f32 v10, 0x3fb8aa3b, v0, -v4
	v_rndne_f32_e32 v11, v4
	s_delay_alu instid0(VALU_DEP_1) | instskip(NEXT) | instid1(VALU_DEP_3)
	v_sub_f32_e32 v4, v4, v11
	v_fmac_f32_e32 v10, 0x32a5705f, v0
	v_cmp_ngt_f32_e32 vcc_lo, 0xc2ce8ed0, v0
	s_delay_alu instid0(VALU_DEP_2) | instskip(SKIP_1) | instid1(VALU_DEP_2)
	v_add_f32_e32 v4, v4, v10
	v_cvt_i32_f32_e32 v10, v11
	v_exp_f32_e32 v4, v4
	v_nop
	s_delay_alu instid0(TRANS32_DEP_1) | instskip(NEXT) | instid1(VALU_DEP_1)
	v_ldexp_f32 v4, v4, v10
	v_cndmask_b32_e32 v4, 0, v4, vcc_lo
	v_cmp_nlt_f32_e32 vcc_lo, 0x42b17218, v0
	s_delay_alu instid0(VALU_DEP_2) | instskip(SKIP_2) | instid1(VALU_DEP_2)
	v_cndmask_b32_e32 v0, 0x7f800000, v4, vcc_lo
	v_mul_f32_e32 v4, 0x3fb8aa3b, v2
	v_cmp_ngt_f32_e32 vcc_lo, 0xc2ce8ed0, v2
	v_fma_f32 v10, 0x3fb8aa3b, v2, -v4
	v_rndne_f32_e32 v11, v4
	s_delay_alu instid0(VALU_DEP_2) | instskip(NEXT) | instid1(VALU_DEP_2)
	v_fmac_f32_e32 v10, 0x32a5705f, v2
	v_sub_f32_e32 v4, v4, v11
	s_delay_alu instid0(VALU_DEP_1) | instskip(SKIP_1) | instid1(VALU_DEP_2)
	v_add_f32_e32 v4, v4, v10
	v_cvt_i32_f32_e32 v10, v11
	v_exp_f32_e32 v4, v4
	v_nop
	s_delay_alu instid0(TRANS32_DEP_1) | instskip(NEXT) | instid1(VALU_DEP_1)
	v_ldexp_f32 v4, v4, v10
	v_cndmask_b32_e32 v4, 0, v4, vcc_lo
	v_cmp_nlt_f32_e32 vcc_lo, 0x42b17218, v2
	v_mul_f32_e32 v2, 0x3fb8aa3b, v5
	s_delay_alu instid0(VALU_DEP_3) | instskip(NEXT) | instid1(VALU_DEP_2)
	v_cndmask_b32_e32 v4, 0x7f800000, v4, vcc_lo
	v_fma_f32 v10, 0x3fb8aa3b, v5, -v2
	v_rndne_f32_e32 v11, v2
	v_cmp_ngt_f32_e32 vcc_lo, 0xc2ce8ed0, v5
	s_delay_alu instid0(VALU_DEP_3) | instskip(NEXT) | instid1(VALU_DEP_3)
	v_fmac_f32_e32 v10, 0x32a5705f, v5
	v_sub_f32_e32 v2, v2, v11
	s_delay_alu instid0(VALU_DEP_1) | instskip(SKIP_1) | instid1(VALU_DEP_2)
	v_add_f32_e32 v2, v2, v10
	v_cvt_i32_f32_e32 v10, v11
	v_exp_f32_e32 v2, v2
	v_nop
	s_delay_alu instid0(TRANS32_DEP_1) | instskip(NEXT) | instid1(VALU_DEP_1)
	v_ldexp_f32 v2, v2, v10
	v_dual_sub_f32 v10, v151, v49 :: v_dual_cndmask_b32 v2, 0, v2, vcc_lo
	v_cmp_nlt_f32_e32 vcc_lo, 0x42b17218, v5
	s_delay_alu instid0(VALU_DEP_2) | instskip(SKIP_1) | instid1(VALU_DEP_2)
	v_cndmask_b32_e32 v2, 0x7f800000, v2, vcc_lo
	v_cmp_ngt_f32_e32 vcc_lo, 0xc2ce8ed0, v1
	v_cvt_f16_f32_e32 v5, v2
	s_delay_alu instid0(VALU_DEP_1) | instskip(NEXT) | instid1(VALU_DEP_1)
	v_and_b32_e32 v5, 0xffff, v5
	v_mul_u32_u24_e32 v5, 0x10001, v5
	s_delay_alu instid0(VALU_DEP_1) | instskip(SKIP_1) | instid1(VALU_DEP_1)
	v_pk_mul_f16 v68, v139, v5
	v_mul_f32_e32 v5, 0x3fb8aa3b, v1
	v_fma_f32 v11, 0x3fb8aa3b, v1, -v5
	v_rndne_f32_e32 v16, v5
	s_delay_alu instid0(VALU_DEP_2) | instskip(NEXT) | instid1(VALU_DEP_2)
	v_fmac_f32_e32 v11, 0x32a5705f, v1
	v_sub_f32_e32 v5, v5, v16
	s_delay_alu instid0(VALU_DEP_1) | instskip(SKIP_1) | instid1(VALU_DEP_2)
	v_add_f32_e32 v5, v5, v11
	v_cvt_i32_f32_e32 v11, v16
	v_exp_f32_e32 v5, v5
	v_nop
	s_delay_alu instid0(TRANS32_DEP_1) | instskip(NEXT) | instid1(VALU_DEP_1)
	v_ldexp_f32 v5, v5, v11
	v_cndmask_b32_e32 v5, 0, v5, vcc_lo
	v_cmp_nlt_f32_e32 vcc_lo, 0x42b17218, v1
	s_delay_alu instid0(VALU_DEP_2) | instskip(SKIP_2) | instid1(VALU_DEP_2)
	v_cndmask_b32_e32 v1, 0x7f800000, v5, vcc_lo
	v_mul_f32_e32 v5, 0x3fb8aa3b, v3
	v_cmp_ngt_f32_e32 vcc_lo, 0xc2ce8ed0, v3
	v_fma_f32 v11, 0x3fb8aa3b, v3, -v5
	v_rndne_f32_e32 v16, v5
	s_delay_alu instid0(VALU_DEP_2) | instskip(NEXT) | instid1(VALU_DEP_2)
	v_fmac_f32_e32 v11, 0x32a5705f, v3
	v_sub_f32_e32 v5, v5, v16
	s_delay_alu instid0(VALU_DEP_1) | instskip(SKIP_1) | instid1(VALU_DEP_2)
	v_add_f32_e32 v5, v5, v11
	v_cvt_i32_f32_e32 v11, v16
	v_exp_f32_e32 v5, v5
	v_nop
	s_delay_alu instid0(TRANS32_DEP_1) | instskip(NEXT) | instid1(VALU_DEP_1)
	v_ldexp_f32 v5, v5, v11
	v_cndmask_b32_e32 v5, 0, v5, vcc_lo
	v_cmp_nlt_f32_e32 vcc_lo, 0x42b17218, v3
	v_mul_f32_e32 v3, 0x3fb8aa3b, v10
	s_delay_alu instid0(VALU_DEP_1) | instskip(SKIP_1) | instid1(VALU_DEP_2)
	v_fma_f32 v11, 0x3fb8aa3b, v10, -v3
	v_rndne_f32_e32 v16, v3
	v_fmac_f32_e32 v11, 0x32a5705f, v10
	s_delay_alu instid0(VALU_DEP_2) | instskip(NEXT) | instid1(VALU_DEP_1)
	v_sub_f32_e32 v3, v3, v16
	v_add_f32_e32 v3, v3, v11
	v_cvt_i32_f32_e32 v11, v16
	v_cndmask_b32_e32 v5, 0x7f800000, v5, vcc_lo
	v_cmp_ngt_f32_e32 vcc_lo, 0xc2ce8ed0, v10
	s_delay_alu instid0(VALU_DEP_4) | instskip(SKIP_1) | instid1(TRANS32_DEP_1)
	v_exp_f32_e32 v3, v3
	v_nop
	v_ldexp_f32 v3, v3, v11
	v_mul_f32_e32 v11, 0x3fb8aa3b, v6
	s_delay_alu instid0(VALU_DEP_1) | instskip(NEXT) | instid1(VALU_DEP_3)
	v_fma_f32 v16, 0x3fb8aa3b, v6, -v11
	v_cndmask_b32_e32 v3, 0, v3, vcc_lo
	v_cmp_nlt_f32_e32 vcc_lo, 0x42b17218, v10
	v_rndne_f32_e32 v17, v11
	s_delay_alu instid0(VALU_DEP_4) | instskip(NEXT) | instid1(VALU_DEP_4)
	v_fmac_f32_e32 v16, 0x32a5705f, v6
	v_cndmask_b32_e32 v3, 0x7f800000, v3, vcc_lo
	v_cmp_ngt_f32_e32 vcc_lo, 0xc2ce8ed0, v6
	s_delay_alu instid0(VALU_DEP_2) | instskip(NEXT) | instid1(VALU_DEP_1)
	v_cvt_f16_f32_e32 v10, v3
	v_and_b32_e32 v10, 0xffff, v10
	s_delay_alu instid0(VALU_DEP_1) | instskip(NEXT) | instid1(VALU_DEP_1)
	v_mul_u32_u24_e32 v10, 0x10001, v10
	v_pk_mul_f16 v69, v138, v10
	v_dual_sub_f32 v10, v149, v50 :: v_dual_sub_f32 v11, v11, v17
	v_cvt_pk_f16_f32 v84, v0, v1
	v_pk_add_f32 v[0:1], v[0:1], v[4:5]
	s_delay_alu instid0(VALU_DEP_3) | instskip(SKIP_1) | instid1(VALU_DEP_2)
	v_add_f32_e32 v11, v11, v16
	v_cvt_i32_f32_e32 v16, v17
	v_exp_f32_e32 v11, v11
	v_nop
	s_delay_alu instid0(TRANS32_DEP_1) | instskip(NEXT) | instid1(VALU_DEP_1)
	v_ldexp_f32 v11, v11, v16
	v_cndmask_b32_e32 v11, 0, v11, vcc_lo
	v_cmp_nlt_f32_e32 vcc_lo, 0x42b17218, v6
	s_delay_alu instid0(VALU_DEP_2) | instskip(SKIP_2) | instid1(VALU_DEP_2)
	v_cndmask_b32_e32 v6, 0x7f800000, v11, vcc_lo
	v_mul_f32_e32 v11, 0x3fb8aa3b, v8
	v_cmp_ngt_f32_e32 vcc_lo, 0xc2ce8ed0, v8
	v_fma_f32 v16, 0x3fb8aa3b, v8, -v11
	v_rndne_f32_e32 v17, v11
	s_delay_alu instid0(VALU_DEP_1) | instskip(NEXT) | instid1(VALU_DEP_1)
	v_dual_fmac_f32 v16, 0x32a5705f, v8 :: v_dual_sub_f32 v11, v11, v17
	v_add_f32_e32 v11, v11, v16
	v_cvt_i32_f32_e32 v16, v17
	s_delay_alu instid0(VALU_DEP_2) | instskip(SKIP_1) | instid1(TRANS32_DEP_1)
	v_exp_f32_e32 v11, v11
	v_nop
	v_ldexp_f32 v11, v11, v16
	s_delay_alu instid0(VALU_DEP_1) | instskip(SKIP_1) | instid1(VALU_DEP_2)
	v_cndmask_b32_e32 v11, 0, v11, vcc_lo
	v_cmp_nlt_f32_e32 vcc_lo, 0x42b17218, v8
	v_cndmask_b32_e32 v8, 0x7f800000, v11, vcc_lo
	v_mul_f32_e32 v11, 0x3fb8aa3b, v10
	v_cmp_ngt_f32_e32 vcc_lo, 0xc2ce8ed0, v10
	s_delay_alu instid0(VALU_DEP_2) | instskip(SKIP_1) | instid1(VALU_DEP_1)
	v_fma_f32 v16, 0x3fb8aa3b, v10, -v11
	v_rndne_f32_e32 v17, v11
	v_dual_fmac_f32 v16, 0x32a5705f, v10 :: v_dual_sub_f32 v11, v11, v17
	s_delay_alu instid0(VALU_DEP_1) | instskip(SKIP_1) | instid1(VALU_DEP_2)
	v_add_f32_e32 v11, v11, v16
	v_cvt_i32_f32_e32 v16, v17
	v_exp_f32_e32 v11, v11
	v_nop
	s_delay_alu instid0(TRANS32_DEP_1) | instskip(SKIP_1) | instid1(VALU_DEP_2)
	v_ldexp_f32 v11, v11, v16
	v_mul_f32_e32 v16, 0x3fb8aa3b, v7
	v_cndmask_b32_e32 v11, 0, v11, vcc_lo
	s_delay_alu instid0(VALU_DEP_2) | instskip(SKIP_2) | instid1(VALU_DEP_2)
	v_fma_f32 v17, 0x3fb8aa3b, v7, -v16
	v_rndne_f32_e32 v22, v16
	v_cmp_nlt_f32_e32 vcc_lo, 0x42b17218, v10
	v_dual_fmac_f32 v17, 0x32a5705f, v7 :: v_dual_sub_f32 v16, v16, v22
	v_cndmask_b32_e32 v10, 0x7f800000, v11, vcc_lo
	v_cmp_ngt_f32_e32 vcc_lo, 0xc2ce8ed0, v7
	v_pk_fma_f32 v[32:33], v[32:33], v[2:3], v[0:1]
	s_delay_alu instid0(VALU_DEP_4) | instskip(SKIP_2) | instid1(VALU_DEP_3)
	v_add_f32_e32 v16, v16, v17
	v_cvt_i32_f32_e32 v17, v22
	v_cvt_f16_f32_e32 v11, v10
	v_exp_f32_e32 v16, v16
	s_delay_alu instid0(VALU_DEP_1) | instskip(NEXT) | instid1(TRANS32_DEP_1)
	v_and_b32_e32 v11, 0xffff, v11
	v_ldexp_f32 v16, v16, v17
	s_delay_alu instid0(VALU_DEP_2) | instskip(NEXT) | instid1(VALU_DEP_2)
	v_mul_u32_u24_e32 v11, 0x10001, v11
	v_cndmask_b32_e32 v16, 0, v16, vcc_lo
	v_cmp_nlt_f32_e32 vcc_lo, 0x42b17218, v7
	s_delay_alu instid0(VALU_DEP_3) | instskip(SKIP_1) | instid1(VALU_DEP_4)
	v_pk_mul_f16 v70, v188, v11
	v_sub_f32_e32 v11, v147, v51
	v_cndmask_b32_e32 v7, 0x7f800000, v16, vcc_lo
	v_mul_f32_e32 v16, 0x3fb8aa3b, v9
	v_cmp_ngt_f32_e32 vcc_lo, 0xc2ce8ed0, v9
	s_delay_alu instid0(VALU_DEP_2) | instskip(SKIP_1) | instid1(VALU_DEP_1)
	v_fma_f32 v17, 0x3fb8aa3b, v9, -v16
	v_rndne_f32_e32 v22, v16
	v_dual_fmac_f32 v17, 0x32a5705f, v9 :: v_dual_sub_f32 v16, v16, v22
	s_delay_alu instid0(VALU_DEP_1) | instskip(SKIP_1) | instid1(VALU_DEP_2)
	v_add_f32_e32 v16, v16, v17
	v_cvt_i32_f32_e32 v17, v22
	v_exp_f32_e32 v16, v16
	v_nop
	s_delay_alu instid0(TRANS32_DEP_1) | instskip(NEXT) | instid1(VALU_DEP_1)
	v_ldexp_f32 v16, v16, v17
	v_cndmask_b32_e32 v16, 0, v16, vcc_lo
	v_cmp_nlt_f32_e32 vcc_lo, 0x42b17218, v9
	s_delay_alu instid0(VALU_DEP_2) | instskip(SKIP_2) | instid1(VALU_DEP_2)
	v_cndmask_b32_e32 v9, 0x7f800000, v16, vcc_lo
	v_mul_f32_e32 v16, 0x3fb8aa3b, v11
	v_cmp_ngt_f32_e32 vcc_lo, 0xc2ce8ed0, v11
	v_fma_f32 v17, 0x3fb8aa3b, v11, -v16
	v_rndne_f32_e32 v22, v16
	s_delay_alu instid0(VALU_DEP_1) | instskip(NEXT) | instid1(VALU_DEP_1)
	v_dual_fmac_f32 v17, 0x32a5705f, v11 :: v_dual_sub_f32 v16, v16, v22
	v_add_f32_e32 v16, v16, v17
	v_cvt_i32_f32_e32 v17, v22
	s_delay_alu instid0(VALU_DEP_2) | instskip(SKIP_1) | instid1(TRANS32_DEP_1)
	v_exp_f32_e32 v16, v16
	v_nop
	v_ldexp_f32 v16, v16, v17
	v_mul_f32_e32 v17, 0x3fb8aa3b, v12
	s_delay_alu instid0(VALU_DEP_2) | instskip(NEXT) | instid1(VALU_DEP_2)
	v_cndmask_b32_e32 v16, 0, v16, vcc_lo
	v_fma_f32 v22, 0x3fb8aa3b, v12, -v17
	v_rndne_f32_e32 v23, v17
	v_cmp_nlt_f32_e32 vcc_lo, 0x42b17218, v11
	s_delay_alu instid0(VALU_DEP_2) | instskip(SKIP_2) | instid1(VALU_DEP_3)
	v_dual_fmac_f32 v22, 0x32a5705f, v12 :: v_dual_sub_f32 v17, v17, v23
	v_cndmask_b32_e32 v11, 0x7f800000, v16, vcc_lo
	v_cmp_ngt_f32_e32 vcc_lo, 0xc2ce8ed0, v12
	v_add_f32_e32 v17, v17, v22
	s_delay_alu instid0(VALU_DEP_3) | instskip(SKIP_1) | instid1(VALU_DEP_3)
	v_cvt_f16_f32_e32 v16, v11
	v_cvt_i32_f32_e32 v22, v23
	v_exp_f32_e32 v17, v17
	s_delay_alu instid0(VALU_DEP_2) | instskip(NEXT) | instid1(VALU_DEP_1)
	v_and_b32_e32 v16, 0xffff, v16
	v_mul_u32_u24_e32 v16, 0x10001, v16
	s_delay_alu instid0(TRANS32_DEP_1) | instskip(NEXT) | instid1(VALU_DEP_2)
	v_ldexp_f32 v17, v17, v22
	v_pk_mul_f16 v71, v176, v16
	s_delay_alu instid0(VALU_DEP_2) | instskip(SKIP_1) | instid1(VALU_DEP_2)
	v_dual_sub_f32 v16, v145, v52 :: v_dual_cndmask_b32 v17, 0, v17
	v_cmp_nlt_f32_e32 vcc_lo, 0x42b17218, v12
	v_cndmask_b32_e32 v12, 0x7f800000, v17, vcc_lo
	v_mul_f32_e32 v17, 0x3fb8aa3b, v14
	v_cmp_ngt_f32_e32 vcc_lo, 0xc2ce8ed0, v14
	s_delay_alu instid0(VALU_DEP_2) | instskip(SKIP_1) | instid1(VALU_DEP_1)
	v_fma_f32 v22, 0x3fb8aa3b, v14, -v17
	v_rndne_f32_e32 v23, v17
	v_dual_fmac_f32 v22, 0x32a5705f, v14 :: v_dual_sub_f32 v17, v17, v23
	s_delay_alu instid0(VALU_DEP_1) | instskip(SKIP_1) | instid1(VALU_DEP_2)
	v_add_f32_e32 v17, v17, v22
	v_cvt_i32_f32_e32 v22, v23
	v_exp_f32_e32 v17, v17
	v_nop
	s_delay_alu instid0(TRANS32_DEP_1) | instskip(NEXT) | instid1(VALU_DEP_1)
	v_ldexp_f32 v17, v17, v22
	v_cndmask_b32_e32 v17, 0, v17, vcc_lo
	v_cmp_nlt_f32_e32 vcc_lo, 0x42b17218, v14
	s_delay_alu instid0(VALU_DEP_2) | instskip(SKIP_2) | instid1(VALU_DEP_2)
	v_cndmask_b32_e32 v14, 0x7f800000, v17, vcc_lo
	v_mul_f32_e32 v17, 0x3fb8aa3b, v16
	v_cmp_ngt_f32_e32 vcc_lo, 0xc2ce8ed0, v16
	v_fma_f32 v22, 0x3fb8aa3b, v16, -v17
	v_rndne_f32_e32 v23, v17
	s_delay_alu instid0(VALU_DEP_1) | instskip(NEXT) | instid1(VALU_DEP_1)
	v_dual_fmac_f32 v22, 0x32a5705f, v16 :: v_dual_sub_f32 v17, v17, v23
	v_add_f32_e32 v17, v17, v22
	v_cvt_i32_f32_e32 v22, v23
	s_delay_alu instid0(VALU_DEP_2) | instskip(SKIP_1) | instid1(TRANS32_DEP_1)
	v_exp_f32_e32 v17, v17
	v_nop
	v_ldexp_f32 v17, v17, v22
	v_mul_f32_e32 v22, 0x3fb8aa3b, v13
	s_delay_alu instid0(VALU_DEP_2) | instskip(NEXT) | instid1(VALU_DEP_2)
	v_cndmask_b32_e32 v17, 0, v17, vcc_lo
	v_fma_f32 v23, 0x3fb8aa3b, v13, -v22
	v_rndne_f32_e32 v28, v22
	v_cmp_nlt_f32_e32 vcc_lo, 0x42b17218, v16
	s_delay_alu instid0(VALU_DEP_2) | instskip(SKIP_2) | instid1(VALU_DEP_3)
	v_dual_fmac_f32 v23, 0x32a5705f, v13 :: v_dual_sub_f32 v22, v22, v28
	v_cndmask_b32_e32 v16, 0x7f800000, v17, vcc_lo
	v_cmp_ngt_f32_e32 vcc_lo, 0xc2ce8ed0, v13
	v_add_f32_e32 v22, v22, v23
	v_cvt_i32_f32_e32 v23, v28
	s_delay_alu instid0(VALU_DEP_4) | instskip(SKIP_1) | instid1(VALU_DEP_4)
	v_cvt_f16_f32_e32 v17, v16
	v_cvt_pk_f16_f32 v85, v6, v7
	v_exp_f32_e32 v22, v22
	s_delay_alu instid0(VALU_DEP_2) | instskip(NEXT) | instid1(TRANS32_DEP_1)
	v_and_b32_e32 v17, 0xffff, v17
	v_ldexp_f32 v22, v22, v23
	s_delay_alu instid0(VALU_DEP_2) | instskip(NEXT) | instid1(VALU_DEP_2)
	v_mul_u32_u24_e32 v17, 0x10001, v17
	v_cndmask_b32_e32 v22, 0, v22, vcc_lo
	v_cmp_nlt_f32_e32 vcc_lo, 0x42b17218, v13
	s_delay_alu instid0(VALU_DEP_3) | instskip(SKIP_1) | instid1(VALU_DEP_4)
	v_pk_mul_f16 v72, v172, v17
	v_sub_f32_e32 v17, v143, v53
	v_cndmask_b32_e32 v13, 0x7f800000, v22, vcc_lo
	v_mul_f32_e32 v22, 0x3fb8aa3b, v15
	v_cmp_ngt_f32_e32 vcc_lo, 0xc2ce8ed0, v15
	s_delay_alu instid0(VALU_DEP_2) | instskip(SKIP_1) | instid1(VALU_DEP_1)
	v_fma_f32 v23, 0x3fb8aa3b, v15, -v22
	v_rndne_f32_e32 v28, v22
	v_dual_fmac_f32 v23, 0x32a5705f, v15 :: v_dual_sub_f32 v22, v22, v28
	s_delay_alu instid0(VALU_DEP_1) | instskip(SKIP_1) | instid1(VALU_DEP_2)
	v_add_f32_e32 v22, v22, v23
	v_cvt_i32_f32_e32 v23, v28
	v_exp_f32_e32 v22, v22
	v_nop
	s_delay_alu instid0(TRANS32_DEP_1) | instskip(NEXT) | instid1(VALU_DEP_1)
	v_ldexp_f32 v22, v22, v23
	v_cndmask_b32_e32 v22, 0, v22, vcc_lo
	v_cmp_nlt_f32_e32 vcc_lo, 0x42b17218, v15
	s_delay_alu instid0(VALU_DEP_2) | instskip(SKIP_1) | instid1(VALU_DEP_1)
	v_cndmask_b32_e32 v15, 0x7f800000, v22, vcc_lo
	v_mul_f32_e32 v22, 0x3fb8aa3b, v17
	v_fma_f32 v23, 0x3fb8aa3b, v17, -v22
	v_rndne_f32_e32 v28, v22
	s_delay_alu instid0(VALU_DEP_1) | instskip(SKIP_1) | instid1(VALU_DEP_2)
	v_dual_sub_f32 v22, v22, v28 :: v_dual_fmac_f32 v23, 0x32a5705f, v17
	v_cmp_ngt_f32_e32 vcc_lo, 0xc2ce8ed0, v17
	v_add_f32_e32 v22, v22, v23
	v_cvt_i32_f32_e32 v23, v28
	s_delay_alu instid0(VALU_DEP_2) | instskip(SKIP_1) | instid1(TRANS32_DEP_1)
	v_exp_f32_e32 v22, v22
	v_nop
	v_ldexp_f32 v22, v22, v23
	v_mul_f32_e32 v23, 0x3fb8aa3b, v18
	s_delay_alu instid0(VALU_DEP_2) | instskip(NEXT) | instid1(VALU_DEP_2)
	v_cndmask_b32_e32 v22, 0, v22, vcc_lo
	v_fma_f32 v28, 0x3fb8aa3b, v18, -v23
	v_rndne_f32_e32 v29, v23
	v_cmp_nlt_f32_e32 vcc_lo, 0x42b17218, v17
	s_delay_alu instid0(VALU_DEP_2) | instskip(SKIP_2) | instid1(VALU_DEP_3)
	v_dual_sub_f32 v23, v23, v29 :: v_dual_fmac_f32 v28, 0x32a5705f, v18
	v_cndmask_b32_e32 v17, 0x7f800000, v22, vcc_lo
	v_cmp_ngt_f32_e32 vcc_lo, 0xc2ce8ed0, v18
	v_add_f32_e32 v23, v23, v28
	v_cvt_i32_f32_e32 v28, v29
	s_delay_alu instid0(VALU_DEP_4) | instskip(NEXT) | instid1(VALU_DEP_3)
	v_cvt_f16_f32_e32 v22, v17
	v_exp_f32_e32 v23, v23
	s_delay_alu instid0(VALU_DEP_1) | instskip(NEXT) | instid1(TRANS32_DEP_1)
	v_and_b32_e32 v22, 0xffff, v22
	v_ldexp_f32 v23, v23, v28
	s_delay_alu instid0(VALU_DEP_2) | instskip(NEXT) | instid1(VALU_DEP_2)
	v_mul_u32_u24_e32 v22, 0x10001, v22
	v_cndmask_b32_e32 v23, 0, v23, vcc_lo
	v_cmp_nlt_f32_e32 vcc_lo, 0x42b17218, v18
	s_delay_alu instid0(VALU_DEP_3) | instskip(SKIP_1) | instid1(VALU_DEP_4)
	v_pk_mul_f16 v73, v186, v22
	v_sub_f32_e32 v22, v141, v54
	v_cndmask_b32_e32 v18, 0x7f800000, v23, vcc_lo
	v_mul_f32_e32 v23, 0x3fb8aa3b, v20
	v_cmp_ngt_f32_e32 vcc_lo, 0xc2ce8ed0, v20
	s_delay_alu instid0(VALU_DEP_2) | instskip(SKIP_1) | instid1(VALU_DEP_1)
	v_fma_f32 v28, 0x3fb8aa3b, v20, -v23
	v_rndne_f32_e32 v29, v23
	v_dual_fmac_f32 v28, 0x32a5705f, v20 :: v_dual_sub_f32 v23, v23, v29
	s_delay_alu instid0(VALU_DEP_1) | instskip(SKIP_1) | instid1(VALU_DEP_2)
	v_add_f32_e32 v23, v23, v28
	v_cvt_i32_f32_e32 v28, v29
	v_exp_f32_e32 v23, v23
	v_nop
	s_delay_alu instid0(TRANS32_DEP_1) | instskip(NEXT) | instid1(VALU_DEP_1)
	v_ldexp_f32 v23, v23, v28
	v_cndmask_b32_e32 v23, 0, v23, vcc_lo
	v_cmp_nlt_f32_e32 vcc_lo, 0x42b17218, v20
	s_delay_alu instid0(VALU_DEP_2) | instskip(SKIP_2) | instid1(VALU_DEP_2)
	v_cndmask_b32_e32 v20, 0x7f800000, v23, vcc_lo
	v_mul_f32_e32 v23, 0x3fb8aa3b, v22
	v_cmp_ngt_f32_e32 vcc_lo, 0xc2ce8ed0, v22
	v_fma_f32 v28, 0x3fb8aa3b, v22, -v23
	v_rndne_f32_e32 v29, v23
	s_delay_alu instid0(VALU_DEP_1) | instskip(NEXT) | instid1(VALU_DEP_1)
	v_dual_fmac_f32 v28, 0x32a5705f, v22 :: v_dual_sub_f32 v23, v23, v29
	v_add_f32_e32 v23, v23, v28
	v_cvt_i32_f32_e32 v28, v29
	s_delay_alu instid0(VALU_DEP_2) | instskip(SKIP_1) | instid1(TRANS32_DEP_1)
	v_exp_f32_e32 v23, v23
	v_nop
	v_ldexp_f32 v23, v23, v28
	v_mul_f32_e32 v28, 0x3fb8aa3b, v19
	s_delay_alu instid0(VALU_DEP_2) | instskip(NEXT) | instid1(VALU_DEP_2)
	v_cndmask_b32_e32 v23, 0, v23, vcc_lo
	v_fma_f32 v29, 0x3fb8aa3b, v19, -v28
	v_rndne_f32_e32 v64, v28
	v_cmp_nlt_f32_e32 vcc_lo, 0x42b17218, v22
	s_delay_alu instid0(VALU_DEP_2) | instskip(SKIP_3) | instid1(VALU_DEP_4)
	v_dual_fmac_f32 v29, 0x32a5705f, v19 :: v_dual_sub_f32 v28, v28, v64
	v_cndmask_b32_e32 v22, 0x7f800000, v23, vcc_lo
	v_cmp_ngt_f32_e32 vcc_lo, 0xc2ce8ed0, v19
	v_cvt_pk_f16_f32 v86, v12, v13
	v_add_f32_e32 v28, v28, v29
	v_cvt_i32_f32_e32 v29, v64
	v_cvt_f16_f32_e32 v23, v22
	s_delay_alu instid0(VALU_DEP_3) | instskip(NEXT) | instid1(VALU_DEP_1)
	v_exp_f32_e32 v28, v28
	v_and_b32_e32 v23, 0xffff, v23
	s_delay_alu instid0(TRANS32_DEP_1) | instskip(NEXT) | instid1(VALU_DEP_2)
	v_ldexp_f32 v28, v28, v29
	v_mul_u32_u24_e32 v23, 0x10001, v23
	s_delay_alu instid0(VALU_DEP_2) | instskip(SKIP_1) | instid1(VALU_DEP_3)
	v_cndmask_b32_e32 v28, 0, v28, vcc_lo
	v_cmp_nlt_f32_e32 vcc_lo, 0x42b17218, v19
	v_pk_mul_f16 v74, v180, v23
	s_delay_alu instid0(VALU_DEP_3) | instskip(SKIP_2) | instid1(VALU_DEP_2)
	v_cndmask_b32_e32 v19, 0x7f800000, v28, vcc_lo
	v_mul_f32_e32 v28, 0x3fb8aa3b, v21
	v_cmp_ngt_f32_e32 vcc_lo, 0xc2ce8ed0, v21
	v_fma_f32 v29, 0x3fb8aa3b, v21, -v28
	v_rndne_f32_e32 v64, v28
	s_delay_alu instid0(VALU_DEP_1) | instskip(NEXT) | instid1(VALU_DEP_1)
	v_dual_fmac_f32 v29, 0x32a5705f, v21 :: v_dual_sub_f32 v28, v28, v64
	v_add_f32_e32 v28, v28, v29
	v_cvt_i32_f32_e32 v29, v64
	s_delay_alu instid0(VALU_DEP_2) | instskip(SKIP_1) | instid1(TRANS32_DEP_1)
	v_exp_f32_e32 v28, v28
	v_nop
	v_ldexp_f32 v28, v28, v29
	s_delay_alu instid0(VALU_DEP_1) | instskip(SKIP_1) | instid1(VALU_DEP_2)
	v_dual_sub_f32 v23, v140, v55 :: v_dual_cndmask_b32 v28, 0, v28
	v_cmp_nlt_f32_e32 vcc_lo, 0x42b17218, v21
	v_cndmask_b32_e32 v21, 0x7f800000, v28, vcc_lo
	s_delay_alu instid0(VALU_DEP_3) | instskip(SKIP_1) | instid1(VALU_DEP_2)
	v_mul_f32_e32 v28, 0x3fb8aa3b, v23
	v_cmp_ngt_f32_e32 vcc_lo, 0xc2ce8ed0, v23
	v_fma_f32 v29, 0x3fb8aa3b, v23, -v28
	v_rndne_f32_e32 v64, v28
	s_delay_alu instid0(VALU_DEP_1) | instskip(NEXT) | instid1(VALU_DEP_1)
	v_dual_fmac_f32 v29, 0x32a5705f, v23 :: v_dual_sub_f32 v28, v28, v64
	v_add_f32_e32 v28, v28, v29
	v_cvt_i32_f32_e32 v29, v64
	v_cvt_pk_f16_f32 v87, v18, v19
	s_delay_alu instid0(VALU_DEP_3)
	v_exp_f32_e32 v28, v28
	ds_store_b128 v126, v[84:87]
	v_cvt_pk_f16_f32 v87, v20, v21
	v_cvt_pk_f16_f32 v86, v14, v15
	;; [unrolled: 1-line block ×4, first 2 shown]
	v_ldexp_f32 v28, v28, v29
	v_mul_f32_e32 v29, 0x3fb8aa3b, v24
	v_pk_add_f32 v[4:5], v[6:7], v[8:9]
	v_pk_add_f32 v[6:7], v[12:13], v[14:15]
	ds_store_b128 v126, v[84:87] offset:512
	v_cndmask_b32_e32 v28, 0, v28, vcc_lo
	v_fma_f32 v64, 0x3fb8aa3b, v24, -v29
	v_rndne_f32_e32 v66, v29
	v_cmp_nlt_f32_e32 vcc_lo, 0x42b17218, v23
	v_pk_fma_f32 v[34:35], v[34:35], v[10:11], v[4:5]
	v_pk_fma_f32 v[36:37], v[36:37], v[16:17], v[6:7]
	s_delay_alu instid0(VALU_DEP_4) | instskip(SKIP_2) | instid1(VALU_DEP_3)
	v_dual_fmac_f32 v64, 0x32a5705f, v24 :: v_dual_sub_f32 v29, v29, v66
	v_cndmask_b32_e32 v23, 0x7f800000, v28, vcc_lo
	v_cmp_ngt_f32_e32 vcc_lo, 0xc2ce8ed0, v24
	v_add_f32_e32 v29, v29, v64
	v_cvt_i32_f32_e32 v64, v66
	s_delay_alu instid0(VALU_DEP_4) | instskip(NEXT) | instid1(VALU_DEP_3)
	v_cvt_f16_f32_e32 v28, v23
	v_exp_f32_e32 v29, v29
	s_delay_alu instid0(VALU_DEP_1) | instskip(NEXT) | instid1(TRANS32_DEP_1)
	v_and_b32_e32 v28, 0xffff, v28
	v_ldexp_f32 v29, v29, v64
	s_delay_alu instid0(VALU_DEP_2) | instskip(NEXT) | instid1(VALU_DEP_2)
	v_mul_u32_u24_e32 v28, 0x10001, v28
	v_cndmask_b32_e32 v29, 0, v29, vcc_lo
	v_cmp_nlt_f32_e32 vcc_lo, 0x42b17218, v24
	s_delay_alu instid0(VALU_DEP_3) | instskip(SKIP_1) | instid1(VALU_DEP_4)
	v_pk_mul_f16 v82, v175, v28
	v_sub_f32_e32 v28, v135, v56
	v_cndmask_b32_e32 v24, 0x7f800000, v29, vcc_lo
	v_mul_f32_e32 v29, 0x3fb8aa3b, v26
	v_cmp_ngt_f32_e32 vcc_lo, 0xc2ce8ed0, v26
	s_delay_alu instid0(VALU_DEP_2) | instskip(SKIP_1) | instid1(VALU_DEP_2)
	v_fma_f32 v64, 0x3fb8aa3b, v26, -v29
	v_rndne_f32_e32 v66, v29
	v_fmac_f32_e32 v64, 0x32a5705f, v26
	s_delay_alu instid0(VALU_DEP_2) | instskip(NEXT) | instid1(VALU_DEP_1)
	v_sub_f32_e32 v29, v29, v66
	v_add_f32_e32 v29, v29, v64
	v_cvt_i32_f32_e32 v64, v66
	s_delay_alu instid0(VALU_DEP_2) | instskip(SKIP_1) | instid1(TRANS32_DEP_1)
	v_exp_f32_e32 v29, v29
	v_nop
	v_ldexp_f32 v29, v29, v64
	s_delay_alu instid0(VALU_DEP_1) | instskip(SKIP_1) | instid1(VALU_DEP_2)
	v_cndmask_b32_e32 v29, 0, v29, vcc_lo
	v_cmp_nlt_f32_e32 vcc_lo, 0x42b17218, v26
	v_cndmask_b32_e32 v26, 0x7f800000, v29, vcc_lo
	v_mul_f32_e32 v29, 0x3fb8aa3b, v28
	v_cmp_ngt_f32_e32 vcc_lo, 0xc2ce8ed0, v28
	s_delay_alu instid0(VALU_DEP_2) | instskip(SKIP_1) | instid1(VALU_DEP_1)
	v_fma_f32 v64, 0x3fb8aa3b, v28, -v29
	v_rndne_f32_e32 v66, v29
	v_dual_fmac_f32 v64, 0x32a5705f, v28 :: v_dual_sub_f32 v29, v29, v66
	s_delay_alu instid0(VALU_DEP_1) | instskip(SKIP_1) | instid1(VALU_DEP_2)
	v_add_f32_e32 v29, v29, v64
	v_cvt_i32_f32_e32 v64, v66
	v_exp_f32_e32 v29, v29
	v_nop
	s_delay_alu instid0(TRANS32_DEP_1) | instskip(SKIP_1) | instid1(VALU_DEP_2)
	v_ldexp_f32 v29, v29, v64
	v_mul_f32_e32 v64, 0x3fb8aa3b, v25
	v_cndmask_b32_e32 v29, 0, v29, vcc_lo
	s_delay_alu instid0(VALU_DEP_2) | instskip(SKIP_2) | instid1(VALU_DEP_3)
	v_fma_f32 v66, 0x3fb8aa3b, v25, -v64
	v_rndne_f32_e32 v85, v64
	v_cmp_nlt_f32_e32 vcc_lo, 0x42b17218, v28
	v_fmac_f32_e32 v66, 0x32a5705f, v25
	s_delay_alu instid0(VALU_DEP_3) | instskip(SKIP_3) | instid1(VALU_DEP_4)
	v_sub_f32_e32 v64, v64, v85
	v_cndmask_b32_e32 v28, 0x7f800000, v29, vcc_lo
	v_cmp_ngt_f32_e32 vcc_lo, 0xc2ce8ed0, v25
	v_pk_add_f32 v[8:9], v[18:19], v[20:21]
	v_add_f32_e32 v64, v64, v66
	s_delay_alu instid0(VALU_DEP_4) | instskip(SKIP_1) | instid1(VALU_DEP_4)
	v_cvt_f16_f32_e32 v29, v28
	v_cvt_i32_f32_e32 v66, v85
	v_pk_fma_f32 v[38:39], v[38:39], v[22:23], v[8:9]
	s_delay_alu instid0(VALU_DEP_4) | instskip(NEXT) | instid1(VALU_DEP_3)
	v_exp_f32_e32 v64, v64
	v_and_b32_e32 v29, 0xffff, v29
	s_delay_alu instid0(VALU_DEP_1) | instskip(NEXT) | instid1(TRANS32_DEP_1)
	v_mul_u32_u24_e32 v29, 0x10001, v29
	v_ldexp_f32 v64, v64, v66
	s_delay_alu instid0(VALU_DEP_2) | instskip(NEXT) | instid1(VALU_DEP_2)
	v_pk_mul_f16 v84, v191, v29
	v_dual_sub_f32 v29, v134, v57 :: v_dual_cndmask_b32 v64, 0, v64
	v_cmp_nlt_f32_e32 vcc_lo, 0x42b17218, v25
	s_delay_alu instid0(VALU_DEP_2) | instskip(SKIP_2) | instid1(VALU_DEP_2)
	v_cndmask_b32_e32 v25, 0x7f800000, v64, vcc_lo
	v_mul_f32_e32 v64, 0x3fb8aa3b, v27
	v_cmp_ngt_f32_e32 vcc_lo, 0xc2ce8ed0, v27
	v_fma_f32 v66, 0x3fb8aa3b, v27, -v64
	v_rndne_f32_e32 v85, v64
	s_delay_alu instid0(VALU_DEP_2) | instskip(NEXT) | instid1(VALU_DEP_2)
	v_fmac_f32_e32 v66, 0x32a5705f, v27
	v_sub_f32_e32 v64, v64, v85
	s_delay_alu instid0(VALU_DEP_1) | instskip(SKIP_1) | instid1(VALU_DEP_2)
	v_add_f32_e32 v64, v64, v66
	v_cvt_i32_f32_e32 v66, v85
	v_exp_f32_e32 v64, v64
	v_nop
	s_delay_alu instid0(TRANS32_DEP_1) | instskip(NEXT) | instid1(VALU_DEP_1)
	v_ldexp_f32 v64, v64, v66
	v_cndmask_b32_e32 v64, 0, v64, vcc_lo
	v_cmp_nlt_f32_e32 vcc_lo, 0x42b17218, v27
	s_delay_alu instid0(VALU_DEP_2) | instskip(SKIP_2) | instid1(VALU_DEP_2)
	v_cndmask_b32_e32 v27, 0x7f800000, v64, vcc_lo
	v_mul_f32_e32 v64, 0x3fb8aa3b, v29
	v_cmp_ngt_f32_e32 vcc_lo, 0xc2ce8ed0, v29
	v_fma_f32 v66, 0x3fb8aa3b, v29, -v64
	v_rndne_f32_e32 v85, v64
	s_delay_alu instid0(VALU_DEP_2) | instskip(NEXT) | instid1(VALU_DEP_2)
	v_fmac_f32_e32 v66, 0x32a5705f, v29
	v_sub_f32_e32 v64, v64, v85
	v_pk_add_f32 v[12:13], v[24:25], v[26:27]
	s_delay_alu instid0(VALU_DEP_2) | instskip(SKIP_1) | instid1(VALU_DEP_2)
	v_add_f32_e32 v64, v64, v66
	v_cvt_i32_f32_e32 v66, v85
	v_exp_f32_e32 v64, v64
	v_nop
	s_delay_alu instid0(TRANS32_DEP_1) | instskip(NEXT) | instid1(VALU_DEP_1)
	v_ldexp_f32 v64, v64, v66
	v_dual_sub_f32 v66, v133, v58 :: v_dual_cndmask_b32 v64, 0, v64, vcc_lo
	v_cmp_nlt_f32_e32 vcc_lo, 0x42b17218, v29
	s_delay_alu instid0(VALU_DEP_2) | instskip(SKIP_1) | instid1(VALU_DEP_2)
	v_cndmask_b32_e32 v29, 0x7f800000, v64, vcc_lo
	v_cmp_ngt_f32_e32 vcc_lo, 0xc2ce8ed0, v30
	v_cvt_f16_f32_e32 v64, v29
	s_delay_alu instid0(VALU_DEP_1) | instskip(NEXT) | instid1(VALU_DEP_1)
	v_and_b32_e32 v64, 0xffff, v64
	v_mul_u32_u24_e32 v64, 0x10001, v64
	s_delay_alu instid0(VALU_DEP_1) | instskip(SKIP_1) | instid1(VALU_DEP_1)
	v_pk_mul_f16 v85, v190, v64
	v_mul_f32_e32 v64, 0x3fb8aa3b, v30
	v_fma_f32 v86, 0x3fb8aa3b, v30, -v64
	v_rndne_f32_e32 v87, v64
	s_delay_alu instid0(VALU_DEP_2) | instskip(NEXT) | instid1(VALU_DEP_2)
	v_fmac_f32_e32 v86, 0x32a5705f, v30
	v_sub_f32_e32 v64, v64, v87
	v_pk_fma_f32 v[40:41], v[40:41], v[28:29], v[12:13]
	s_delay_alu instid0(VALU_DEP_2) | instskip(SKIP_1) | instid1(VALU_DEP_2)
	v_add_f32_e32 v64, v64, v86
	v_cvt_i32_f32_e32 v86, v87
	v_exp_f32_e32 v64, v64
	v_nop
	s_delay_alu instid0(TRANS32_DEP_1) | instskip(NEXT) | instid1(VALU_DEP_1)
	v_ldexp_f32 v64, v64, v86
	v_cndmask_b32_e32 v64, 0, v64, vcc_lo
	v_cmp_nlt_f32_e32 vcc_lo, 0x42b17218, v30
	s_delay_alu instid0(VALU_DEP_2) | instskip(SKIP_2) | instid1(VALU_DEP_2)
	v_cndmask_b32_e32 v30, 0x7f800000, v64, vcc_lo
	v_mul_f32_e32 v64, 0x3fb8aa3b, v31
	v_cmp_ngt_f32_e32 vcc_lo, 0xc2ce8ed0, v31
	v_fma_f32 v86, 0x3fb8aa3b, v31, -v64
	v_rndne_f32_e32 v87, v64
	s_delay_alu instid0(VALU_DEP_2) | instskip(NEXT) | instid1(VALU_DEP_2)
	v_fmac_f32_e32 v86, 0x32a5705f, v31
	v_sub_f32_e32 v64, v64, v87
	s_delay_alu instid0(VALU_DEP_1) | instskip(SKIP_1) | instid1(VALU_DEP_2)
	v_add_f32_e32 v64, v64, v86
	v_cvt_i32_f32_e32 v86, v87
	v_exp_f32_e32 v64, v64
	v_nop
	s_delay_alu instid0(TRANS32_DEP_1) | instskip(NEXT) | instid1(VALU_DEP_1)
	v_ldexp_f32 v64, v64, v86
	v_cndmask_b32_e32 v64, 0, v64, vcc_lo
	v_cmp_nlt_f32_e32 vcc_lo, 0x42b17218, v31
	v_mul_f32_e32 v31, 0x3fb8aa3b, v66
	s_delay_alu instid0(VALU_DEP_3) | instskip(NEXT) | instid1(VALU_DEP_2)
	v_cndmask_b32_e32 v64, 0x7f800000, v64, vcc_lo
	v_fma_f32 v86, 0x3fb8aa3b, v66, -v31
	v_rndne_f32_e32 v87, v31
	v_cmp_ngt_f32_e32 vcc_lo, 0xc2ce8ed0, v66
	s_delay_alu instid0(VALU_DEP_2) | instskip(NEXT) | instid1(VALU_DEP_1)
	v_dual_fmac_f32 v86, 0x32a5705f, v66 :: v_dual_sub_f32 v31, v31, v87
	v_add_f32_e32 v31, v31, v86
	v_cvt_i32_f32_e32 v86, v87
	v_sub_f32_e32 v87, v132, v59
	s_delay_alu instid0(VALU_DEP_3) | instskip(SKIP_1) | instid1(TRANS32_DEP_1)
	v_exp_f32_e32 v31, v31
	v_nop
	v_ldexp_f32 v31, v31, v86
	s_delay_alu instid0(VALU_DEP_1) | instskip(SKIP_1) | instid1(VALU_DEP_2)
	v_cndmask_b32_e32 v31, 0, v31, vcc_lo
	v_cmp_nlt_f32_e32 vcc_lo, 0x42b17218, v66
	v_cndmask_b32_e32 v66, 0x7f800000, v31, vcc_lo
	s_delay_alu instid0(VALU_DEP_1) | instskip(NEXT) | instid1(VALU_DEP_1)
	v_cvt_f16_f32_e32 v31, v66
	v_and_b32_e32 v31, 0xffff, v31
	s_delay_alu instid0(VALU_DEP_1) | instskip(NEXT) | instid1(VALU_DEP_1)
	v_mul_u32_u24_e32 v31, 0x10001, v31
	v_pk_mul_f16 v86, v189, v31
	v_sub_f32_e32 v31, v67, v59
	s_delay_alu instid0(VALU_DEP_1) | instskip(SKIP_1) | instid1(VALU_DEP_2)
	v_mul_f32_e32 v67, 0x3fb8aa3b, v31
	v_cmp_ngt_f32_e32 vcc_lo, 0xc2ce8ed0, v31
	v_fma_f32 v106, 0x3fb8aa3b, v31, -v67
	v_rndne_f32_e32 v107, v67
	s_delay_alu instid0(VALU_DEP_2) | instskip(NEXT) | instid1(VALU_DEP_2)
	v_fmac_f32_e32 v106, 0x32a5705f, v31
	v_sub_f32_e32 v67, v67, v107
	s_delay_alu instid0(VALU_DEP_1) | instskip(SKIP_1) | instid1(VALU_DEP_2)
	v_add_f32_e32 v67, v67, v106
	v_cvt_i32_f32_e32 v106, v107
	v_exp_f32_e32 v67, v67
	v_nop
	s_delay_alu instid0(TRANS32_DEP_1) | instskip(NEXT) | instid1(VALU_DEP_1)
	v_ldexp_f32 v67, v67, v106
	v_cndmask_b32_e32 v67, 0, v67, vcc_lo
	v_cmp_nlt_f32_e32 vcc_lo, 0x42b17218, v31
	s_delay_alu instid0(VALU_DEP_2) | instskip(SKIP_2) | instid1(VALU_DEP_3)
	v_cndmask_b32_e32 v31, 0x7f800000, v67, vcc_lo
	v_mul_f32_e32 v67, 0x3fb8aa3b, v65
	v_cmp_ngt_f32_e32 vcc_lo, 0xc2ce8ed0, v65
	v_cvt_pk_f16_f32 v1, v30, v31
	s_delay_alu instid0(VALU_DEP_3) | instskip(SKIP_1) | instid1(VALU_DEP_1)
	v_fma_f32 v106, 0x3fb8aa3b, v65, -v67
	v_rndne_f32_e32 v107, v67
	v_dual_fmac_f32 v106, 0x32a5705f, v65 :: v_dual_sub_f32 v67, v67, v107
	s_delay_alu instid0(VALU_DEP_1) | instskip(SKIP_1) | instid1(VALU_DEP_2)
	v_add_f32_e32 v67, v67, v106
	v_cvt_i32_f32_e32 v106, v107
	v_exp_f32_e32 v67, v67
	v_nop
	s_delay_alu instid0(TRANS32_DEP_1) | instskip(NEXT) | instid1(VALU_DEP_1)
	v_ldexp_f32 v67, v67, v106
	v_cndmask_b32_e32 v67, 0, v67, vcc_lo
	v_cmp_nlt_f32_e32 vcc_lo, 0x42b17218, v65
	s_delay_alu instid0(VALU_DEP_2) | instskip(SKIP_2) | instid1(VALU_DEP_2)
	v_cndmask_b32_e32 v65, 0x7f800000, v67, vcc_lo
	v_mul_f32_e32 v67, 0x3fb8aa3b, v87
	v_cmp_ngt_f32_e32 vcc_lo, 0xc2ce8ed0, v87
	v_fma_f32 v106, 0x3fb8aa3b, v87, -v67
	v_rndne_f32_e32 v107, v67
	s_delay_alu instid0(VALU_DEP_2) | instskip(NEXT) | instid1(VALU_DEP_2)
	v_fmac_f32_e32 v106, 0x32a5705f, v87
	v_sub_f32_e32 v67, v67, v107
	s_delay_alu instid0(VALU_DEP_1) | instskip(SKIP_2) | instid1(VALU_DEP_3)
	v_add_f32_e32 v67, v67, v106
	v_cvt_i32_f32_e32 v106, v107
	v_sub_f32_e32 v107, v131, v60
	v_exp_f32_e32 v67, v67
	v_nop
	s_delay_alu instid0(TRANS32_DEP_1) | instskip(NEXT) | instid1(VALU_DEP_1)
	v_ldexp_f32 v67, v67, v106
	v_dual_mul_f32 v106, 0x3fb8aa3b, v78 :: v_dual_cndmask_b32 v67, 0, v67
	s_delay_alu instid0(VALU_DEP_1) | instskip(SKIP_2) | instid1(VALU_DEP_3)
	v_fma_f32 v110, 0x3fb8aa3b, v78, -v106
	v_rndne_f32_e32 v111, v106
	v_cmp_nlt_f32_e32 vcc_lo, 0x42b17218, v87
	v_fmac_f32_e32 v110, 0x32a5705f, v78
	s_delay_alu instid0(VALU_DEP_3) | instskip(SKIP_2) | instid1(VALU_DEP_3)
	v_sub_f32_e32 v106, v106, v111
	v_cndmask_b32_e32 v67, 0x7f800000, v67, vcc_lo
	v_cmp_ngt_f32_e32 vcc_lo, 0xc2ce8ed0, v78
	v_add_f32_e32 v106, v106, v110
	v_cvt_i32_f32_e32 v110, v111
	v_pk_add_f32 v[14:15], v[30:31], v[64:65]
	s_delay_alu instid0(VALU_DEP_3) | instskip(SKIP_1) | instid1(TRANS32_DEP_1)
	v_exp_f32_e32 v106, v106
	v_nop
	v_ldexp_f32 v106, v106, v110
	s_delay_alu instid0(VALU_DEP_1) | instskip(SKIP_1) | instid1(VALU_DEP_2)
	v_cndmask_b32_e32 v106, 0, v106, vcc_lo
	v_cmp_nlt_f32_e32 vcc_lo, 0x42b17218, v78
	v_cndmask_b32_e32 v78, 0x7f800000, v106, vcc_lo
	v_mul_f32_e32 v106, 0x3fb8aa3b, v75
	v_cmp_ngt_f32_e32 vcc_lo, 0xc2ce8ed0, v75
	s_delay_alu instid0(VALU_DEP_2) | instskip(SKIP_1) | instid1(VALU_DEP_2)
	v_fma_f32 v110, 0x3fb8aa3b, v75, -v106
	v_rndne_f32_e32 v111, v106
	v_fmac_f32_e32 v110, 0x32a5705f, v75
	s_delay_alu instid0(VALU_DEP_2) | instskip(NEXT) | instid1(VALU_DEP_1)
	v_sub_f32_e32 v106, v106, v111
	v_add_f32_e32 v106, v106, v110
	v_cvt_i32_f32_e32 v110, v111
	v_cvt_f16_f32_e32 v87, v67
	v_pk_fma_f32 v[42:43], v[42:43], v[66:67], v[14:15]
	s_delay_alu instid0(VALU_DEP_4) | instskip(NEXT) | instid1(VALU_DEP_2)
	v_exp_f32_e32 v106, v106
	v_and_b32_e32 v87, 0xffff, v87
	s_delay_alu instid0(TRANS32_DEP_1) | instskip(NEXT) | instid1(VALU_DEP_2)
	v_ldexp_f32 v106, v106, v110
	v_mul_u32_u24_e32 v87, 0x10001, v87
	s_delay_alu instid0(VALU_DEP_2) | instskip(SKIP_2) | instid1(VALU_DEP_4)
	v_cndmask_b32_e32 v106, 0, v106, vcc_lo
	v_cmp_nlt_f32_e32 vcc_lo, 0x42b17218, v75
	v_mul_f32_e32 v75, 0x3fb8aa3b, v107
	v_pk_mul_f16 v87, v185, v87
	s_delay_alu instid0(VALU_DEP_4) | instskip(NEXT) | instid1(VALU_DEP_3)
	v_cndmask_b32_e32 v106, 0x7f800000, v106, vcc_lo
	v_fma_f32 v110, 0x3fb8aa3b, v107, -v75
	v_rndne_f32_e32 v111, v75
	v_cmp_ngt_f32_e32 vcc_lo, 0xc2ce8ed0, v107
	s_delay_alu instid0(VALU_DEP_3) | instskip(NEXT) | instid1(VALU_DEP_3)
	v_fmac_f32_e32 v110, 0x32a5705f, v107
	v_sub_f32_e32 v75, v75, v111
	s_delay_alu instid0(VALU_DEP_1) | instskip(SKIP_2) | instid1(VALU_DEP_3)
	v_add_f32_e32 v75, v75, v110
	v_cvt_i32_f32_e32 v110, v111
	v_sub_f32_e32 v111, v130, v61
	v_exp_f32_e32 v75, v75
	v_nop
	s_delay_alu instid0(TRANS32_DEP_1) | instskip(NEXT) | instid1(VALU_DEP_1)
	v_ldexp_f32 v75, v75, v110
	v_cndmask_b32_e32 v75, 0, v75, vcc_lo
	v_cmp_nlt_f32_e32 vcc_lo, 0x42b17218, v107
	v_mul_f32_e32 v107, 0x3fb8aa3b, v79
	s_delay_alu instid0(VALU_DEP_3) | instskip(NEXT) | instid1(VALU_DEP_2)
	v_cndmask_b32_e32 v110, 0x7f800000, v75, vcc_lo
	v_fma_f32 v112, 0x3fb8aa3b, v79, -v107
	v_rndne_f32_e32 v113, v107
	v_cmp_ngt_f32_e32 vcc_lo, 0xc2ce8ed0, v79
	s_delay_alu instid0(VALU_DEP_2) | instskip(NEXT) | instid1(VALU_DEP_1)
	v_dual_fmac_f32 v112, 0x32a5705f, v79 :: v_dual_sub_f32 v107, v107, v113
	v_add_f32_e32 v107, v107, v112
	v_cvt_i32_f32_e32 v112, v113
	s_delay_alu instid0(VALU_DEP_2) | instskip(SKIP_1) | instid1(TRANS32_DEP_1)
	v_exp_f32_e32 v107, v107
	v_nop
	v_ldexp_f32 v107, v107, v112
	s_delay_alu instid0(VALU_DEP_1) | instskip(SKIP_1) | instid1(VALU_DEP_2)
	v_cndmask_b32_e32 v107, 0, v107, vcc_lo
	v_cmp_nlt_f32_e32 vcc_lo, 0x42b17218, v79
	v_cndmask_b32_e32 v79, 0x7f800000, v107, vcc_lo
	v_mul_f32_e32 v107, 0x3fb8aa3b, v76
	v_cmp_ngt_f32_e32 vcc_lo, 0xc2ce8ed0, v76
	s_delay_alu instid0(VALU_DEP_3) | instskip(NEXT) | instid1(VALU_DEP_3)
	v_cvt_pk_f16_f32 v2, v78, v79
	v_fma_f32 v112, 0x3fb8aa3b, v76, -v107
	v_rndne_f32_e32 v113, v107
	s_delay_alu instid0(VALU_DEP_1) | instskip(NEXT) | instid1(VALU_DEP_1)
	v_dual_fmac_f32 v112, 0x32a5705f, v76 :: v_dual_sub_f32 v107, v107, v113
	v_add_f32_e32 v107, v107, v112
	v_cvt_i32_f32_e32 v112, v113
	v_cvt_f16_f32_e32 v75, v110
	s_delay_alu instid0(VALU_DEP_3) | instskip(NEXT) | instid1(VALU_DEP_1)
	v_exp_f32_e32 v107, v107
	v_and_b32_e32 v75, 0xffff, v75
	s_delay_alu instid0(TRANS32_DEP_1) | instskip(NEXT) | instid1(VALU_DEP_2)
	v_ldexp_f32 v107, v107, v112
	v_mul_u32_u24_e32 v75, 0x10001, v75
	s_delay_alu instid0(VALU_DEP_2) | instskip(SKIP_2) | instid1(VALU_DEP_4)
	v_cndmask_b32_e32 v107, 0, v107, vcc_lo
	v_cmp_nlt_f32_e32 vcc_lo, 0x42b17218, v76
	v_mul_f32_e32 v76, 0x3fb8aa3b, v111
	v_pk_mul_f16 v75, v184, v75
	s_delay_alu instid0(VALU_DEP_2) | instskip(SKIP_3) | instid1(VALU_DEP_4)
	v_fma_f32 v112, 0x3fb8aa3b, v111, -v76
	v_rndne_f32_e32 v113, v76
	v_cndmask_b32_e32 v107, 0x7f800000, v107, vcc_lo
	v_cmp_ngt_f32_e32 vcc_lo, 0xc2ce8ed0, v111
	v_fmac_f32_e32 v112, 0x32a5705f, v111
	s_delay_alu instid0(VALU_DEP_4) | instskip(NEXT) | instid1(VALU_DEP_4)
	v_sub_f32_e32 v76, v76, v113
	v_pk_add_f32 v[18:19], v[78:79], v[106:107]
	s_delay_alu instid0(VALU_DEP_2) | instskip(SKIP_2) | instid1(VALU_DEP_3)
	v_add_f32_e32 v76, v76, v112
	v_cvt_i32_f32_e32 v112, v113
	v_sub_f32_e32 v113, v129, v62
	v_exp_f32_e32 v76, v76
	v_nop
	s_delay_alu instid0(TRANS32_DEP_1) | instskip(SKIP_1) | instid1(VALU_DEP_2)
	v_ldexp_f32 v76, v76, v112
	v_mul_f32_e32 v112, 0x3fb8aa3b, v80
	v_cndmask_b32_e32 v76, 0, v76, vcc_lo
	v_cmp_nlt_f32_e32 vcc_lo, 0x42b17218, v111
	s_delay_alu instid0(VALU_DEP_3) | instskip(SKIP_1) | instid1(VALU_DEP_4)
	v_fma_f32 v114, 0x3fb8aa3b, v80, -v112
	v_rndne_f32_e32 v129, v112
	v_cndmask_b32_e32 v111, 0x7f800000, v76, vcc_lo
	s_delay_alu instid0(VALU_DEP_3) | instskip(NEXT) | instid1(VALU_DEP_3)
	v_fmac_f32_e32 v114, 0x32a5705f, v80
	v_sub_f32_e32 v112, v112, v129
	v_cmp_ngt_f32_e32 vcc_lo, 0xc2ce8ed0, v80
	s_delay_alu instid0(VALU_DEP_4) | instskip(SKIP_1) | instid1(VALU_DEP_4)
	v_pk_fma_f32 v[44:45], v[44:45], v[110:111], v[18:19]
	v_cvt_f16_f32_e32 v76, v111
	v_add_f32_e32 v112, v112, v114
	v_cvt_i32_f32_e32 v114, v129
	s_delay_alu instid0(VALU_DEP_3) | instskip(NEXT) | instid1(VALU_DEP_3)
	v_and_b32_e32 v76, 0xffff, v76
	v_exp_f32_e32 v112, v112
	s_delay_alu instid0(VALU_DEP_1) | instskip(NEXT) | instid1(TRANS32_DEP_1)
	v_mul_u32_u24_e32 v76, 0x10001, v76
	v_ldexp_f32 v112, v112, v114
	s_delay_alu instid0(VALU_DEP_2) | instskip(NEXT) | instid1(VALU_DEP_2)
	v_pk_mul_f16 v76, v182, v76
	v_cndmask_b32_e32 v112, 0, v112, vcc_lo
	v_cmp_nlt_f32_e32 vcc_lo, 0x42b17218, v80
	s_delay_alu instid0(VALU_DEP_2) | instskip(SKIP_2) | instid1(VALU_DEP_2)
	v_cndmask_b32_e32 v80, 0x7f800000, v112, vcc_lo
	v_mul_f32_e32 v112, 0x3fb8aa3b, v77
	v_cmp_ngt_f32_e32 vcc_lo, 0xc2ce8ed0, v77
	v_fma_f32 v114, 0x3fb8aa3b, v77, -v112
	v_rndne_f32_e32 v129, v112
	s_delay_alu instid0(VALU_DEP_2) | instskip(NEXT) | instid1(VALU_DEP_2)
	v_fmac_f32_e32 v114, 0x32a5705f, v77
	v_sub_f32_e32 v112, v112, v129
	s_delay_alu instid0(VALU_DEP_1) | instskip(SKIP_1) | instid1(VALU_DEP_2)
	v_add_f32_e32 v112, v112, v114
	v_cvt_i32_f32_e32 v114, v129
	v_exp_f32_e32 v112, v112
	v_nop
	s_delay_alu instid0(TRANS32_DEP_1) | instskip(NEXT) | instid1(VALU_DEP_1)
	v_ldexp_f32 v112, v112, v114
	v_cndmask_b32_e32 v112, 0, v112, vcc_lo
	v_cmp_nlt_f32_e32 vcc_lo, 0x42b17218, v77
	v_mul_f32_e32 v77, 0x3fb8aa3b, v113
	s_delay_alu instid0(VALU_DEP_1) | instskip(SKIP_1) | instid1(VALU_DEP_2)
	v_fma_f32 v114, 0x3fb8aa3b, v113, -v77
	v_rndne_f32_e32 v129, v77
	v_fmac_f32_e32 v114, 0x32a5705f, v113
	s_delay_alu instid0(VALU_DEP_2) | instskip(NEXT) | instid1(VALU_DEP_1)
	v_sub_f32_e32 v77, v77, v129
	v_add_f32_e32 v77, v77, v114
	v_cvt_i32_f32_e32 v114, v129
	s_delay_alu instid0(VALU_DEP_2) | instskip(SKIP_1) | instid1(TRANS32_DEP_1)
	v_exp_f32_e32 v77, v77
	v_nop
	v_ldexp_f32 v77, v77, v114
	v_sub_f32_e32 v114, v128, v63
	v_cndmask_b32_e32 v112, 0x7f800000, v112, vcc_lo
	v_cmp_ngt_f32_e32 vcc_lo, 0xc2ce8ed0, v113
	s_delay_alu instid0(VALU_DEP_4) | instskip(SKIP_2) | instid1(VALU_DEP_3)
	v_cndmask_b32_e32 v77, 0, v77, vcc_lo
	v_cmp_nlt_f32_e32 vcc_lo, 0x42b17218, v113
	v_mul_f32_e32 v113, 0x3fb8aa3b, v81
	v_cndmask_b32_e32 v130, 0x7f800000, v77, vcc_lo
	s_delay_alu instid0(VALU_DEP_2) | instskip(SKIP_2) | instid1(VALU_DEP_3)
	v_fma_f32 v128, 0x3fb8aa3b, v81, -v113
	v_rndne_f32_e32 v129, v113
	v_cmp_ngt_f32_e32 vcc_lo, 0xc2ce8ed0, v81
	v_fmac_f32_e32 v128, 0x32a5705f, v81
	s_delay_alu instid0(VALU_DEP_3) | instskip(NEXT) | instid1(VALU_DEP_1)
	v_sub_f32_e32 v113, v113, v129
	v_add_f32_e32 v113, v113, v128
	v_cvt_i32_f32_e32 v128, v129
	s_delay_alu instid0(VALU_DEP_2) | instskip(SKIP_1) | instid1(TRANS32_DEP_1)
	v_exp_f32_e32 v113, v113
	v_nop
	v_ldexp_f32 v113, v113, v128
	s_delay_alu instid0(VALU_DEP_1) | instskip(SKIP_1) | instid1(VALU_DEP_2)
	v_cndmask_b32_e32 v113, 0, v113, vcc_lo
	v_cmp_nlt_f32_e32 vcc_lo, 0x42b17218, v81
	v_cndmask_b32_e32 v81, 0x7f800000, v113, vcc_lo
	v_mul_f32_e32 v113, 0x3fb8aa3b, v83
	v_cmp_ngt_f32_e32 vcc_lo, 0xc2ce8ed0, v83
	s_delay_alu instid0(VALU_DEP_3) | instskip(NEXT) | instid1(VALU_DEP_3)
	v_cvt_pk_f16_f32 v3, v80, v81
	v_fma_f32 v128, 0x3fb8aa3b, v83, -v113
	v_rndne_f32_e32 v129, v113
	s_delay_alu instid0(VALU_DEP_1) | instskip(NEXT) | instid1(VALU_DEP_1)
	v_dual_fmac_f32 v128, 0x32a5705f, v83 :: v_dual_sub_f32 v113, v113, v129
	v_add_f32_e32 v113, v113, v128
	v_cvt_i32_f32_e32 v128, v129
	v_cvt_f16_f32_e64 v77, v130
	s_delay_alu instid0(VALU_DEP_3) | instskip(NEXT) | instid1(VALU_DEP_1)
	v_exp_f32_e32 v113, v113
	v_and_b32_e32 v77, 0xffff, v77
	s_delay_alu instid0(TRANS32_DEP_1) | instskip(NEXT) | instid1(VALU_DEP_2)
	v_ldexp_f32 v113, v113, v128
	v_mul_u32_u24_e32 v77, 0x10001, v77
	s_delay_alu instid0(VALU_DEP_2) | instskip(SKIP_2) | instid1(VALU_DEP_4)
	v_cndmask_b32_e32 v113, 0, v113, vcc_lo
	v_cmp_nlt_f32_e32 vcc_lo, 0x42b17218, v83
	v_mul_f32_e32 v83, 0x3fb8aa3b, v114
	v_pk_mul_f16 v77, v179, v77
	s_delay_alu instid0(VALU_DEP_2) | instskip(SKIP_1) | instid1(VALU_DEP_1)
	v_fma_f32 v128, 0x3fb8aa3b, v114, -v83
	v_rndne_f32_e32 v129, v83
	v_dual_fmac_f32 v128, 0x32a5705f, v114 :: v_dual_sub_f32 v83, v83, v129
	v_cndmask_b32_e32 v113, 0x7f800000, v113, vcc_lo
	v_cmp_ngt_f32_e32 vcc_lo, 0xc2ce8ed0, v114
	s_delay_alu instid0(VALU_DEP_3) | instskip(SKIP_1) | instid1(VALU_DEP_2)
	v_add_f32_e32 v83, v83, v128
	v_cvt_i32_f32_e32 v128, v129
	v_exp_f32_e32 v83, v83
	v_nop
	s_delay_alu instid0(TRANS32_DEP_1) | instskip(NEXT) | instid1(VALU_DEP_1)
	v_ldexp_f32 v83, v83, v128
	v_cndmask_b32_e32 v83, 0, v83, vcc_lo
	v_cmp_nlt_f32_e32 vcc_lo, 0x42b17218, v114
	s_delay_alu instid0(VALU_DEP_2) | instskip(NEXT) | instid1(VALU_DEP_1)
	v_cndmask_b32_e32 v131, 0x7f800000, v83, vcc_lo
	v_cvt_f16_f32_e64 v0, v131
	s_delay_alu instid0(VALU_DEP_1) | instskip(NEXT) | instid1(VALU_DEP_1)
	v_and_b32_e32 v0, 0xffff, v0
	v_mul_u32_u24_e32 v0, 0x10001, v0
	s_delay_alu instid0(VALU_DEP_1)
	v_pk_mul_f16 v8, v178, v0
	v_cvt_pk_f16_f32 v0, v24, v25
	ds_store_b128 v126, v[0:3] offset:1024
	v_cvt_pk_f16_f32 v3, v112, v113
	v_cvt_pk_f16_f32 v2, v106, v107
	;; [unrolled: 1-line block ×4, first 2 shown]
	ds_store_b128 v126, v[0:3] offset:1536
	v_lshl_add_u64 v[2:3], v[100:101], 2, s[38:39]
	v_lshl_add_u64 v[0:1], v[98:99], 2, s[38:39]
	s_delay_alu instid0(VALU_DEP_2) | instskip(SKIP_1) | instid1(VALU_DEP_3)
	v_add_nc_u64_e32 v[4:5], v[2:3], v[88:89]
	v_lshl_add_u64 v[2:3], v[102:103], 2, s[38:39]
	v_add_nc_u64_e32 v[0:1], v[0:1], v[88:89]
	s_delay_alu instid0(VALU_DEP_2) | instskip(SKIP_1) | instid1(VALU_DEP_1)
	v_add_nc_u64_e32 v[6:7], v[2:3], v[88:89]
	v_lshl_add_u64 v[2:3], v[104:105], 2, s[38:39]
	v_add_nc_u64_e32 v[10:11], v[2:3], v[88:89]
	global_load_b128 v[0:3], v[0:1], off
	s_wait_loadcnt 0x0
	ds_store_b128 v124, v[0:3]
	global_load_b128 v[0:3], v[4:5], off
	s_wait_xcnt 0x0
	v_add_nc_u32_e32 v4, 0x800, v124
	s_wait_loadcnt 0x0
	ds_store_b128 v4, v[0:3]
	global_load_b128 v[0:3], v[6:7], off
	v_add_nc_u32_e32 v4, 0x1000, v124
	s_wait_loadcnt 0x0
	ds_store_b128 v4, v[0:3]
	global_load_b128 v[0:3], v[10:11], off
	v_add_nc_u32_e32 v4, 0x1800, v124
	s_wait_loadcnt 0x0
	ds_store_b128 v4, v[0:3]
	s_wait_dscnt 0x0
	s_barrier_signal -1
	s_barrier_wait -1
	ds_load_2addr_b32 v[12:13], v181 offset1:32
	ds_load_b128 v[14:17], v183
	ds_load_b128 v[64:67], v183 offset:16
	ds_load_b128 v[4:7], v183 offset:32
	;; [unrolled: 1-line block ×3, first 2 shown]
	s_wait_dscnt 0x3
	v_lshrrev_b32_e32 v9, 16, v14
	v_and_b32_e32 v14, 0xffff, v14
	v_lshrrev_b32_e32 v10, 16, v15
	v_pk_add_f32 v[20:21], v[80:81], v[112:113]
	v_dual_lshrrev_b32 v11, 16, v16 :: v_dual_lshrrev_b32 v18, 16, v17
	s_delay_alu instid0(VALU_DEP_4) | instskip(SKIP_1) | instid1(VALU_DEP_4)
	v_mul_u32_u24_e32 v19, 0x10001, v14
	v_and_b32_e32 v14, 0xffff, v15
	v_pk_fma_f32 v[46:47], v[46:47], v[130:131], v[20:21]
	v_mul_u32_u24_e32 v9, 0x10001, v9
	v_mul_u32_u24_e32 v23, 0x10001, v18
	;; [unrolled: 1-line block ×4, first 2 shown]
	v_and_b32_e32 v14, 0xffff, v16
	s_delay_alu instid0(VALU_DEP_1) | instskip(SKIP_1) | instid1(VALU_DEP_1)
	v_mul_u32_u24_e32 v21, 0x10001, v14
	v_and_b32_e32 v14, 0xffff, v17
	v_mul_u32_u24_e32 v22, 0x10001, v14
	ds_load_b128 v[14:17], v183 offset:1024
	s_wait_dscnt 0x0
	v_lshrrev_b32_e32 v18, 16, v14
	v_and_b32_e32 v14, 0xffff, v14
	v_dual_lshrrev_b32 v24, 16, v15 :: v_dual_lshrrev_b32 v25, 16, v16
	v_lshrrev_b32_e32 v26, 16, v17
	v_mul_u32_u24_e32 v11, 0x10001, v11
	s_delay_alu instid0(VALU_DEP_4)
	v_mul_u32_u24_e32 v27, 0x10001, v14
	v_and_b32_e32 v14, 0xffff, v15
	v_mul_u32_u24_e32 v28, 0x10001, v18
	v_mul_u32_u24_e32 v30, 0x10001, v24
	;; [unrolled: 1-line block ×5, first 2 shown]
	v_and_b32_e32 v14, 0xffff, v16
	v_pk_fma_f16 v15, v12, v9, v69
	v_pk_fma_f16 v16, v12, v20, v70
	;; [unrolled: 1-line block ×4, first 2 shown]
	v_mul_u32_u24_e32 v31, 0x10001, v14
	v_and_b32_e32 v14, 0xffff, v17
	v_pk_fma_f16 v17, v12, v10, v71
	v_pk_fma_f16 v21, v12, v23, v82
	;; [unrolled: 1-line block ×4, first 2 shown]
	v_mul_u32_u24_e32 v79, 0x10001, v14
	v_pk_fma_f16 v14, v12, v19, v68
	v_pk_fma_f16 v19, v12, v11, v73
	;; [unrolled: 1-line block ×8, first 2 shown]
	v_dual_lshrrev_b32 v8, 16, v64 :: v_dual_lshrrev_b32 v9, 16, v65
	v_dual_lshrrev_b32 v10, 16, v66 :: v_dual_lshrrev_b32 v11, 16, v67
	v_and_b32_e32 v29, 0xffff, v64
	s_delay_alu instid0(VALU_DEP_3)
	v_mul_u32_u24_e32 v30, 0x10001, v8
	v_and_b32_e32 v8, 0xffff, v65
	v_mul_u32_u24_e32 v64, 0x10001, v9
	v_mul_u32_u24_e32 v68, 0x10001, v11
	;; [unrolled: 1-line block ×3, first 2 shown]
	v_pk_fma_f16 v15, v13, v30, v15
	v_mul_u32_u24_e32 v31, 0x10001, v8
	v_and_b32_e32 v8, 0xffff, v66
	v_mul_u32_u24_e32 v66, 0x10001, v10
	v_pk_fma_f16 v17, v13, v64, v17
	v_pk_fma_f16 v14, v13, v29, v14
	;; [unrolled: 1-line block ×3, first 2 shown]
	v_mul_u32_u24_e32 v65, 0x10001, v8
	v_and_b32_e32 v8, 0xffff, v67
	v_pk_fma_f16 v19, v13, v66, v19
	v_pk_fma_f16 v21, v13, v68, v21
	s_delay_alu instid0(VALU_DEP_4) | instskip(NEXT) | instid1(VALU_DEP_4)
	v_pk_fma_f16 v18, v13, v65, v18
	v_mul_u32_u24_e32 v67, 0x10001, v8
	ds_load_b128 v[8:11], v183 offset:1040
	v_pk_fma_f16 v20, v13, v67, v20
	s_wait_dscnt 0x0
	v_dual_lshrrev_b32 v71, 16, v10 :: v_dual_lshrrev_b32 v72, 16, v11
	v_and_b32_e32 v10, 0xffff, v10
	v_dual_lshrrev_b32 v69, 16, v8 :: v_dual_lshrrev_b32 v70, 16, v9
	v_and_b32_e32 v8, 0xffff, v8
	v_and_b32_e32 v9, 0xffff, v9
	s_delay_alu instid0(VALU_DEP_4)
	v_mul_u32_u24_e32 v10, 0x10001, v10
	v_and_b32_e32 v11, 0xffff, v11
	v_mul_u32_u24_e32 v69, 0x10001, v69
	v_mul_u32_u24_e32 v8, 0x10001, v8
	;; [unrolled: 1-line block ×3, first 2 shown]
	v_pk_fma_f16 v26, v13, v10, v26
	v_lshrrev_b32_e32 v10, 16, v4
	v_and_b32_e32 v4, 0xffff, v4
	v_mul_u32_u24_e32 v70, 0x10001, v70
	v_mul_u32_u24_e32 v71, 0x10001, v71
	;; [unrolled: 1-line block ×5, first 2 shown]
	v_and_b32_e32 v4, 0xffff, v5
	v_pk_fma_f16 v22, v13, v8, v22
	v_pk_fma_f16 v23, v13, v69, v23
	;; [unrolled: 1-line block ×4, first 2 shown]
	v_mul_u32_u24_e32 v31, 0x10001, v4
	v_and_b32_e32 v4, 0xffff, v6
	v_pk_fma_f16 v27, v13, v71, v27
	v_pk_fma_f16 v28, v13, v11, v28
	;; [unrolled: 1-line block ×3, first 2 shown]
	v_lshrrev_b32_e32 v11, 16, v5
	v_mul_u32_u24_e32 v64, 0x10001, v4
	v_and_b32_e32 v4, 0xffff, v7
	v_dual_lshrrev_b32 v12, 16, v6 :: v_dual_lshrrev_b32 v13, 16, v7
	ds_load_2addr_b32 v[8:9], v181 offset0:64 offset1:96
	v_mul_u32_u24_e32 v10, 0x10001, v10
	v_mul_u32_u24_e32 v65, 0x10001, v4
	ds_load_b128 v[4:7], v183 offset:1056
	v_mul_u32_u24_e32 v13, 0x10001, v13
	v_mul_u32_u24_e32 v11, 0x10001, v11
	;; [unrolled: 1-line block ×3, first 2 shown]
	s_wait_dscnt 0x1
	s_delay_alu instid0(VALU_DEP_3) | instskip(SKIP_4) | instid1(VALU_DEP_3)
	v_pk_fma_f16 v13, v8, v13, v21
	s_wait_dscnt 0x0
	v_dual_lshrrev_b32 v66, 16, v4 :: v_dual_lshrrev_b32 v67, 16, v5
	v_and_b32_e32 v4, 0xffff, v4
	v_dual_lshrrev_b32 v68, 16, v6 :: v_dual_lshrrev_b32 v69, 16, v7
	v_mul_u32_u24_e32 v66, 0x10001, v66
	s_delay_alu instid0(VALU_DEP_4) | instskip(NEXT) | instid1(VALU_DEP_4)
	v_mul_u32_u24_e32 v67, 0x10001, v67
	v_mul_u32_u24_e32 v70, 0x10001, v4
	v_and_b32_e32 v4, 0xffff, v5
	v_pk_fma_f16 v5, v8, v10, v15
	v_pk_fma_f16 v15, v8, v66, v23
	v_mul_u32_u24_e32 v68, 0x10001, v68
	v_pk_fma_f16 v10, v8, v64, v18
	v_mul_u32_u24_e32 v71, 0x10001, v4
	v_and_b32_e32 v4, 0xffff, v6
	v_pk_fma_f16 v6, v8, v31, v16
	v_mul_u32_u24_e32 v69, 0x10001, v69
	s_delay_alu instid0(VALU_DEP_4) | instskip(NEXT) | instid1(VALU_DEP_4)
	v_pk_fma_f16 v16, v8, v71, v24
	v_mul_u32_u24_e32 v72, 0x10001, v4
	v_and_b32_e32 v4, 0xffff, v7
	v_pk_fma_f16 v7, v8, v11, v17
	v_pk_fma_f16 v17, v8, v67, v25
	;; [unrolled: 1-line block ×4, first 2 shown]
	v_mul_u32_u24_e32 v73, 0x10001, v4
	v_pk_fma_f16 v4, v8, v30, v14
	v_pk_fma_f16 v14, v8, v70, v22
	v_dual_lshrrev_b32 v22, 16, v0 :: v_dual_lshrrev_b32 v24, 16, v1
	v_and_b32_e32 v0, 0xffff, v0
	v_pk_fma_f16 v18, v8, v72, v26
	v_pk_fma_f16 v19, v8, v68, v27
	v_pk_fma_f16 v20, v8, v73, v28
	v_dual_lshrrev_b32 v26, 16, v2 :: v_dual_lshrrev_b32 v28, 16, v3
	v_mul_u32_u24_e32 v21, 0x10001, v0
	v_and_b32_e32 v0, 0xffff, v1
	v_pk_fma_f16 v8, v8, v69, v29
	v_mul_u32_u24_e32 v22, 0x10001, v22
	v_mul_u32_u24_e32 v26, 0x10001, v26
	v_pk_fma_f16 v21, v9, v21, v4
	v_mul_u32_u24_e32 v23, 0x10001, v0
	v_and_b32_e32 v0, 0xffff, v2
	v_pk_fma_f16 v22, v9, v22, v5
	v_mul_u32_u24_e32 v28, 0x10001, v28
	v_pk_fma_f16 v11, v9, v26, v11
	v_pk_fma_f16 v23, v9, v23, v6
	v_mul_u32_u24_e32 v25, 0x10001, v0
	v_and_b32_e32 v0, 0xffff, v3
	v_pk_fma_f16 v13, v9, v28, v13
	v_mul_u32_u24_e32 v24, 0x10001, v24
	s_delay_alu instid0(VALU_DEP_4) | instskip(NEXT) | instid1(VALU_DEP_4)
	v_pk_fma_f16 v10, v9, v25, v10
	v_mul_u32_u24_e32 v27, 0x10001, v0
	ds_load_b128 v[0:3], v183 offset:1072
	v_pk_fma_f16 v24, v9, v24, v7
	v_pk_fma_f16 v12, v9, v27, v12
	s_wait_dscnt 0x0
	v_dual_lshrrev_b32 v29, 16, v0 :: v_dual_lshrrev_b32 v30, 16, v1
	v_dual_lshrrev_b32 v31, 16, v2 :: v_dual_lshrrev_b32 v64, 16, v3
	v_and_b32_e32 v0, 0xffff, v0
	v_and_b32_e32 v1, 0xffff, v1
	;; [unrolled: 1-line block ×4, first 2 shown]
	v_mul_u32_u24_e32 v30, 0x10001, v30
	v_mul_u32_u24_e32 v0, 0x10001, v0
	;; [unrolled: 1-line block ×6, first 2 shown]
	v_pk_fma_f16 v14, v9, v0, v14
	v_pk_fma_f16 v16, v9, v1, v16
	;; [unrolled: 1-line block ×4, first 2 shown]
	ds_load_2addr_b32 v[4:5], v181 offset0:128 offset1:160
	ds_load_b128 v[0:3], v183 offset:64
	v_mul_u32_u24_e32 v31, 0x10001, v31
	v_mul_u32_u24_e32 v64, 0x10001, v64
	v_pk_fma_f16 v17, v9, v30, v17
	v_pk_fma_f16 v15, v9, v29, v15
	s_delay_alu instid0(VALU_DEP_4) | instskip(NEXT) | instid1(VALU_DEP_4)
	v_pk_fma_f16 v19, v9, v31, v19
	v_pk_fma_f16 v25, v9, v64, v8
	s_wait_dscnt 0x0
	v_dual_lshrrev_b32 v6, 16, v0 :: v_dual_lshrrev_b32 v7, 16, v1
	v_and_b32_e32 v0, 0xffff, v0
	v_dual_lshrrev_b32 v8, 16, v2 :: v_dual_lshrrev_b32 v9, 16, v3
	s_delay_alu instid0(VALU_DEP_3) | instskip(NEXT) | instid1(VALU_DEP_4)
	v_mul_u32_u24_e32 v27, 0x10001, v6
	v_mul_u32_u24_e32 v29, 0x10001, v7
	s_delay_alu instid0(VALU_DEP_4) | instskip(SKIP_3) | instid1(VALU_DEP_3)
	v_mul_u32_u24_e32 v26, 0x10001, v0
	v_and_b32_e32 v0, 0xffff, v1
	v_mul_u32_u24_e32 v31, 0x10001, v8
	v_mul_u32_u24_e32 v65, 0x10001, v9
	;; [unrolled: 1-line block ×3, first 2 shown]
	v_and_b32_e32 v0, 0xffff, v2
	s_delay_alu instid0(VALU_DEP_4) | instskip(NEXT) | instid1(VALU_DEP_4)
	v_pk_fma_f16 v11, v4, v31, v11
	v_pk_fma_f16 v13, v4, v65, v13
	s_delay_alu instid0(VALU_DEP_3) | instskip(SKIP_1) | instid1(VALU_DEP_2)
	v_mul_u32_u24_e32 v30, 0x10001, v0
	v_and_b32_e32 v0, 0xffff, v3
	v_pk_fma_f16 v10, v4, v30, v10
	s_delay_alu instid0(VALU_DEP_2)
	v_mul_u32_u24_e32 v64, 0x10001, v0
	ds_load_b128 v[0:3], v183 offset:1088
	v_pk_fma_f16 v12, v4, v64, v12
	s_wait_dscnt 0x0
	v_dual_lshrrev_b32 v6, 16, v0 :: v_dual_lshrrev_b32 v7, 16, v1
	v_dual_lshrrev_b32 v8, 16, v2 :: v_dual_lshrrev_b32 v9, 16, v3
	v_and_b32_e32 v0, 0xffff, v0
	v_and_b32_e32 v1, 0xffff, v1
	;; [unrolled: 1-line block ×4, first 2 shown]
	v_mul_u32_u24_e32 v67, 0x10001, v7
	v_mul_u32_u24_e32 v0, 0x10001, v0
	;; [unrolled: 1-line block ×5, first 2 shown]
	v_pk_fma_f16 v7, v4, v27, v22
	v_pk_fma_f16 v14, v4, v0, v14
	;; [unrolled: 1-line block ×5, first 2 shown]
	ds_load_b128 v[0:3], v183 offset:80
	v_mul_u32_u24_e32 v66, 0x10001, v6
	v_pk_fma_f16 v6, v4, v26, v21
	v_mul_u32_u24_e32 v68, 0x10001, v8
	v_mul_u32_u24_e32 v69, 0x10001, v9
	v_pk_fma_f16 v8, v4, v28, v23
	v_pk_fma_f16 v9, v4, v29, v24
	v_pk_fma_f16 v15, v4, v66, v15
	v_pk_fma_f16 v17, v4, v67, v17
	v_pk_fma_f16 v19, v4, v68, v19
	v_pk_fma_f16 v4, v4, v69, v25
	s_wait_dscnt 0x0
	v_dual_lshrrev_b32 v22, 16, v0 :: v_dual_lshrrev_b32 v24, 16, v1
	v_and_b32_e32 v0, 0xffff, v0
	v_dual_lshrrev_b32 v26, 16, v2 :: v_dual_lshrrev_b32 v28, 16, v3
	s_delay_alu instid0(VALU_DEP_3) | instskip(NEXT) | instid1(VALU_DEP_4)
	v_mul_u32_u24_e32 v22, 0x10001, v22
	v_mul_u32_u24_e32 v24, 0x10001, v24
	s_delay_alu instid0(VALU_DEP_4)
	v_mul_u32_u24_e32 v21, 0x10001, v0
	v_and_b32_e32 v0, 0xffff, v1
	v_mul_u32_u24_e32 v26, 0x10001, v26
	v_mul_u32_u24_e32 v28, 0x10001, v28
	v_pk_fma_f16 v7, v5, v22, v7
	v_pk_fma_f16 v6, v5, v21, v6
	v_mul_u32_u24_e32 v23, 0x10001, v0
	v_and_b32_e32 v0, 0xffff, v2
	v_pk_fma_f16 v9, v5, v24, v9
	v_pk_fma_f16 v11, v5, v26, v11
	;; [unrolled: 1-line block ×4, first 2 shown]
	v_mul_u32_u24_e32 v25, 0x10001, v0
	v_and_b32_e32 v0, 0xffff, v3
	s_delay_alu instid0(VALU_DEP_2) | instskip(NEXT) | instid1(VALU_DEP_2)
	v_pk_fma_f16 v10, v5, v25, v10
	v_mul_u32_u24_e32 v27, 0x10001, v0
	ds_load_b128 v[0:3], v183 offset:1104
	v_pk_fma_f16 v12, v5, v27, v12
	s_wait_dscnt 0x0
	v_dual_lshrrev_b32 v29, 16, v0 :: v_dual_lshrrev_b32 v30, 16, v1
	v_dual_lshrrev_b32 v31, 16, v2 :: v_dual_lshrrev_b32 v64, 16, v3
	v_and_b32_e32 v0, 0xffff, v0
	v_and_b32_e32 v1, 0xffff, v1
	;; [unrolled: 1-line block ×4, first 2 shown]
	v_mul_u32_u24_e32 v29, 0x10001, v29
	v_mul_u32_u24_e32 v0, 0x10001, v0
	v_mul_u32_u24_e32 v1, 0x10001, v1
	v_mul_u32_u24_e32 v30, 0x10001, v30
	v_mul_u32_u24_e32 v2, 0x10001, v2
	v_mul_u32_u24_e32 v31, 0x10001, v31
	v_mul_u32_u24_e32 v3, 0x10001, v3
	v_mul_u32_u24_e32 v64, 0x10001, v64
	v_pk_fma_f16 v14, v5, v0, v14
	v_pk_fma_f16 v15, v5, v29, v15
	;; [unrolled: 1-line block ×8, first 2 shown]
	ds_load_2addr_b32 v[4:5], v181 offset0:192 offset1:224
	ds_load_b128 v[0:3], v183 offset:96
	s_wait_dscnt 0x0
	v_dual_lshrrev_b32 v22, 16, v0 :: v_dual_lshrrev_b32 v23, 16, v1
	v_and_b32_e32 v0, 0xffff, v0
	v_dual_lshrrev_b32 v24, 16, v2 :: v_dual_lshrrev_b32 v25, 16, v3
	s_delay_alu instid0(VALU_DEP_3) | instskip(NEXT) | instid1(VALU_DEP_4)
	v_mul_u32_u24_e32 v22, 0x10001, v22
	v_mul_u32_u24_e32 v23, 0x10001, v23
	s_delay_alu instid0(VALU_DEP_4)
	v_mul_u32_u24_e32 v26, 0x10001, v0
	v_and_b32_e32 v0, 0xffff, v1
	v_mul_u32_u24_e32 v24, 0x10001, v24
	v_mul_u32_u24_e32 v25, 0x10001, v25
	v_pk_fma_f16 v7, v4, v22, v7
	v_pk_fma_f16 v6, v4, v26, v6
	v_mul_u32_u24_e32 v27, 0x10001, v0
	v_and_b32_e32 v0, 0xffff, v2
	v_pk_fma_f16 v9, v4, v23, v9
	v_pk_fma_f16 v11, v4, v24, v11
	;; [unrolled: 1-line block ×4, first 2 shown]
	v_mul_u32_u24_e32 v28, 0x10001, v0
	v_and_b32_e32 v0, 0xffff, v3
	s_delay_alu instid0(VALU_DEP_2) | instskip(NEXT) | instid1(VALU_DEP_2)
	v_pk_fma_f16 v10, v4, v28, v10
	v_mul_u32_u24_e32 v29, 0x10001, v0
	ds_load_b128 v[0:3], v183 offset:1120
	v_pk_fma_f16 v12, v4, v29, v12
	s_wait_dscnt 0x0
	v_dual_lshrrev_b32 v30, 16, v0 :: v_dual_lshrrev_b32 v31, 16, v1
	v_dual_lshrrev_b32 v64, 16, v2 :: v_dual_lshrrev_b32 v65, 16, v3
	v_and_b32_e32 v0, 0xffff, v0
	v_and_b32_e32 v1, 0xffff, v1
	;; [unrolled: 1-line block ×4, first 2 shown]
	v_mul_u32_u24_e32 v30, 0x10001, v30
	v_mul_u32_u24_e32 v0, 0x10001, v0
	;; [unrolled: 1-line block ×6, first 2 shown]
	v_pk_fma_f16 v14, v4, v0, v14
	v_pk_fma_f16 v16, v4, v1, v16
	;; [unrolled: 1-line block ×4, first 2 shown]
	ds_load_b128 v[0:3], v183 offset:112
	v_mul_u32_u24_e32 v64, 0x10001, v64
	v_mul_u32_u24_e32 v65, 0x10001, v65
	v_pk_fma_f16 v15, v4, v30, v15
	v_pk_fma_f16 v17, v4, v31, v17
	s_delay_alu instid0(VALU_DEP_4) | instskip(NEXT) | instid1(VALU_DEP_4)
	v_pk_fma_f16 v19, v4, v64, v19
	v_pk_fma_f16 v4, v4, v65, v21
	s_wait_dscnt 0x0
	v_dual_lshrrev_b32 v22, 16, v0 :: v_dual_lshrrev_b32 v24, 16, v1
	v_and_b32_e32 v0, 0xffff, v0
	v_dual_lshrrev_b32 v26, 16, v2 :: v_dual_lshrrev_b32 v28, 16, v3
	s_delay_alu instid0(VALU_DEP_3) | instskip(NEXT) | instid1(VALU_DEP_4)
	v_mul_u32_u24_e32 v22, 0x10001, v22
	v_mul_u32_u24_e32 v24, 0x10001, v24
	s_delay_alu instid0(VALU_DEP_4)
	v_mul_u32_u24_e32 v21, 0x10001, v0
	v_and_b32_e32 v0, 0xffff, v1
	v_mul_u32_u24_e32 v26, 0x10001, v26
	v_mul_u32_u24_e32 v28, 0x10001, v28
	v_pk_fma_f16 v22, v5, v22, v7
	v_pk_fma_f16 v21, v5, v21, v6
	v_mul_u32_u24_e32 v23, 0x10001, v0
	v_and_b32_e32 v0, 0xffff, v2
	v_add_nc_u32_e32 v6, 0x400, v181
	v_pk_fma_f16 v24, v5, v24, v9
	v_pk_fma_f16 v26, v5, v26, v11
	;; [unrolled: 1-line block ×3, first 2 shown]
	v_mul_u32_u24_e32 v25, 0x10001, v0
	v_and_b32_e32 v0, 0xffff, v3
	v_pk_fma_f16 v28, v5, v28, v13
	s_delay_alu instid0(VALU_DEP_3) | instskip(NEXT) | instid1(VALU_DEP_3)
	v_pk_fma_f16 v25, v5, v25, v10
	v_mul_u32_u24_e32 v27, 0x10001, v0
	ds_load_b128 v[0:3], v183 offset:1136
	v_pk_fma_f16 v27, v5, v27, v12
	s_wait_dscnt 0x0
	v_dual_lshrrev_b32 v29, 16, v0 :: v_dual_lshrrev_b32 v30, 16, v1
	v_dual_lshrrev_b32 v31, 16, v2 :: v_dual_lshrrev_b32 v64, 16, v3
	v_and_b32_e32 v0, 0xffff, v0
	v_and_b32_e32 v1, 0xffff, v1
	;; [unrolled: 1-line block ×4, first 2 shown]
	v_mul_u32_u24_e32 v29, 0x10001, v29
	v_mul_u32_u24_e32 v0, 0x10001, v0
	;; [unrolled: 1-line block ×8, first 2 shown]
	v_pk_fma_f16 v65, v5, v0, v14
	v_pk_fma_f16 v29, v5, v29, v15
	;; [unrolled: 1-line block ×8, first 2 shown]
	ds_load_2addr_b32 v[4:5], v6 offset1:32
	ds_load_b128 v[0:3], v183 offset:128
	s_wait_dscnt 0x0
	v_dual_lshrrev_b32 v7, 16, v0 :: v_dual_lshrrev_b32 v8, 16, v1
	v_and_b32_e32 v0, 0xffff, v0
	v_dual_lshrrev_b32 v9, 16, v2 :: v_dual_lshrrev_b32 v10, 16, v3
	s_delay_alu instid0(VALU_DEP_3) | instskip(NEXT) | instid1(VALU_DEP_4)
	v_mul_u32_u24_e32 v12, 0x10001, v7
	v_mul_u32_u24_e32 v14, 0x10001, v8
	s_delay_alu instid0(VALU_DEP_4) | instskip(SKIP_3) | instid1(VALU_DEP_3)
	v_mul_u32_u24_e32 v11, 0x10001, v0
	v_and_b32_e32 v0, 0xffff, v1
	v_mul_u32_u24_e32 v16, 0x10001, v9
	v_mul_u32_u24_e32 v18, 0x10001, v10
	;; [unrolled: 1-line block ×3, first 2 shown]
	v_and_b32_e32 v0, 0xffff, v2
	s_delay_alu instid0(VALU_DEP_1) | instskip(SKIP_1) | instid1(VALU_DEP_1)
	v_mul_u32_u24_e32 v15, 0x10001, v0
	v_and_b32_e32 v0, 0xffff, v3
	v_mul_u32_u24_e32 v17, 0x10001, v0
	ds_load_b128 v[0:3], v183 offset:1152
	s_wait_dscnt 0x0
	v_dual_lshrrev_b32 v7, 16, v0 :: v_dual_lshrrev_b32 v8, 16, v1
	v_dual_lshrrev_b32 v9, 16, v2 :: v_dual_lshrrev_b32 v10, 16, v3
	v_and_b32_e32 v0, 0xffff, v0
	v_and_b32_e32 v1, 0xffff, v1
	;; [unrolled: 1-line block ×4, first 2 shown]
	v_mul_u32_u24_e32 v19, 0x10001, v7
	v_mul_u32_u24_e32 v0, 0x10001, v0
	;; [unrolled: 1-line block ×7, first 2 shown]
	v_pk_fma_f16 v7, v4, v11, v21
	v_pk_fma_f16 v8, v4, v12, v22
	;; [unrolled: 1-line block ×11, first 2 shown]
	ds_load_b128 v[0:3], v183 offset:144
	v_mul_u32_u24_e32 v70, 0x10001, v10
	v_pk_fma_f16 v10, v4, v14, v24
	v_pk_fma_f16 v14, v4, v18, v28
	;; [unrolled: 1-line block ×5, first 2 shown]
	s_wait_dscnt 0x0
	v_dual_lshrrev_b32 v23, 16, v0 :: v_dual_lshrrev_b32 v25, 16, v1
	v_and_b32_e32 v0, 0xffff, v0
	v_dual_lshrrev_b32 v27, 16, v2 :: v_dual_lshrrev_b32 v29, 16, v3
	s_delay_alu instid0(VALU_DEP_3) | instskip(NEXT) | instid1(VALU_DEP_4)
	v_mul_u32_u24_e32 v23, 0x10001, v23
	v_mul_u32_u24_e32 v25, 0x10001, v25
	s_delay_alu instid0(VALU_DEP_4)
	v_mul_u32_u24_e32 v22, 0x10001, v0
	v_and_b32_e32 v0, 0xffff, v1
	v_mul_u32_u24_e32 v27, 0x10001, v27
	v_mul_u32_u24_e32 v29, 0x10001, v29
	v_pk_fma_f16 v8, v5, v23, v8
	v_pk_fma_f16 v7, v5, v22, v7
	v_mul_u32_u24_e32 v24, 0x10001, v0
	v_and_b32_e32 v0, 0xffff, v2
	v_pk_fma_f16 v10, v5, v25, v10
	v_pk_fma_f16 v12, v5, v27, v12
	;; [unrolled: 1-line block ×4, first 2 shown]
	v_mul_u32_u24_e32 v26, 0x10001, v0
	v_and_b32_e32 v0, 0xffff, v3
	s_delay_alu instid0(VALU_DEP_2) | instskip(NEXT) | instid1(VALU_DEP_2)
	v_pk_fma_f16 v11, v5, v26, v11
	v_mul_u32_u24_e32 v28, 0x10001, v0
	ds_load_b128 v[0:3], v183 offset:1168
	v_pk_fma_f16 v13, v5, v28, v13
	s_wait_dscnt 0x0
	v_dual_lshrrev_b32 v30, 16, v0 :: v_dual_lshrrev_b32 v31, 16, v1
	v_dual_lshrrev_b32 v64, 16, v2 :: v_dual_lshrrev_b32 v65, 16, v3
	v_and_b32_e32 v0, 0xffff, v0
	v_and_b32_e32 v1, 0xffff, v1
	;; [unrolled: 1-line block ×4, first 2 shown]
	v_mul_u32_u24_e32 v30, 0x10001, v30
	v_mul_u32_u24_e32 v0, 0x10001, v0
	;; [unrolled: 1-line block ×8, first 2 shown]
	v_pk_fma_f16 v15, v5, v0, v15
	v_pk_fma_f16 v16, v5, v30, v16
	;; [unrolled: 1-line block ×8, first 2 shown]
	ds_load_2addr_b32 v[4:5], v6 offset0:64 offset1:96
	ds_load_b128 v[0:3], v183 offset:160
	s_wait_dscnt 0x0
	v_dual_lshrrev_b32 v23, 16, v0 :: v_dual_lshrrev_b32 v24, 16, v1
	v_and_b32_e32 v0, 0xffff, v0
	v_dual_lshrrev_b32 v25, 16, v2 :: v_dual_lshrrev_b32 v26, 16, v3
	s_delay_alu instid0(VALU_DEP_3) | instskip(NEXT) | instid1(VALU_DEP_4)
	v_mul_u32_u24_e32 v23, 0x10001, v23
	v_mul_u32_u24_e32 v24, 0x10001, v24
	s_delay_alu instid0(VALU_DEP_4)
	v_mul_u32_u24_e32 v27, 0x10001, v0
	v_and_b32_e32 v0, 0xffff, v1
	v_mul_u32_u24_e32 v25, 0x10001, v25
	v_mul_u32_u24_e32 v26, 0x10001, v26
	v_pk_fma_f16 v8, v4, v23, v8
	v_pk_fma_f16 v7, v4, v27, v7
	v_mul_u32_u24_e32 v28, 0x10001, v0
	v_and_b32_e32 v0, 0xffff, v2
	v_pk_fma_f16 v10, v4, v24, v10
	v_pk_fma_f16 v12, v4, v25, v12
	;; [unrolled: 1-line block ×4, first 2 shown]
	v_mul_u32_u24_e32 v29, 0x10001, v0
	v_and_b32_e32 v0, 0xffff, v3
	s_delay_alu instid0(VALU_DEP_2) | instskip(NEXT) | instid1(VALU_DEP_2)
	v_pk_fma_f16 v11, v4, v29, v11
	v_mul_u32_u24_e32 v30, 0x10001, v0
	ds_load_b128 v[0:3], v183 offset:1184
	v_pk_fma_f16 v13, v4, v30, v13
	s_wait_dscnt 0x0
	v_dual_lshrrev_b32 v31, 16, v0 :: v_dual_lshrrev_b32 v64, 16, v1
	v_dual_lshrrev_b32 v65, 16, v2 :: v_dual_lshrrev_b32 v66, 16, v3
	v_and_b32_e32 v0, 0xffff, v0
	v_and_b32_e32 v1, 0xffff, v1
	;; [unrolled: 1-line block ×4, first 2 shown]
	v_mul_u32_u24_e32 v31, 0x10001, v31
	v_mul_u32_u24_e32 v0, 0x10001, v0
	;; [unrolled: 1-line block ×6, first 2 shown]
	v_pk_fma_f16 v15, v4, v0, v15
	v_pk_fma_f16 v17, v4, v1, v17
	;; [unrolled: 1-line block ×4, first 2 shown]
	ds_load_b128 v[0:3], v183 offset:176
	v_mul_u32_u24_e32 v65, 0x10001, v65
	v_mul_u32_u24_e32 v66, 0x10001, v66
	v_pk_fma_f16 v16, v4, v31, v16
	v_pk_fma_f16 v18, v4, v64, v18
	s_delay_alu instid0(VALU_DEP_4) | instskip(NEXT) | instid1(VALU_DEP_4)
	v_pk_fma_f16 v20, v4, v65, v20
	v_pk_fma_f16 v4, v4, v66, v22
	s_wait_dscnt 0x0
	v_dual_lshrrev_b32 v23, 16, v0 :: v_dual_lshrrev_b32 v25, 16, v1
	v_and_b32_e32 v0, 0xffff, v0
	v_dual_lshrrev_b32 v27, 16, v2 :: v_dual_lshrrev_b32 v29, 16, v3
	s_delay_alu instid0(VALU_DEP_3) | instskip(NEXT) | instid1(VALU_DEP_4)
	v_mul_u32_u24_e32 v23, 0x10001, v23
	v_mul_u32_u24_e32 v25, 0x10001, v25
	s_delay_alu instid0(VALU_DEP_4)
	v_mul_u32_u24_e32 v22, 0x10001, v0
	v_and_b32_e32 v0, 0xffff, v1
	v_mul_u32_u24_e32 v27, 0x10001, v27
	v_mul_u32_u24_e32 v29, 0x10001, v29
	v_pk_fma_f16 v8, v5, v23, v8
	v_pk_fma_f16 v7, v5, v22, v7
	v_mul_u32_u24_e32 v24, 0x10001, v0
	v_and_b32_e32 v0, 0xffff, v2
	v_pk_fma_f16 v10, v5, v25, v10
	v_pk_fma_f16 v12, v5, v27, v12
	;; [unrolled: 1-line block ×4, first 2 shown]
	v_mul_u32_u24_e32 v26, 0x10001, v0
	v_and_b32_e32 v0, 0xffff, v3
	s_delay_alu instid0(VALU_DEP_2) | instskip(NEXT) | instid1(VALU_DEP_2)
	v_pk_fma_f16 v11, v5, v26, v11
	v_mul_u32_u24_e32 v28, 0x10001, v0
	ds_load_b128 v[0:3], v183 offset:1200
	v_pk_fma_f16 v13, v5, v28, v13
	s_wait_dscnt 0x0
	v_dual_lshrrev_b32 v30, 16, v0 :: v_dual_lshrrev_b32 v31, 16, v1
	v_dual_lshrrev_b32 v64, 16, v2 :: v_dual_lshrrev_b32 v65, 16, v3
	v_and_b32_e32 v0, 0xffff, v0
	v_and_b32_e32 v1, 0xffff, v1
	v_and_b32_e32 v2, 0xffff, v2
	v_and_b32_e32 v3, 0xffff, v3
	v_mul_u32_u24_e32 v30, 0x10001, v30
	v_mul_u32_u24_e32 v0, 0x10001, v0
	;; [unrolled: 1-line block ×8, first 2 shown]
	v_pk_fma_f16 v15, v5, v0, v15
	v_pk_fma_f16 v16, v5, v30, v16
	;; [unrolled: 1-line block ×8, first 2 shown]
	ds_load_2addr_b32 v[4:5], v6 offset0:128 offset1:160
	ds_load_b128 v[0:3], v183 offset:192
	s_wait_dscnt 0x0
	v_dual_lshrrev_b32 v23, 16, v0 :: v_dual_lshrrev_b32 v24, 16, v1
	v_and_b32_e32 v0, 0xffff, v0
	v_dual_lshrrev_b32 v25, 16, v2 :: v_dual_lshrrev_b32 v26, 16, v3
	s_delay_alu instid0(VALU_DEP_3) | instskip(NEXT) | instid1(VALU_DEP_4)
	v_mul_u32_u24_e32 v23, 0x10001, v23
	v_mul_u32_u24_e32 v24, 0x10001, v24
	s_delay_alu instid0(VALU_DEP_4)
	v_mul_u32_u24_e32 v27, 0x10001, v0
	v_and_b32_e32 v0, 0xffff, v1
	v_mul_u32_u24_e32 v25, 0x10001, v25
	v_mul_u32_u24_e32 v26, 0x10001, v26
	v_pk_fma_f16 v8, v4, v23, v8
	v_pk_fma_f16 v7, v4, v27, v7
	v_mul_u32_u24_e32 v28, 0x10001, v0
	v_and_b32_e32 v0, 0xffff, v2
	v_pk_fma_f16 v10, v4, v24, v10
	v_pk_fma_f16 v12, v4, v25, v12
	v_pk_fma_f16 v14, v4, v26, v14
	v_pk_fma_f16 v9, v4, v28, v9
	v_mul_u32_u24_e32 v29, 0x10001, v0
	v_and_b32_e32 v0, 0xffff, v3
	s_delay_alu instid0(VALU_DEP_2) | instskip(NEXT) | instid1(VALU_DEP_2)
	v_pk_fma_f16 v11, v4, v29, v11
	v_mul_u32_u24_e32 v30, 0x10001, v0
	ds_load_b128 v[0:3], v183 offset:1216
	v_pk_fma_f16 v13, v4, v30, v13
	s_wait_dscnt 0x0
	v_dual_lshrrev_b32 v31, 16, v0 :: v_dual_lshrrev_b32 v64, 16, v1
	v_dual_lshrrev_b32 v65, 16, v2 :: v_dual_lshrrev_b32 v66, 16, v3
	v_and_b32_e32 v0, 0xffff, v0
	v_and_b32_e32 v1, 0xffff, v1
	;; [unrolled: 1-line block ×4, first 2 shown]
	v_mul_u32_u24_e32 v31, 0x10001, v31
	v_mul_u32_u24_e32 v0, 0x10001, v0
	;; [unrolled: 1-line block ×6, first 2 shown]
	v_pk_fma_f16 v15, v4, v0, v15
	v_pk_fma_f16 v17, v4, v1, v17
	;; [unrolled: 1-line block ×4, first 2 shown]
	ds_load_b128 v[0:3], v183 offset:208
	v_mul_u32_u24_e32 v65, 0x10001, v65
	v_mul_u32_u24_e32 v66, 0x10001, v66
	v_pk_fma_f16 v16, v4, v31, v16
	v_pk_fma_f16 v18, v4, v64, v18
	s_delay_alu instid0(VALU_DEP_4) | instskip(NEXT) | instid1(VALU_DEP_4)
	v_pk_fma_f16 v20, v4, v65, v20
	v_pk_fma_f16 v4, v4, v66, v22
	s_wait_dscnt 0x0
	v_dual_lshrrev_b32 v23, 16, v0 :: v_dual_lshrrev_b32 v25, 16, v1
	v_and_b32_e32 v0, 0xffff, v0
	v_dual_lshrrev_b32 v27, 16, v2 :: v_dual_lshrrev_b32 v29, 16, v3
	s_delay_alu instid0(VALU_DEP_3) | instskip(NEXT) | instid1(VALU_DEP_4)
	v_mul_u32_u24_e32 v23, 0x10001, v23
	v_mul_u32_u24_e32 v25, 0x10001, v25
	s_delay_alu instid0(VALU_DEP_4)
	v_mul_u32_u24_e32 v22, 0x10001, v0
	v_and_b32_e32 v0, 0xffff, v1
	v_mul_u32_u24_e32 v27, 0x10001, v27
	v_mul_u32_u24_e32 v29, 0x10001, v29
	v_pk_fma_f16 v8, v5, v23, v8
	v_pk_fma_f16 v7, v5, v22, v7
	v_mul_u32_u24_e32 v24, 0x10001, v0
	v_and_b32_e32 v0, 0xffff, v2
	v_pk_fma_f16 v10, v5, v25, v10
	v_pk_fma_f16 v12, v5, v27, v12
	;; [unrolled: 1-line block ×4, first 2 shown]
	v_mul_u32_u24_e32 v26, 0x10001, v0
	v_and_b32_e32 v0, 0xffff, v3
	s_delay_alu instid0(VALU_DEP_2) | instskip(NEXT) | instid1(VALU_DEP_2)
	v_pk_fma_f16 v11, v5, v26, v11
	v_mul_u32_u24_e32 v28, 0x10001, v0
	ds_load_b128 v[0:3], v183 offset:1232
	v_pk_fma_f16 v13, v5, v28, v13
	s_wait_dscnt 0x0
	v_dual_lshrrev_b32 v30, 16, v0 :: v_dual_lshrrev_b32 v31, 16, v1
	v_dual_lshrrev_b32 v64, 16, v2 :: v_dual_lshrrev_b32 v65, 16, v3
	v_and_b32_e32 v0, 0xffff, v0
	v_and_b32_e32 v1, 0xffff, v1
	;; [unrolled: 1-line block ×4, first 2 shown]
	v_mul_u32_u24_e32 v30, 0x10001, v30
	v_mul_u32_u24_e32 v0, 0x10001, v0
	;; [unrolled: 1-line block ×8, first 2 shown]
	v_pk_fma_f16 v15, v5, v0, v15
	v_pk_fma_f16 v16, v5, v30, v16
	;; [unrolled: 1-line block ×8, first 2 shown]
	ds_load_2addr_b32 v[4:5], v6 offset0:192 offset1:224
	ds_load_b128 v[0:3], v183 offset:224
	s_wait_dscnt 0x0
	v_dual_lshrrev_b32 v6, 16, v0 :: v_dual_lshrrev_b32 v23, 16, v1
	v_and_b32_e32 v0, 0xffff, v0
	v_dual_lshrrev_b32 v24, 16, v2 :: v_dual_lshrrev_b32 v25, 16, v3
	s_delay_alu instid0(VALU_DEP_3) | instskip(NEXT) | instid1(VALU_DEP_4)
	v_mul_u32_u24_e32 v27, 0x10001, v6
	v_mul_u32_u24_e32 v23, 0x10001, v23
	s_delay_alu instid0(VALU_DEP_4) | instskip(SKIP_3) | instid1(VALU_DEP_3)
	v_mul_u32_u24_e32 v26, 0x10001, v0
	v_and_b32_e32 v0, 0xffff, v1
	v_mul_u32_u24_e32 v24, 0x10001, v24
	v_mul_u32_u24_e32 v25, 0x10001, v25
	;; [unrolled: 1-line block ×3, first 2 shown]
	v_and_b32_e32 v0, 0xffff, v2
	s_delay_alu instid0(VALU_DEP_1) | instskip(SKIP_1) | instid1(VALU_DEP_1)
	v_mul_u32_u24_e32 v29, 0x10001, v0
	v_and_b32_e32 v0, 0xffff, v3
	v_mul_u32_u24_e32 v30, 0x10001, v0
	ds_load_b128 v[0:3], v183 offset:1248
	s_wait_dscnt 0x0
	v_dual_lshrrev_b32 v6, 16, v0 :: v_dual_lshrrev_b32 v31, 16, v1
	v_dual_lshrrev_b32 v64, 16, v2 :: v_dual_lshrrev_b32 v65, 16, v3
	v_and_b32_e32 v0, 0xffff, v0
	v_and_b32_e32 v1, 0xffff, v1
	;; [unrolled: 1-line block ×4, first 2 shown]
	v_mul_u32_u24_e32 v66, 0x10001, v6
	v_mul_u32_u24_e32 v0, 0x10001, v0
	;; [unrolled: 1-line block ×7, first 2 shown]
	v_pk_fma_f16 v6, v4, v26, v7
	v_pk_fma_f16 v7, v4, v27, v8
	v_pk_fma_f16 v8, v4, v28, v9
	v_pk_fma_f16 v9, v4, v23, v10
	v_pk_fma_f16 v10, v4, v29, v11
	v_pk_fma_f16 v11, v4, v24, v12
	v_pk_fma_f16 v12, v4, v30, v13
	v_pk_fma_f16 v13, v4, v25, v14
	v_pk_fma_f16 v14, v4, v0, v15
	v_pk_fma_f16 v15, v4, v66, v16
	v_pk_fma_f16 v16, v4, v1, v17
	v_pk_fma_f16 v17, v4, v31, v18
	v_pk_fma_f16 v18, v4, v2, v19
	v_pk_fma_f16 v19, v4, v64, v20
	v_pk_fma_f16 v20, v4, v3, v21
	ds_load_b128 v[0:3], v183 offset:240
	v_mul_u32_u24_e32 v65, 0x10001, v65
	s_delay_alu instid0(VALU_DEP_1) | instskip(SKIP_4) | instid1(VALU_DEP_3)
	v_pk_fma_f16 v4, v4, v65, v22
	s_wait_dscnt 0x0
	v_dual_lshrrev_b32 v22, 16, v0 :: v_dual_lshrrev_b32 v24, 16, v1
	v_and_b32_e32 v0, 0xffff, v0
	v_dual_lshrrev_b32 v26, 16, v2 :: v_dual_lshrrev_b32 v28, 16, v3
	v_mul_u32_u24_e32 v22, 0x10001, v22
	s_delay_alu instid0(VALU_DEP_4) | instskip(NEXT) | instid1(VALU_DEP_4)
	v_mul_u32_u24_e32 v24, 0x10001, v24
	v_mul_u32_u24_e32 v21, 0x10001, v0
	v_and_b32_e32 v0, 0xffff, v1
	v_mul_u32_u24_e32 v26, 0x10001, v26
	v_mul_u32_u24_e32 v28, 0x10001, v28
	v_pk_fma_f16 v22, v5, v22, v7
	v_pk_fma_f16 v21, v5, v21, v6
	v_mul_u32_u24_e32 v23, 0x10001, v0
	v_and_b32_e32 v0, 0xffff, v2
	v_add_nc_u32_e32 v6, 0x800, v181
	v_pk_fma_f16 v24, v5, v24, v9
	v_pk_fma_f16 v26, v5, v26, v11
	;; [unrolled: 1-line block ×3, first 2 shown]
	v_mul_u32_u24_e32 v25, 0x10001, v0
	v_and_b32_e32 v0, 0xffff, v3
	v_pk_fma_f16 v28, v5, v28, v13
	s_delay_alu instid0(VALU_DEP_3) | instskip(NEXT) | instid1(VALU_DEP_3)
	v_pk_fma_f16 v25, v5, v25, v10
	v_mul_u32_u24_e32 v27, 0x10001, v0
	ds_load_b128 v[0:3], v183 offset:1264
	v_pk_fma_f16 v27, v5, v27, v12
	s_wait_dscnt 0x0
	v_dual_lshrrev_b32 v29, 16, v0 :: v_dual_lshrrev_b32 v30, 16, v1
	v_dual_lshrrev_b32 v31, 16, v2 :: v_dual_lshrrev_b32 v64, 16, v3
	v_and_b32_e32 v0, 0xffff, v0
	v_and_b32_e32 v1, 0xffff, v1
	;; [unrolled: 1-line block ×4, first 2 shown]
	v_mul_u32_u24_e32 v29, 0x10001, v29
	v_mul_u32_u24_e32 v0, 0x10001, v0
	;; [unrolled: 1-line block ×8, first 2 shown]
	v_pk_fma_f16 v65, v5, v0, v14
	v_pk_fma_f16 v29, v5, v29, v15
	;; [unrolled: 1-line block ×8, first 2 shown]
	ds_load_2addr_b32 v[4:5], v6 offset1:32
	ds_load_b128 v[0:3], v183 offset:256
	s_wait_dscnt 0x0
	v_dual_lshrrev_b32 v7, 16, v0 :: v_dual_lshrrev_b32 v8, 16, v1
	v_and_b32_e32 v0, 0xffff, v0
	v_dual_lshrrev_b32 v9, 16, v2 :: v_dual_lshrrev_b32 v10, 16, v3
	s_delay_alu instid0(VALU_DEP_3) | instskip(NEXT) | instid1(VALU_DEP_4)
	v_mul_u32_u24_e32 v12, 0x10001, v7
	v_mul_u32_u24_e32 v14, 0x10001, v8
	s_delay_alu instid0(VALU_DEP_4) | instskip(SKIP_3) | instid1(VALU_DEP_3)
	v_mul_u32_u24_e32 v11, 0x10001, v0
	v_and_b32_e32 v0, 0xffff, v1
	v_mul_u32_u24_e32 v16, 0x10001, v9
	v_mul_u32_u24_e32 v18, 0x10001, v10
	;; [unrolled: 1-line block ×3, first 2 shown]
	v_and_b32_e32 v0, 0xffff, v2
	s_delay_alu instid0(VALU_DEP_1) | instskip(SKIP_1) | instid1(VALU_DEP_1)
	v_mul_u32_u24_e32 v15, 0x10001, v0
	v_and_b32_e32 v0, 0xffff, v3
	v_mul_u32_u24_e32 v17, 0x10001, v0
	ds_load_b128 v[0:3], v183 offset:1280
	s_wait_dscnt 0x0
	v_dual_lshrrev_b32 v7, 16, v0 :: v_dual_lshrrev_b32 v8, 16, v1
	v_dual_lshrrev_b32 v9, 16, v2 :: v_dual_lshrrev_b32 v10, 16, v3
	v_and_b32_e32 v0, 0xffff, v0
	v_and_b32_e32 v1, 0xffff, v1
	;; [unrolled: 1-line block ×4, first 2 shown]
	v_mul_u32_u24_e32 v19, 0x10001, v7
	v_mul_u32_u24_e32 v0, 0x10001, v0
	;; [unrolled: 1-line block ×7, first 2 shown]
	v_pk_fma_f16 v7, v4, v11, v21
	v_pk_fma_f16 v8, v4, v12, v22
	;; [unrolled: 1-line block ×11, first 2 shown]
	ds_load_b128 v[0:3], v183 offset:272
	v_mul_u32_u24_e32 v70, 0x10001, v10
	v_pk_fma_f16 v10, v4, v14, v24
	v_pk_fma_f16 v14, v4, v18, v28
	;; [unrolled: 1-line block ×5, first 2 shown]
	s_wait_dscnt 0x0
	v_dual_lshrrev_b32 v23, 16, v0 :: v_dual_lshrrev_b32 v25, 16, v1
	v_and_b32_e32 v0, 0xffff, v0
	v_dual_lshrrev_b32 v27, 16, v2 :: v_dual_lshrrev_b32 v29, 16, v3
	s_delay_alu instid0(VALU_DEP_3) | instskip(NEXT) | instid1(VALU_DEP_4)
	v_mul_u32_u24_e32 v23, 0x10001, v23
	v_mul_u32_u24_e32 v25, 0x10001, v25
	s_delay_alu instid0(VALU_DEP_4)
	v_mul_u32_u24_e32 v22, 0x10001, v0
	v_and_b32_e32 v0, 0xffff, v1
	v_mul_u32_u24_e32 v27, 0x10001, v27
	v_mul_u32_u24_e32 v29, 0x10001, v29
	v_pk_fma_f16 v8, v5, v23, v8
	v_pk_fma_f16 v7, v5, v22, v7
	v_mul_u32_u24_e32 v24, 0x10001, v0
	v_and_b32_e32 v0, 0xffff, v2
	v_pk_fma_f16 v10, v5, v25, v10
	v_pk_fma_f16 v12, v5, v27, v12
	;; [unrolled: 1-line block ×4, first 2 shown]
	v_mul_u32_u24_e32 v26, 0x10001, v0
	v_and_b32_e32 v0, 0xffff, v3
	s_delay_alu instid0(VALU_DEP_2) | instskip(NEXT) | instid1(VALU_DEP_2)
	v_pk_fma_f16 v11, v5, v26, v11
	v_mul_u32_u24_e32 v28, 0x10001, v0
	ds_load_b128 v[0:3], v183 offset:1296
	v_pk_fma_f16 v13, v5, v28, v13
	s_wait_dscnt 0x0
	v_dual_lshrrev_b32 v30, 16, v0 :: v_dual_lshrrev_b32 v31, 16, v1
	v_dual_lshrrev_b32 v64, 16, v2 :: v_dual_lshrrev_b32 v65, 16, v3
	v_and_b32_e32 v0, 0xffff, v0
	v_and_b32_e32 v1, 0xffff, v1
	;; [unrolled: 1-line block ×4, first 2 shown]
	v_mul_u32_u24_e32 v30, 0x10001, v30
	v_mul_u32_u24_e32 v0, 0x10001, v0
	;; [unrolled: 1-line block ×8, first 2 shown]
	v_pk_fma_f16 v15, v5, v0, v15
	v_pk_fma_f16 v16, v5, v30, v16
	;; [unrolled: 1-line block ×8, first 2 shown]
	ds_load_2addr_b32 v[4:5], v6 offset0:64 offset1:96
	ds_load_b128 v[0:3], v183 offset:288
	s_wait_dscnt 0x0
	v_dual_lshrrev_b32 v23, 16, v0 :: v_dual_lshrrev_b32 v24, 16, v1
	v_and_b32_e32 v0, 0xffff, v0
	v_dual_lshrrev_b32 v25, 16, v2 :: v_dual_lshrrev_b32 v26, 16, v3
	s_delay_alu instid0(VALU_DEP_3) | instskip(NEXT) | instid1(VALU_DEP_4)
	v_mul_u32_u24_e32 v23, 0x10001, v23
	v_mul_u32_u24_e32 v24, 0x10001, v24
	s_delay_alu instid0(VALU_DEP_4)
	v_mul_u32_u24_e32 v27, 0x10001, v0
	v_and_b32_e32 v0, 0xffff, v1
	v_mul_u32_u24_e32 v25, 0x10001, v25
	v_mul_u32_u24_e32 v26, 0x10001, v26
	v_pk_fma_f16 v8, v4, v23, v8
	v_pk_fma_f16 v7, v4, v27, v7
	v_mul_u32_u24_e32 v28, 0x10001, v0
	v_and_b32_e32 v0, 0xffff, v2
	v_pk_fma_f16 v10, v4, v24, v10
	v_pk_fma_f16 v12, v4, v25, v12
	;; [unrolled: 1-line block ×4, first 2 shown]
	v_mul_u32_u24_e32 v29, 0x10001, v0
	v_and_b32_e32 v0, 0xffff, v3
	s_delay_alu instid0(VALU_DEP_2) | instskip(NEXT) | instid1(VALU_DEP_2)
	v_pk_fma_f16 v11, v4, v29, v11
	v_mul_u32_u24_e32 v30, 0x10001, v0
	ds_load_b128 v[0:3], v183 offset:1312
	v_pk_fma_f16 v13, v4, v30, v13
	s_wait_dscnt 0x0
	v_dual_lshrrev_b32 v31, 16, v0 :: v_dual_lshrrev_b32 v64, 16, v1
	v_dual_lshrrev_b32 v65, 16, v2 :: v_dual_lshrrev_b32 v66, 16, v3
	v_and_b32_e32 v0, 0xffff, v0
	v_and_b32_e32 v1, 0xffff, v1
	;; [unrolled: 1-line block ×4, first 2 shown]
	v_mul_u32_u24_e32 v31, 0x10001, v31
	v_mul_u32_u24_e32 v0, 0x10001, v0
	;; [unrolled: 1-line block ×6, first 2 shown]
	v_pk_fma_f16 v15, v4, v0, v15
	v_pk_fma_f16 v17, v4, v1, v17
	;; [unrolled: 1-line block ×4, first 2 shown]
	ds_load_b128 v[0:3], v183 offset:304
	v_mul_u32_u24_e32 v65, 0x10001, v65
	v_mul_u32_u24_e32 v66, 0x10001, v66
	v_pk_fma_f16 v16, v4, v31, v16
	v_pk_fma_f16 v18, v4, v64, v18
	s_delay_alu instid0(VALU_DEP_4) | instskip(NEXT) | instid1(VALU_DEP_4)
	v_pk_fma_f16 v20, v4, v65, v20
	v_pk_fma_f16 v4, v4, v66, v22
	s_wait_dscnt 0x0
	v_dual_lshrrev_b32 v23, 16, v0 :: v_dual_lshrrev_b32 v25, 16, v1
	v_and_b32_e32 v0, 0xffff, v0
	v_dual_lshrrev_b32 v27, 16, v2 :: v_dual_lshrrev_b32 v29, 16, v3
	s_delay_alu instid0(VALU_DEP_3) | instskip(NEXT) | instid1(VALU_DEP_4)
	v_mul_u32_u24_e32 v23, 0x10001, v23
	v_mul_u32_u24_e32 v25, 0x10001, v25
	s_delay_alu instid0(VALU_DEP_4)
	v_mul_u32_u24_e32 v22, 0x10001, v0
	v_and_b32_e32 v0, 0xffff, v1
	v_mul_u32_u24_e32 v27, 0x10001, v27
	v_mul_u32_u24_e32 v29, 0x10001, v29
	v_pk_fma_f16 v8, v5, v23, v8
	v_pk_fma_f16 v7, v5, v22, v7
	v_mul_u32_u24_e32 v24, 0x10001, v0
	v_and_b32_e32 v0, 0xffff, v2
	v_pk_fma_f16 v10, v5, v25, v10
	v_pk_fma_f16 v12, v5, v27, v12
	;; [unrolled: 1-line block ×4, first 2 shown]
	v_mul_u32_u24_e32 v26, 0x10001, v0
	v_and_b32_e32 v0, 0xffff, v3
	s_delay_alu instid0(VALU_DEP_2) | instskip(NEXT) | instid1(VALU_DEP_2)
	v_pk_fma_f16 v11, v5, v26, v11
	v_mul_u32_u24_e32 v28, 0x10001, v0
	ds_load_b128 v[0:3], v183 offset:1328
	v_pk_fma_f16 v13, v5, v28, v13
	s_wait_dscnt 0x0
	v_dual_lshrrev_b32 v30, 16, v0 :: v_dual_lshrrev_b32 v31, 16, v1
	v_dual_lshrrev_b32 v64, 16, v2 :: v_dual_lshrrev_b32 v65, 16, v3
	v_and_b32_e32 v0, 0xffff, v0
	v_and_b32_e32 v1, 0xffff, v1
	;; [unrolled: 1-line block ×4, first 2 shown]
	v_mul_u32_u24_e32 v30, 0x10001, v30
	v_mul_u32_u24_e32 v0, 0x10001, v0
	;; [unrolled: 1-line block ×8, first 2 shown]
	v_pk_fma_f16 v15, v5, v0, v15
	v_pk_fma_f16 v16, v5, v30, v16
	;; [unrolled: 1-line block ×8, first 2 shown]
	ds_load_2addr_b32 v[4:5], v6 offset0:128 offset1:160
	ds_load_b128 v[0:3], v183 offset:320
	s_wait_dscnt 0x0
	v_dual_lshrrev_b32 v23, 16, v0 :: v_dual_lshrrev_b32 v24, 16, v1
	v_and_b32_e32 v0, 0xffff, v0
	v_dual_lshrrev_b32 v25, 16, v2 :: v_dual_lshrrev_b32 v26, 16, v3
	s_delay_alu instid0(VALU_DEP_3) | instskip(NEXT) | instid1(VALU_DEP_4)
	v_mul_u32_u24_e32 v23, 0x10001, v23
	v_mul_u32_u24_e32 v24, 0x10001, v24
	s_delay_alu instid0(VALU_DEP_4)
	v_mul_u32_u24_e32 v27, 0x10001, v0
	v_and_b32_e32 v0, 0xffff, v1
	v_mul_u32_u24_e32 v25, 0x10001, v25
	v_mul_u32_u24_e32 v26, 0x10001, v26
	v_pk_fma_f16 v8, v4, v23, v8
	v_pk_fma_f16 v7, v4, v27, v7
	v_mul_u32_u24_e32 v28, 0x10001, v0
	v_and_b32_e32 v0, 0xffff, v2
	v_pk_fma_f16 v10, v4, v24, v10
	v_pk_fma_f16 v12, v4, v25, v12
	;; [unrolled: 1-line block ×4, first 2 shown]
	v_mul_u32_u24_e32 v29, 0x10001, v0
	v_and_b32_e32 v0, 0xffff, v3
	s_delay_alu instid0(VALU_DEP_2) | instskip(NEXT) | instid1(VALU_DEP_2)
	v_pk_fma_f16 v11, v4, v29, v11
	v_mul_u32_u24_e32 v30, 0x10001, v0
	ds_load_b128 v[0:3], v183 offset:1344
	v_pk_fma_f16 v13, v4, v30, v13
	s_wait_dscnt 0x0
	v_dual_lshrrev_b32 v31, 16, v0 :: v_dual_lshrrev_b32 v64, 16, v1
	v_dual_lshrrev_b32 v65, 16, v2 :: v_dual_lshrrev_b32 v66, 16, v3
	v_and_b32_e32 v0, 0xffff, v0
	v_and_b32_e32 v1, 0xffff, v1
	;; [unrolled: 1-line block ×4, first 2 shown]
	v_mul_u32_u24_e32 v31, 0x10001, v31
	v_mul_u32_u24_e32 v0, 0x10001, v0
	;; [unrolled: 1-line block ×6, first 2 shown]
	v_pk_fma_f16 v15, v4, v0, v15
	v_pk_fma_f16 v17, v4, v1, v17
	;; [unrolled: 1-line block ×4, first 2 shown]
	ds_load_b128 v[0:3], v183 offset:336
	v_mul_u32_u24_e32 v65, 0x10001, v65
	v_mul_u32_u24_e32 v66, 0x10001, v66
	v_pk_fma_f16 v16, v4, v31, v16
	v_pk_fma_f16 v18, v4, v64, v18
	s_delay_alu instid0(VALU_DEP_4) | instskip(NEXT) | instid1(VALU_DEP_4)
	v_pk_fma_f16 v20, v4, v65, v20
	v_pk_fma_f16 v4, v4, v66, v22
	s_wait_dscnt 0x0
	v_dual_lshrrev_b32 v23, 16, v0 :: v_dual_lshrrev_b32 v25, 16, v1
	v_and_b32_e32 v0, 0xffff, v0
	v_dual_lshrrev_b32 v27, 16, v2 :: v_dual_lshrrev_b32 v29, 16, v3
	s_delay_alu instid0(VALU_DEP_3) | instskip(NEXT) | instid1(VALU_DEP_4)
	v_mul_u32_u24_e32 v23, 0x10001, v23
	v_mul_u32_u24_e32 v25, 0x10001, v25
	s_delay_alu instid0(VALU_DEP_4)
	v_mul_u32_u24_e32 v22, 0x10001, v0
	v_and_b32_e32 v0, 0xffff, v1
	v_mul_u32_u24_e32 v27, 0x10001, v27
	v_mul_u32_u24_e32 v29, 0x10001, v29
	v_pk_fma_f16 v8, v5, v23, v8
	v_pk_fma_f16 v7, v5, v22, v7
	v_mul_u32_u24_e32 v24, 0x10001, v0
	v_and_b32_e32 v0, 0xffff, v2
	v_pk_fma_f16 v10, v5, v25, v10
	v_pk_fma_f16 v12, v5, v27, v12
	;; [unrolled: 1-line block ×4, first 2 shown]
	v_mul_u32_u24_e32 v26, 0x10001, v0
	v_and_b32_e32 v0, 0xffff, v3
	s_delay_alu instid0(VALU_DEP_2) | instskip(NEXT) | instid1(VALU_DEP_2)
	v_pk_fma_f16 v11, v5, v26, v11
	v_mul_u32_u24_e32 v28, 0x10001, v0
	ds_load_b128 v[0:3], v183 offset:1360
	v_pk_fma_f16 v13, v5, v28, v13
	s_wait_dscnt 0x0
	v_dual_lshrrev_b32 v30, 16, v0 :: v_dual_lshrrev_b32 v31, 16, v1
	v_dual_lshrrev_b32 v64, 16, v2 :: v_dual_lshrrev_b32 v65, 16, v3
	v_and_b32_e32 v0, 0xffff, v0
	v_and_b32_e32 v1, 0xffff, v1
	;; [unrolled: 1-line block ×4, first 2 shown]
	v_mul_u32_u24_e32 v30, 0x10001, v30
	v_mul_u32_u24_e32 v0, 0x10001, v0
	;; [unrolled: 1-line block ×8, first 2 shown]
	v_pk_fma_f16 v15, v5, v0, v15
	v_pk_fma_f16 v16, v5, v30, v16
	;; [unrolled: 1-line block ×8, first 2 shown]
	ds_load_2addr_b32 v[4:5], v6 offset0:192 offset1:224
	ds_load_b128 v[0:3], v183 offset:352
	s_wait_dscnt 0x0
	v_dual_lshrrev_b32 v6, 16, v0 :: v_dual_lshrrev_b32 v23, 16, v1
	v_and_b32_e32 v0, 0xffff, v0
	v_dual_lshrrev_b32 v24, 16, v2 :: v_dual_lshrrev_b32 v25, 16, v3
	s_delay_alu instid0(VALU_DEP_3) | instskip(NEXT) | instid1(VALU_DEP_4)
	v_mul_u32_u24_e32 v27, 0x10001, v6
	v_mul_u32_u24_e32 v23, 0x10001, v23
	s_delay_alu instid0(VALU_DEP_4) | instskip(SKIP_3) | instid1(VALU_DEP_3)
	v_mul_u32_u24_e32 v26, 0x10001, v0
	v_and_b32_e32 v0, 0xffff, v1
	v_mul_u32_u24_e32 v24, 0x10001, v24
	v_mul_u32_u24_e32 v25, 0x10001, v25
	;; [unrolled: 1-line block ×3, first 2 shown]
	v_and_b32_e32 v0, 0xffff, v2
	s_delay_alu instid0(VALU_DEP_1) | instskip(SKIP_1) | instid1(VALU_DEP_1)
	v_mul_u32_u24_e32 v29, 0x10001, v0
	v_and_b32_e32 v0, 0xffff, v3
	v_mul_u32_u24_e32 v30, 0x10001, v0
	ds_load_b128 v[0:3], v183 offset:1376
	s_wait_dscnt 0x0
	v_dual_lshrrev_b32 v6, 16, v0 :: v_dual_lshrrev_b32 v31, 16, v1
	v_dual_lshrrev_b32 v64, 16, v2 :: v_dual_lshrrev_b32 v65, 16, v3
	v_and_b32_e32 v0, 0xffff, v0
	v_and_b32_e32 v1, 0xffff, v1
	;; [unrolled: 1-line block ×4, first 2 shown]
	v_mul_u32_u24_e32 v66, 0x10001, v6
	v_mul_u32_u24_e32 v0, 0x10001, v0
	;; [unrolled: 1-line block ×7, first 2 shown]
	v_pk_fma_f16 v6, v4, v26, v7
	v_pk_fma_f16 v7, v4, v27, v8
	;; [unrolled: 1-line block ×15, first 2 shown]
	ds_load_b128 v[0:3], v183 offset:368
	v_mul_u32_u24_e32 v65, 0x10001, v65
	s_delay_alu instid0(VALU_DEP_1) | instskip(SKIP_4) | instid1(VALU_DEP_3)
	v_pk_fma_f16 v4, v4, v65, v22
	s_wait_dscnt 0x0
	v_dual_lshrrev_b32 v22, 16, v0 :: v_dual_lshrrev_b32 v24, 16, v1
	v_and_b32_e32 v0, 0xffff, v0
	v_dual_lshrrev_b32 v26, 16, v2 :: v_dual_lshrrev_b32 v28, 16, v3
	v_mul_u32_u24_e32 v22, 0x10001, v22
	s_delay_alu instid0(VALU_DEP_4) | instskip(NEXT) | instid1(VALU_DEP_4)
	v_mul_u32_u24_e32 v24, 0x10001, v24
	v_mul_u32_u24_e32 v21, 0x10001, v0
	v_and_b32_e32 v0, 0xffff, v1
	v_mul_u32_u24_e32 v26, 0x10001, v26
	v_mul_u32_u24_e32 v28, 0x10001, v28
	v_pk_fma_f16 v22, v5, v22, v7
	v_pk_fma_f16 v21, v5, v21, v6
	v_mul_u32_u24_e32 v23, 0x10001, v0
	v_and_b32_e32 v0, 0xffff, v2
	v_add_nc_u32_e32 v6, 0xc00, v181
	v_pk_fma_f16 v24, v5, v24, v9
	v_pk_fma_f16 v26, v5, v26, v11
	;; [unrolled: 1-line block ×3, first 2 shown]
	v_mul_u32_u24_e32 v25, 0x10001, v0
	v_and_b32_e32 v0, 0xffff, v3
	v_pk_fma_f16 v28, v5, v28, v13
	s_delay_alu instid0(VALU_DEP_3) | instskip(NEXT) | instid1(VALU_DEP_3)
	v_pk_fma_f16 v25, v5, v25, v10
	v_mul_u32_u24_e32 v27, 0x10001, v0
	ds_load_b128 v[0:3], v183 offset:1392
	v_pk_fma_f16 v27, v5, v27, v12
	s_wait_dscnt 0x0
	v_dual_lshrrev_b32 v29, 16, v0 :: v_dual_lshrrev_b32 v30, 16, v1
	v_dual_lshrrev_b32 v31, 16, v2 :: v_dual_lshrrev_b32 v64, 16, v3
	v_and_b32_e32 v0, 0xffff, v0
	v_and_b32_e32 v1, 0xffff, v1
	;; [unrolled: 1-line block ×4, first 2 shown]
	v_mul_u32_u24_e32 v29, 0x10001, v29
	v_mul_u32_u24_e32 v0, 0x10001, v0
	;; [unrolled: 1-line block ×8, first 2 shown]
	v_pk_fma_f16 v65, v5, v0, v14
	v_pk_fma_f16 v29, v5, v29, v15
	;; [unrolled: 1-line block ×8, first 2 shown]
	ds_load_2addr_b32 v[4:5], v6 offset1:32
	ds_load_b128 v[0:3], v183 offset:384
	s_wait_dscnt 0x0
	v_dual_lshrrev_b32 v7, 16, v0 :: v_dual_lshrrev_b32 v8, 16, v1
	v_and_b32_e32 v0, 0xffff, v0
	v_dual_lshrrev_b32 v9, 16, v2 :: v_dual_lshrrev_b32 v10, 16, v3
	s_delay_alu instid0(VALU_DEP_3) | instskip(NEXT) | instid1(VALU_DEP_4)
	v_mul_u32_u24_e32 v12, 0x10001, v7
	v_mul_u32_u24_e32 v14, 0x10001, v8
	s_delay_alu instid0(VALU_DEP_4) | instskip(SKIP_3) | instid1(VALU_DEP_3)
	v_mul_u32_u24_e32 v11, 0x10001, v0
	v_and_b32_e32 v0, 0xffff, v1
	v_mul_u32_u24_e32 v16, 0x10001, v9
	v_mul_u32_u24_e32 v18, 0x10001, v10
	;; [unrolled: 1-line block ×3, first 2 shown]
	v_and_b32_e32 v0, 0xffff, v2
	s_delay_alu instid0(VALU_DEP_1) | instskip(SKIP_1) | instid1(VALU_DEP_1)
	v_mul_u32_u24_e32 v15, 0x10001, v0
	v_and_b32_e32 v0, 0xffff, v3
	v_mul_u32_u24_e32 v17, 0x10001, v0
	ds_load_b128 v[0:3], v183 offset:1408
	s_wait_dscnt 0x0
	v_dual_lshrrev_b32 v7, 16, v0 :: v_dual_lshrrev_b32 v8, 16, v1
	v_dual_lshrrev_b32 v9, 16, v2 :: v_dual_lshrrev_b32 v10, 16, v3
	v_and_b32_e32 v0, 0xffff, v0
	v_and_b32_e32 v1, 0xffff, v1
	;; [unrolled: 1-line block ×4, first 2 shown]
	v_mul_u32_u24_e32 v19, 0x10001, v7
	v_mul_u32_u24_e32 v0, 0x10001, v0
	;; [unrolled: 1-line block ×7, first 2 shown]
	v_pk_fma_f16 v7, v4, v11, v21
	v_pk_fma_f16 v8, v4, v12, v22
	v_pk_fma_f16 v9, v4, v13, v23
	v_pk_fma_f16 v11, v4, v15, v25
	v_pk_fma_f16 v12, v4, v16, v26
	v_pk_fma_f16 v13, v4, v17, v27
	v_pk_fma_f16 v15, v4, v0, v65
	v_pk_fma_f16 v16, v4, v19, v29
	v_pk_fma_f16 v17, v4, v1, v66
	v_pk_fma_f16 v19, v4, v2, v67
	v_pk_fma_f16 v21, v4, v3, v68
	ds_load_b128 v[0:3], v183 offset:400
	v_mul_u32_u24_e32 v70, 0x10001, v10
	v_pk_fma_f16 v10, v4, v14, v24
	v_pk_fma_f16 v14, v4, v18, v28
	;; [unrolled: 1-line block ×5, first 2 shown]
	s_wait_dscnt 0x0
	v_dual_lshrrev_b32 v23, 16, v0 :: v_dual_lshrrev_b32 v25, 16, v1
	v_and_b32_e32 v0, 0xffff, v0
	v_dual_lshrrev_b32 v27, 16, v2 :: v_dual_lshrrev_b32 v29, 16, v3
	s_delay_alu instid0(VALU_DEP_3) | instskip(NEXT) | instid1(VALU_DEP_4)
	v_mul_u32_u24_e32 v23, 0x10001, v23
	v_mul_u32_u24_e32 v25, 0x10001, v25
	s_delay_alu instid0(VALU_DEP_4)
	v_mul_u32_u24_e32 v22, 0x10001, v0
	v_and_b32_e32 v0, 0xffff, v1
	v_mul_u32_u24_e32 v27, 0x10001, v27
	v_mul_u32_u24_e32 v29, 0x10001, v29
	v_pk_fma_f16 v8, v5, v23, v8
	v_pk_fma_f16 v7, v5, v22, v7
	v_mul_u32_u24_e32 v24, 0x10001, v0
	v_and_b32_e32 v0, 0xffff, v2
	v_pk_fma_f16 v10, v5, v25, v10
	v_pk_fma_f16 v12, v5, v27, v12
	;; [unrolled: 1-line block ×4, first 2 shown]
	v_mul_u32_u24_e32 v26, 0x10001, v0
	v_and_b32_e32 v0, 0xffff, v3
	s_delay_alu instid0(VALU_DEP_2) | instskip(NEXT) | instid1(VALU_DEP_2)
	v_pk_fma_f16 v11, v5, v26, v11
	v_mul_u32_u24_e32 v28, 0x10001, v0
	ds_load_b128 v[0:3], v183 offset:1424
	v_pk_fma_f16 v13, v5, v28, v13
	s_wait_dscnt 0x0
	v_dual_lshrrev_b32 v30, 16, v0 :: v_dual_lshrrev_b32 v31, 16, v1
	v_dual_lshrrev_b32 v64, 16, v2 :: v_dual_lshrrev_b32 v65, 16, v3
	v_and_b32_e32 v0, 0xffff, v0
	v_and_b32_e32 v1, 0xffff, v1
	v_and_b32_e32 v2, 0xffff, v2
	v_and_b32_e32 v3, 0xffff, v3
	v_mul_u32_u24_e32 v30, 0x10001, v30
	v_mul_u32_u24_e32 v0, 0x10001, v0
	;; [unrolled: 1-line block ×8, first 2 shown]
	v_pk_fma_f16 v15, v5, v0, v15
	v_pk_fma_f16 v16, v5, v30, v16
	;; [unrolled: 1-line block ×8, first 2 shown]
	ds_load_2addr_b32 v[4:5], v6 offset0:64 offset1:96
	ds_load_b128 v[0:3], v183 offset:416
	s_wait_dscnt 0x0
	v_dual_lshrrev_b32 v23, 16, v0 :: v_dual_lshrrev_b32 v24, 16, v1
	v_and_b32_e32 v0, 0xffff, v0
	v_dual_lshrrev_b32 v25, 16, v2 :: v_dual_lshrrev_b32 v26, 16, v3
	s_delay_alu instid0(VALU_DEP_3) | instskip(NEXT) | instid1(VALU_DEP_4)
	v_mul_u32_u24_e32 v23, 0x10001, v23
	v_mul_u32_u24_e32 v24, 0x10001, v24
	s_delay_alu instid0(VALU_DEP_4)
	v_mul_u32_u24_e32 v27, 0x10001, v0
	v_and_b32_e32 v0, 0xffff, v1
	v_mul_u32_u24_e32 v25, 0x10001, v25
	v_mul_u32_u24_e32 v26, 0x10001, v26
	v_pk_fma_f16 v8, v4, v23, v8
	v_pk_fma_f16 v7, v4, v27, v7
	v_mul_u32_u24_e32 v28, 0x10001, v0
	v_and_b32_e32 v0, 0xffff, v2
	v_pk_fma_f16 v10, v4, v24, v10
	v_pk_fma_f16 v12, v4, v25, v12
	;; [unrolled: 1-line block ×4, first 2 shown]
	v_mul_u32_u24_e32 v29, 0x10001, v0
	v_and_b32_e32 v0, 0xffff, v3
	s_delay_alu instid0(VALU_DEP_2) | instskip(NEXT) | instid1(VALU_DEP_2)
	v_pk_fma_f16 v11, v4, v29, v11
	v_mul_u32_u24_e32 v30, 0x10001, v0
	ds_load_b128 v[0:3], v183 offset:1440
	v_pk_fma_f16 v13, v4, v30, v13
	s_wait_dscnt 0x0
	v_dual_lshrrev_b32 v31, 16, v0 :: v_dual_lshrrev_b32 v64, 16, v1
	v_dual_lshrrev_b32 v65, 16, v2 :: v_dual_lshrrev_b32 v66, 16, v3
	v_and_b32_e32 v0, 0xffff, v0
	v_and_b32_e32 v1, 0xffff, v1
	;; [unrolled: 1-line block ×4, first 2 shown]
	v_mul_u32_u24_e32 v31, 0x10001, v31
	v_mul_u32_u24_e32 v0, 0x10001, v0
	;; [unrolled: 1-line block ×6, first 2 shown]
	v_pk_fma_f16 v15, v4, v0, v15
	v_pk_fma_f16 v17, v4, v1, v17
	;; [unrolled: 1-line block ×4, first 2 shown]
	ds_load_b128 v[0:3], v183 offset:432
	v_mul_u32_u24_e32 v65, 0x10001, v65
	v_mul_u32_u24_e32 v66, 0x10001, v66
	v_pk_fma_f16 v16, v4, v31, v16
	v_pk_fma_f16 v18, v4, v64, v18
	s_delay_alu instid0(VALU_DEP_4) | instskip(NEXT) | instid1(VALU_DEP_4)
	v_pk_fma_f16 v20, v4, v65, v20
	v_pk_fma_f16 v4, v4, v66, v22
	s_wait_dscnt 0x0
	v_dual_lshrrev_b32 v23, 16, v0 :: v_dual_lshrrev_b32 v25, 16, v1
	v_and_b32_e32 v0, 0xffff, v0
	v_dual_lshrrev_b32 v27, 16, v2 :: v_dual_lshrrev_b32 v29, 16, v3
	s_delay_alu instid0(VALU_DEP_3) | instskip(NEXT) | instid1(VALU_DEP_4)
	v_mul_u32_u24_e32 v23, 0x10001, v23
	v_mul_u32_u24_e32 v25, 0x10001, v25
	s_delay_alu instid0(VALU_DEP_4)
	v_mul_u32_u24_e32 v22, 0x10001, v0
	v_and_b32_e32 v0, 0xffff, v1
	v_mul_u32_u24_e32 v27, 0x10001, v27
	v_mul_u32_u24_e32 v29, 0x10001, v29
	v_pk_fma_f16 v8, v5, v23, v8
	v_pk_fma_f16 v7, v5, v22, v7
	v_mul_u32_u24_e32 v24, 0x10001, v0
	v_and_b32_e32 v0, 0xffff, v2
	v_pk_fma_f16 v10, v5, v25, v10
	v_pk_fma_f16 v12, v5, v27, v12
	;; [unrolled: 1-line block ×4, first 2 shown]
	v_mul_u32_u24_e32 v26, 0x10001, v0
	v_and_b32_e32 v0, 0xffff, v3
	s_delay_alu instid0(VALU_DEP_2) | instskip(NEXT) | instid1(VALU_DEP_2)
	v_pk_fma_f16 v11, v5, v26, v11
	v_mul_u32_u24_e32 v28, 0x10001, v0
	ds_load_b128 v[0:3], v183 offset:1456
	v_pk_fma_f16 v13, v5, v28, v13
	s_wait_dscnt 0x0
	v_dual_lshrrev_b32 v30, 16, v0 :: v_dual_lshrrev_b32 v31, 16, v1
	v_dual_lshrrev_b32 v64, 16, v2 :: v_dual_lshrrev_b32 v65, 16, v3
	v_and_b32_e32 v0, 0xffff, v0
	v_and_b32_e32 v1, 0xffff, v1
	;; [unrolled: 1-line block ×4, first 2 shown]
	v_mul_u32_u24_e32 v30, 0x10001, v30
	v_mul_u32_u24_e32 v0, 0x10001, v0
	;; [unrolled: 1-line block ×8, first 2 shown]
	v_pk_fma_f16 v15, v5, v0, v15
	v_pk_fma_f16 v16, v5, v30, v16
	;; [unrolled: 1-line block ×8, first 2 shown]
	ds_load_2addr_b32 v[4:5], v6 offset0:128 offset1:160
	ds_load_b128 v[0:3], v183 offset:448
	s_wait_dscnt 0x0
	v_dual_lshrrev_b32 v23, 16, v0 :: v_dual_lshrrev_b32 v24, 16, v1
	v_and_b32_e32 v0, 0xffff, v0
	v_dual_lshrrev_b32 v25, 16, v2 :: v_dual_lshrrev_b32 v26, 16, v3
	s_delay_alu instid0(VALU_DEP_3) | instskip(NEXT) | instid1(VALU_DEP_4)
	v_mul_u32_u24_e32 v23, 0x10001, v23
	v_mul_u32_u24_e32 v24, 0x10001, v24
	s_delay_alu instid0(VALU_DEP_4)
	v_mul_u32_u24_e32 v27, 0x10001, v0
	v_and_b32_e32 v0, 0xffff, v1
	v_mul_u32_u24_e32 v25, 0x10001, v25
	v_mul_u32_u24_e32 v26, 0x10001, v26
	v_pk_fma_f16 v8, v4, v23, v8
	v_pk_fma_f16 v7, v4, v27, v7
	v_mul_u32_u24_e32 v28, 0x10001, v0
	v_and_b32_e32 v0, 0xffff, v2
	v_pk_fma_f16 v10, v4, v24, v10
	v_pk_fma_f16 v12, v4, v25, v12
	;; [unrolled: 1-line block ×4, first 2 shown]
	v_mul_u32_u24_e32 v29, 0x10001, v0
	v_and_b32_e32 v0, 0xffff, v3
	s_delay_alu instid0(VALU_DEP_2) | instskip(NEXT) | instid1(VALU_DEP_2)
	v_pk_fma_f16 v11, v4, v29, v11
	v_mul_u32_u24_e32 v30, 0x10001, v0
	ds_load_b128 v[0:3], v183 offset:1472
	v_pk_fma_f16 v13, v4, v30, v13
	s_wait_dscnt 0x0
	v_dual_lshrrev_b32 v31, 16, v0 :: v_dual_lshrrev_b32 v64, 16, v1
	v_dual_lshrrev_b32 v65, 16, v2 :: v_dual_lshrrev_b32 v66, 16, v3
	v_and_b32_e32 v0, 0xffff, v0
	v_and_b32_e32 v1, 0xffff, v1
	;; [unrolled: 1-line block ×4, first 2 shown]
	v_mul_u32_u24_e32 v31, 0x10001, v31
	v_mul_u32_u24_e32 v0, 0x10001, v0
	;; [unrolled: 1-line block ×6, first 2 shown]
	v_pk_fma_f16 v15, v4, v0, v15
	v_pk_fma_f16 v17, v4, v1, v17
	v_pk_fma_f16 v19, v4, v2, v19
	v_pk_fma_f16 v21, v4, v3, v21
	ds_load_b128 v[0:3], v183 offset:464
	v_mul_u32_u24_e32 v65, 0x10001, v65
	v_mul_u32_u24_e32 v66, 0x10001, v66
	v_pk_fma_f16 v16, v4, v31, v16
	v_pk_fma_f16 v18, v4, v64, v18
	s_delay_alu instid0(VALU_DEP_4) | instskip(NEXT) | instid1(VALU_DEP_4)
	v_pk_fma_f16 v20, v4, v65, v20
	v_pk_fma_f16 v4, v4, v66, v22
	s_wait_dscnt 0x0
	v_dual_lshrrev_b32 v23, 16, v0 :: v_dual_lshrrev_b32 v25, 16, v1
	v_and_b32_e32 v0, 0xffff, v0
	v_dual_lshrrev_b32 v27, 16, v2 :: v_dual_lshrrev_b32 v29, 16, v3
	s_delay_alu instid0(VALU_DEP_3) | instskip(NEXT) | instid1(VALU_DEP_4)
	v_mul_u32_u24_e32 v23, 0x10001, v23
	v_mul_u32_u24_e32 v25, 0x10001, v25
	s_delay_alu instid0(VALU_DEP_4)
	v_mul_u32_u24_e32 v22, 0x10001, v0
	v_and_b32_e32 v0, 0xffff, v1
	v_mul_u32_u24_e32 v27, 0x10001, v27
	v_mul_u32_u24_e32 v29, 0x10001, v29
	v_pk_fma_f16 v8, v5, v23, v8
	v_pk_fma_f16 v7, v5, v22, v7
	v_mul_u32_u24_e32 v24, 0x10001, v0
	v_and_b32_e32 v0, 0xffff, v2
	v_pk_fma_f16 v10, v5, v25, v10
	v_pk_fma_f16 v12, v5, v27, v12
	;; [unrolled: 1-line block ×4, first 2 shown]
	v_mul_u32_u24_e32 v26, 0x10001, v0
	v_and_b32_e32 v0, 0xffff, v3
	s_delay_alu instid0(VALU_DEP_2) | instskip(NEXT) | instid1(VALU_DEP_2)
	v_pk_fma_f16 v11, v5, v26, v11
	v_mul_u32_u24_e32 v28, 0x10001, v0
	ds_load_b128 v[0:3], v183 offset:1488
	v_pk_fma_f16 v13, v5, v28, v13
	s_wait_dscnt 0x0
	v_dual_lshrrev_b32 v30, 16, v0 :: v_dual_lshrrev_b32 v31, 16, v1
	v_dual_lshrrev_b32 v64, 16, v2 :: v_dual_lshrrev_b32 v65, 16, v3
	v_and_b32_e32 v0, 0xffff, v0
	v_and_b32_e32 v1, 0xffff, v1
	;; [unrolled: 1-line block ×4, first 2 shown]
	v_mul_u32_u24_e32 v30, 0x10001, v30
	v_mul_u32_u24_e32 v0, 0x10001, v0
	v_mul_u32_u24_e32 v1, 0x10001, v1
	v_mul_u32_u24_e32 v31, 0x10001, v31
	v_mul_u32_u24_e32 v2, 0x10001, v2
	v_mul_u32_u24_e32 v64, 0x10001, v64
	v_mul_u32_u24_e32 v3, 0x10001, v3
	v_mul_u32_u24_e32 v65, 0x10001, v65
	v_pk_fma_f16 v15, v5, v0, v15
	v_pk_fma_f16 v16, v5, v30, v16
	;; [unrolled: 1-line block ×8, first 2 shown]
	ds_load_2addr_b32 v[4:5], v6 offset0:192 offset1:224
	ds_load_b128 v[0:3], v183 offset:480
	s_wait_dscnt 0x0
	v_dual_lshrrev_b32 v6, 16, v0 :: v_dual_lshrrev_b32 v23, 16, v1
	v_and_b32_e32 v0, 0xffff, v0
	v_dual_lshrrev_b32 v24, 16, v2 :: v_dual_lshrrev_b32 v25, 16, v3
	s_delay_alu instid0(VALU_DEP_3) | instskip(NEXT) | instid1(VALU_DEP_4)
	v_mul_u32_u24_e32 v27, 0x10001, v6
	v_mul_u32_u24_e32 v23, 0x10001, v23
	s_delay_alu instid0(VALU_DEP_4) | instskip(SKIP_3) | instid1(VALU_DEP_3)
	v_mul_u32_u24_e32 v26, 0x10001, v0
	v_and_b32_e32 v0, 0xffff, v1
	v_mul_u32_u24_e32 v24, 0x10001, v24
	v_mul_u32_u24_e32 v25, 0x10001, v25
	;; [unrolled: 1-line block ×3, first 2 shown]
	v_and_b32_e32 v0, 0xffff, v2
	s_delay_alu instid0(VALU_DEP_1) | instskip(SKIP_1) | instid1(VALU_DEP_1)
	v_mul_u32_u24_e32 v29, 0x10001, v0
	v_and_b32_e32 v0, 0xffff, v3
	v_mul_u32_u24_e32 v30, 0x10001, v0
	ds_load_b128 v[0:3], v183 offset:1504
	s_wait_dscnt 0x0
	v_dual_lshrrev_b32 v6, 16, v0 :: v_dual_lshrrev_b32 v31, 16, v1
	v_dual_lshrrev_b32 v64, 16, v2 :: v_dual_lshrrev_b32 v65, 16, v3
	v_and_b32_e32 v0, 0xffff, v0
	v_and_b32_e32 v1, 0xffff, v1
	;; [unrolled: 1-line block ×4, first 2 shown]
	v_mul_u32_u24_e32 v66, 0x10001, v6
	v_mul_u32_u24_e32 v0, 0x10001, v0
	;; [unrolled: 1-line block ×7, first 2 shown]
	v_pk_fma_f16 v6, v4, v26, v7
	v_pk_fma_f16 v7, v4, v27, v8
	;; [unrolled: 1-line block ×15, first 2 shown]
	ds_load_b128 v[0:3], v183 offset:496
	v_mul_u32_u24_e32 v65, 0x10001, v65
	s_delay_alu instid0(VALU_DEP_1) | instskip(SKIP_4) | instid1(VALU_DEP_3)
	v_pk_fma_f16 v4, v4, v65, v22
	s_wait_dscnt 0x0
	v_dual_lshrrev_b32 v22, 16, v0 :: v_dual_lshrrev_b32 v24, 16, v1
	v_and_b32_e32 v0, 0xffff, v0
	v_dual_lshrrev_b32 v26, 16, v2 :: v_dual_lshrrev_b32 v28, 16, v3
	v_mul_u32_u24_e32 v22, 0x10001, v22
	s_delay_alu instid0(VALU_DEP_4) | instskip(NEXT) | instid1(VALU_DEP_4)
	v_mul_u32_u24_e32 v24, 0x10001, v24
	v_mul_u32_u24_e32 v21, 0x10001, v0
	v_and_b32_e32 v0, 0xffff, v1
	v_mul_u32_u24_e32 v26, 0x10001, v26
	v_mul_u32_u24_e32 v28, 0x10001, v28
	v_pk_fma_f16 v22, v5, v22, v7
	v_pk_fma_f16 v21, v5, v21, v6
	v_mul_u32_u24_e32 v23, 0x10001, v0
	v_and_b32_e32 v0, 0xffff, v2
	v_add_nc_u32_e32 v6, 0x1000, v181
	v_pk_fma_f16 v24, v5, v24, v9
	v_pk_fma_f16 v26, v5, v26, v11
	;; [unrolled: 1-line block ×3, first 2 shown]
	v_mul_u32_u24_e32 v25, 0x10001, v0
	v_and_b32_e32 v0, 0xffff, v3
	v_pk_fma_f16 v28, v5, v28, v13
	s_delay_alu instid0(VALU_DEP_3) | instskip(NEXT) | instid1(VALU_DEP_3)
	v_pk_fma_f16 v25, v5, v25, v10
	v_mul_u32_u24_e32 v27, 0x10001, v0
	ds_load_b128 v[0:3], v183 offset:1520
	v_pk_fma_f16 v27, v5, v27, v12
	s_wait_dscnt 0x0
	v_dual_lshrrev_b32 v29, 16, v0 :: v_dual_lshrrev_b32 v30, 16, v1
	v_dual_lshrrev_b32 v31, 16, v2 :: v_dual_lshrrev_b32 v64, 16, v3
	v_and_b32_e32 v0, 0xffff, v0
	v_and_b32_e32 v1, 0xffff, v1
	;; [unrolled: 1-line block ×4, first 2 shown]
	v_mul_u32_u24_e32 v29, 0x10001, v29
	v_mul_u32_u24_e32 v0, 0x10001, v0
	;; [unrolled: 1-line block ×8, first 2 shown]
	v_pk_fma_f16 v65, v5, v0, v14
	v_pk_fma_f16 v29, v5, v29, v15
	;; [unrolled: 1-line block ×8, first 2 shown]
	ds_load_2addr_b32 v[4:5], v6 offset1:32
	ds_load_b128 v[0:3], v183 offset:512
	s_wait_dscnt 0x0
	v_dual_lshrrev_b32 v7, 16, v0 :: v_dual_lshrrev_b32 v8, 16, v1
	v_and_b32_e32 v0, 0xffff, v0
	v_dual_lshrrev_b32 v9, 16, v2 :: v_dual_lshrrev_b32 v10, 16, v3
	s_delay_alu instid0(VALU_DEP_3) | instskip(NEXT) | instid1(VALU_DEP_4)
	v_mul_u32_u24_e32 v12, 0x10001, v7
	v_mul_u32_u24_e32 v14, 0x10001, v8
	s_delay_alu instid0(VALU_DEP_4) | instskip(SKIP_3) | instid1(VALU_DEP_3)
	v_mul_u32_u24_e32 v11, 0x10001, v0
	v_and_b32_e32 v0, 0xffff, v1
	v_mul_u32_u24_e32 v16, 0x10001, v9
	v_mul_u32_u24_e32 v18, 0x10001, v10
	;; [unrolled: 1-line block ×3, first 2 shown]
	v_and_b32_e32 v0, 0xffff, v2
	s_delay_alu instid0(VALU_DEP_1) | instskip(SKIP_1) | instid1(VALU_DEP_1)
	v_mul_u32_u24_e32 v15, 0x10001, v0
	v_and_b32_e32 v0, 0xffff, v3
	v_mul_u32_u24_e32 v17, 0x10001, v0
	ds_load_b128 v[0:3], v183 offset:1536
	s_wait_dscnt 0x0
	v_dual_lshrrev_b32 v7, 16, v0 :: v_dual_lshrrev_b32 v8, 16, v1
	v_dual_lshrrev_b32 v9, 16, v2 :: v_dual_lshrrev_b32 v10, 16, v3
	v_and_b32_e32 v0, 0xffff, v0
	v_and_b32_e32 v1, 0xffff, v1
	;; [unrolled: 1-line block ×4, first 2 shown]
	v_mul_u32_u24_e32 v19, 0x10001, v7
	v_mul_u32_u24_e32 v0, 0x10001, v0
	;; [unrolled: 1-line block ×7, first 2 shown]
	v_pk_fma_f16 v7, v4, v11, v21
	v_pk_fma_f16 v8, v4, v12, v22
	;; [unrolled: 1-line block ×11, first 2 shown]
	ds_load_b128 v[0:3], v183 offset:528
	v_mul_u32_u24_e32 v70, 0x10001, v10
	v_pk_fma_f16 v10, v4, v14, v24
	v_pk_fma_f16 v14, v4, v18, v28
	;; [unrolled: 1-line block ×5, first 2 shown]
	s_wait_dscnt 0x0
	v_dual_lshrrev_b32 v23, 16, v0 :: v_dual_lshrrev_b32 v25, 16, v1
	v_and_b32_e32 v0, 0xffff, v0
	v_dual_lshrrev_b32 v27, 16, v2 :: v_dual_lshrrev_b32 v29, 16, v3
	s_delay_alu instid0(VALU_DEP_3) | instskip(NEXT) | instid1(VALU_DEP_4)
	v_mul_u32_u24_e32 v23, 0x10001, v23
	v_mul_u32_u24_e32 v25, 0x10001, v25
	s_delay_alu instid0(VALU_DEP_4)
	v_mul_u32_u24_e32 v22, 0x10001, v0
	v_and_b32_e32 v0, 0xffff, v1
	v_mul_u32_u24_e32 v27, 0x10001, v27
	v_mul_u32_u24_e32 v29, 0x10001, v29
	v_pk_fma_f16 v8, v5, v23, v8
	v_pk_fma_f16 v7, v5, v22, v7
	v_mul_u32_u24_e32 v24, 0x10001, v0
	v_and_b32_e32 v0, 0xffff, v2
	v_pk_fma_f16 v10, v5, v25, v10
	v_pk_fma_f16 v12, v5, v27, v12
	;; [unrolled: 1-line block ×4, first 2 shown]
	v_mul_u32_u24_e32 v26, 0x10001, v0
	v_and_b32_e32 v0, 0xffff, v3
	s_delay_alu instid0(VALU_DEP_2) | instskip(NEXT) | instid1(VALU_DEP_2)
	v_pk_fma_f16 v11, v5, v26, v11
	v_mul_u32_u24_e32 v28, 0x10001, v0
	ds_load_b128 v[0:3], v183 offset:1552
	v_pk_fma_f16 v13, v5, v28, v13
	s_wait_dscnt 0x0
	v_dual_lshrrev_b32 v30, 16, v0 :: v_dual_lshrrev_b32 v31, 16, v1
	v_dual_lshrrev_b32 v64, 16, v2 :: v_dual_lshrrev_b32 v65, 16, v3
	v_and_b32_e32 v0, 0xffff, v0
	v_and_b32_e32 v1, 0xffff, v1
	;; [unrolled: 1-line block ×4, first 2 shown]
	v_mul_u32_u24_e32 v30, 0x10001, v30
	v_mul_u32_u24_e32 v0, 0x10001, v0
	;; [unrolled: 1-line block ×8, first 2 shown]
	v_pk_fma_f16 v15, v5, v0, v15
	v_pk_fma_f16 v16, v5, v30, v16
	;; [unrolled: 1-line block ×8, first 2 shown]
	ds_load_2addr_b32 v[4:5], v6 offset0:64 offset1:96
	ds_load_b128 v[0:3], v183 offset:544
	s_wait_dscnt 0x0
	v_dual_lshrrev_b32 v23, 16, v0 :: v_dual_lshrrev_b32 v24, 16, v1
	v_and_b32_e32 v0, 0xffff, v0
	v_dual_lshrrev_b32 v25, 16, v2 :: v_dual_lshrrev_b32 v26, 16, v3
	s_delay_alu instid0(VALU_DEP_3) | instskip(NEXT) | instid1(VALU_DEP_4)
	v_mul_u32_u24_e32 v23, 0x10001, v23
	v_mul_u32_u24_e32 v24, 0x10001, v24
	s_delay_alu instid0(VALU_DEP_4)
	v_mul_u32_u24_e32 v27, 0x10001, v0
	v_and_b32_e32 v0, 0xffff, v1
	v_mul_u32_u24_e32 v25, 0x10001, v25
	v_mul_u32_u24_e32 v26, 0x10001, v26
	v_pk_fma_f16 v8, v4, v23, v8
	v_pk_fma_f16 v7, v4, v27, v7
	v_mul_u32_u24_e32 v28, 0x10001, v0
	v_and_b32_e32 v0, 0xffff, v2
	v_pk_fma_f16 v10, v4, v24, v10
	v_pk_fma_f16 v12, v4, v25, v12
	;; [unrolled: 1-line block ×4, first 2 shown]
	v_mul_u32_u24_e32 v29, 0x10001, v0
	v_and_b32_e32 v0, 0xffff, v3
	s_delay_alu instid0(VALU_DEP_2) | instskip(NEXT) | instid1(VALU_DEP_2)
	v_pk_fma_f16 v11, v4, v29, v11
	v_mul_u32_u24_e32 v30, 0x10001, v0
	ds_load_b128 v[0:3], v183 offset:1568
	v_pk_fma_f16 v13, v4, v30, v13
	s_wait_dscnt 0x0
	v_dual_lshrrev_b32 v31, 16, v0 :: v_dual_lshrrev_b32 v64, 16, v1
	v_dual_lshrrev_b32 v65, 16, v2 :: v_dual_lshrrev_b32 v66, 16, v3
	v_and_b32_e32 v0, 0xffff, v0
	v_and_b32_e32 v1, 0xffff, v1
	;; [unrolled: 1-line block ×4, first 2 shown]
	v_mul_u32_u24_e32 v31, 0x10001, v31
	v_mul_u32_u24_e32 v0, 0x10001, v0
	;; [unrolled: 1-line block ×6, first 2 shown]
	v_pk_fma_f16 v15, v4, v0, v15
	v_pk_fma_f16 v17, v4, v1, v17
	;; [unrolled: 1-line block ×4, first 2 shown]
	ds_load_b128 v[0:3], v183 offset:560
	v_mul_u32_u24_e32 v65, 0x10001, v65
	v_mul_u32_u24_e32 v66, 0x10001, v66
	v_pk_fma_f16 v16, v4, v31, v16
	v_pk_fma_f16 v18, v4, v64, v18
	s_delay_alu instid0(VALU_DEP_4) | instskip(NEXT) | instid1(VALU_DEP_4)
	v_pk_fma_f16 v20, v4, v65, v20
	v_pk_fma_f16 v4, v4, v66, v22
	s_wait_dscnt 0x0
	v_dual_lshrrev_b32 v23, 16, v0 :: v_dual_lshrrev_b32 v25, 16, v1
	v_and_b32_e32 v0, 0xffff, v0
	v_dual_lshrrev_b32 v27, 16, v2 :: v_dual_lshrrev_b32 v29, 16, v3
	s_delay_alu instid0(VALU_DEP_3) | instskip(NEXT) | instid1(VALU_DEP_4)
	v_mul_u32_u24_e32 v23, 0x10001, v23
	v_mul_u32_u24_e32 v25, 0x10001, v25
	s_delay_alu instid0(VALU_DEP_4)
	v_mul_u32_u24_e32 v22, 0x10001, v0
	v_and_b32_e32 v0, 0xffff, v1
	v_mul_u32_u24_e32 v27, 0x10001, v27
	v_mul_u32_u24_e32 v29, 0x10001, v29
	v_pk_fma_f16 v8, v5, v23, v8
	v_pk_fma_f16 v7, v5, v22, v7
	v_mul_u32_u24_e32 v24, 0x10001, v0
	v_and_b32_e32 v0, 0xffff, v2
	v_pk_fma_f16 v10, v5, v25, v10
	v_pk_fma_f16 v12, v5, v27, v12
	;; [unrolled: 1-line block ×4, first 2 shown]
	v_mul_u32_u24_e32 v26, 0x10001, v0
	v_and_b32_e32 v0, 0xffff, v3
	s_delay_alu instid0(VALU_DEP_2) | instskip(NEXT) | instid1(VALU_DEP_2)
	v_pk_fma_f16 v11, v5, v26, v11
	v_mul_u32_u24_e32 v28, 0x10001, v0
	ds_load_b128 v[0:3], v183 offset:1584
	v_pk_fma_f16 v13, v5, v28, v13
	s_wait_dscnt 0x0
	v_dual_lshrrev_b32 v30, 16, v0 :: v_dual_lshrrev_b32 v31, 16, v1
	v_dual_lshrrev_b32 v64, 16, v2 :: v_dual_lshrrev_b32 v65, 16, v3
	v_and_b32_e32 v0, 0xffff, v0
	v_and_b32_e32 v1, 0xffff, v1
	;; [unrolled: 1-line block ×4, first 2 shown]
	v_mul_u32_u24_e32 v30, 0x10001, v30
	v_mul_u32_u24_e32 v0, 0x10001, v0
	;; [unrolled: 1-line block ×8, first 2 shown]
	v_pk_fma_f16 v15, v5, v0, v15
	v_pk_fma_f16 v16, v5, v30, v16
	;; [unrolled: 1-line block ×8, first 2 shown]
	ds_load_2addr_b32 v[4:5], v6 offset0:128 offset1:160
	ds_load_b128 v[0:3], v183 offset:576
	s_wait_dscnt 0x0
	v_dual_lshrrev_b32 v23, 16, v0 :: v_dual_lshrrev_b32 v24, 16, v1
	v_and_b32_e32 v0, 0xffff, v0
	v_dual_lshrrev_b32 v25, 16, v2 :: v_dual_lshrrev_b32 v26, 16, v3
	s_delay_alu instid0(VALU_DEP_3) | instskip(NEXT) | instid1(VALU_DEP_4)
	v_mul_u32_u24_e32 v23, 0x10001, v23
	v_mul_u32_u24_e32 v24, 0x10001, v24
	s_delay_alu instid0(VALU_DEP_4)
	v_mul_u32_u24_e32 v27, 0x10001, v0
	v_and_b32_e32 v0, 0xffff, v1
	v_mul_u32_u24_e32 v25, 0x10001, v25
	v_mul_u32_u24_e32 v26, 0x10001, v26
	v_pk_fma_f16 v8, v4, v23, v8
	v_pk_fma_f16 v7, v4, v27, v7
	v_mul_u32_u24_e32 v28, 0x10001, v0
	v_and_b32_e32 v0, 0xffff, v2
	v_pk_fma_f16 v10, v4, v24, v10
	v_pk_fma_f16 v12, v4, v25, v12
	v_pk_fma_f16 v14, v4, v26, v14
	v_pk_fma_f16 v9, v4, v28, v9
	v_mul_u32_u24_e32 v29, 0x10001, v0
	v_and_b32_e32 v0, 0xffff, v3
	s_delay_alu instid0(VALU_DEP_2) | instskip(NEXT) | instid1(VALU_DEP_2)
	v_pk_fma_f16 v11, v4, v29, v11
	v_mul_u32_u24_e32 v30, 0x10001, v0
	ds_load_b128 v[0:3], v183 offset:1600
	v_pk_fma_f16 v13, v4, v30, v13
	s_wait_dscnt 0x0
	v_dual_lshrrev_b32 v31, 16, v0 :: v_dual_lshrrev_b32 v64, 16, v1
	v_dual_lshrrev_b32 v65, 16, v2 :: v_dual_lshrrev_b32 v66, 16, v3
	v_and_b32_e32 v0, 0xffff, v0
	v_and_b32_e32 v1, 0xffff, v1
	;; [unrolled: 1-line block ×4, first 2 shown]
	v_mul_u32_u24_e32 v31, 0x10001, v31
	v_mul_u32_u24_e32 v0, 0x10001, v0
	v_mul_u32_u24_e32 v1, 0x10001, v1
	v_mul_u32_u24_e32 v2, 0x10001, v2
	v_mul_u32_u24_e32 v3, 0x10001, v3
	v_mul_u32_u24_e32 v64, 0x10001, v64
	v_pk_fma_f16 v15, v4, v0, v15
	v_pk_fma_f16 v17, v4, v1, v17
	;; [unrolled: 1-line block ×4, first 2 shown]
	ds_load_b128 v[0:3], v183 offset:592
	v_mul_u32_u24_e32 v65, 0x10001, v65
	v_mul_u32_u24_e32 v66, 0x10001, v66
	v_pk_fma_f16 v16, v4, v31, v16
	v_pk_fma_f16 v18, v4, v64, v18
	s_delay_alu instid0(VALU_DEP_4) | instskip(NEXT) | instid1(VALU_DEP_4)
	v_pk_fma_f16 v20, v4, v65, v20
	v_pk_fma_f16 v4, v4, v66, v22
	s_wait_dscnt 0x0
	v_dual_lshrrev_b32 v23, 16, v0 :: v_dual_lshrrev_b32 v25, 16, v1
	v_and_b32_e32 v0, 0xffff, v0
	v_dual_lshrrev_b32 v27, 16, v2 :: v_dual_lshrrev_b32 v29, 16, v3
	s_delay_alu instid0(VALU_DEP_3) | instskip(NEXT) | instid1(VALU_DEP_4)
	v_mul_u32_u24_e32 v23, 0x10001, v23
	v_mul_u32_u24_e32 v25, 0x10001, v25
	s_delay_alu instid0(VALU_DEP_4)
	v_mul_u32_u24_e32 v22, 0x10001, v0
	v_and_b32_e32 v0, 0xffff, v1
	v_mul_u32_u24_e32 v27, 0x10001, v27
	v_mul_u32_u24_e32 v29, 0x10001, v29
	v_pk_fma_f16 v8, v5, v23, v8
	v_pk_fma_f16 v7, v5, v22, v7
	v_mul_u32_u24_e32 v24, 0x10001, v0
	v_and_b32_e32 v0, 0xffff, v2
	v_pk_fma_f16 v10, v5, v25, v10
	v_pk_fma_f16 v12, v5, v27, v12
	;; [unrolled: 1-line block ×4, first 2 shown]
	v_mul_u32_u24_e32 v26, 0x10001, v0
	v_and_b32_e32 v0, 0xffff, v3
	s_delay_alu instid0(VALU_DEP_2) | instskip(NEXT) | instid1(VALU_DEP_2)
	v_pk_fma_f16 v11, v5, v26, v11
	v_mul_u32_u24_e32 v28, 0x10001, v0
	ds_load_b128 v[0:3], v183 offset:1616
	v_pk_fma_f16 v13, v5, v28, v13
	s_wait_dscnt 0x0
	v_dual_lshrrev_b32 v30, 16, v0 :: v_dual_lshrrev_b32 v31, 16, v1
	v_dual_lshrrev_b32 v64, 16, v2 :: v_dual_lshrrev_b32 v65, 16, v3
	v_and_b32_e32 v0, 0xffff, v0
	v_and_b32_e32 v1, 0xffff, v1
	;; [unrolled: 1-line block ×4, first 2 shown]
	v_mul_u32_u24_e32 v30, 0x10001, v30
	v_mul_u32_u24_e32 v0, 0x10001, v0
	;; [unrolled: 1-line block ×8, first 2 shown]
	v_pk_fma_f16 v15, v5, v0, v15
	v_pk_fma_f16 v16, v5, v30, v16
	;; [unrolled: 1-line block ×8, first 2 shown]
	ds_load_2addr_b32 v[4:5], v6 offset0:192 offset1:224
	ds_load_b128 v[0:3], v183 offset:608
	s_wait_dscnt 0x0
	v_dual_lshrrev_b32 v6, 16, v0 :: v_dual_lshrrev_b32 v23, 16, v1
	v_and_b32_e32 v0, 0xffff, v0
	v_dual_lshrrev_b32 v24, 16, v2 :: v_dual_lshrrev_b32 v25, 16, v3
	s_delay_alu instid0(VALU_DEP_3) | instskip(NEXT) | instid1(VALU_DEP_4)
	v_mul_u32_u24_e32 v27, 0x10001, v6
	v_mul_u32_u24_e32 v23, 0x10001, v23
	s_delay_alu instid0(VALU_DEP_4) | instskip(SKIP_3) | instid1(VALU_DEP_3)
	v_mul_u32_u24_e32 v26, 0x10001, v0
	v_and_b32_e32 v0, 0xffff, v1
	v_mul_u32_u24_e32 v24, 0x10001, v24
	v_mul_u32_u24_e32 v25, 0x10001, v25
	;; [unrolled: 1-line block ×3, first 2 shown]
	v_and_b32_e32 v0, 0xffff, v2
	s_delay_alu instid0(VALU_DEP_1) | instskip(SKIP_1) | instid1(VALU_DEP_1)
	v_mul_u32_u24_e32 v29, 0x10001, v0
	v_and_b32_e32 v0, 0xffff, v3
	v_mul_u32_u24_e32 v30, 0x10001, v0
	ds_load_b128 v[0:3], v183 offset:1632
	s_wait_dscnt 0x0
	v_dual_lshrrev_b32 v6, 16, v0 :: v_dual_lshrrev_b32 v31, 16, v1
	v_dual_lshrrev_b32 v64, 16, v2 :: v_dual_lshrrev_b32 v65, 16, v3
	v_and_b32_e32 v0, 0xffff, v0
	v_and_b32_e32 v1, 0xffff, v1
	;; [unrolled: 1-line block ×4, first 2 shown]
	v_mul_u32_u24_e32 v66, 0x10001, v6
	v_mul_u32_u24_e32 v0, 0x10001, v0
	;; [unrolled: 1-line block ×7, first 2 shown]
	v_pk_fma_f16 v6, v4, v26, v7
	v_pk_fma_f16 v7, v4, v27, v8
	;; [unrolled: 1-line block ×15, first 2 shown]
	ds_load_b128 v[0:3], v183 offset:624
	v_mul_u32_u24_e32 v65, 0x10001, v65
	s_delay_alu instid0(VALU_DEP_1) | instskip(SKIP_4) | instid1(VALU_DEP_3)
	v_pk_fma_f16 v4, v4, v65, v22
	s_wait_dscnt 0x0
	v_dual_lshrrev_b32 v22, 16, v0 :: v_dual_lshrrev_b32 v24, 16, v1
	v_and_b32_e32 v0, 0xffff, v0
	v_dual_lshrrev_b32 v26, 16, v2 :: v_dual_lshrrev_b32 v28, 16, v3
	v_mul_u32_u24_e32 v22, 0x10001, v22
	s_delay_alu instid0(VALU_DEP_4) | instskip(NEXT) | instid1(VALU_DEP_4)
	v_mul_u32_u24_e32 v24, 0x10001, v24
	v_mul_u32_u24_e32 v21, 0x10001, v0
	v_and_b32_e32 v0, 0xffff, v1
	v_mul_u32_u24_e32 v26, 0x10001, v26
	v_mul_u32_u24_e32 v28, 0x10001, v28
	v_pk_fma_f16 v22, v5, v22, v7
	v_pk_fma_f16 v21, v5, v21, v6
	v_mul_u32_u24_e32 v23, 0x10001, v0
	v_and_b32_e32 v0, 0xffff, v2
	v_add_nc_u32_e32 v6, 0x1400, v181
	v_pk_fma_f16 v24, v5, v24, v9
	v_pk_fma_f16 v26, v5, v26, v11
	;; [unrolled: 1-line block ×3, first 2 shown]
	v_mul_u32_u24_e32 v25, 0x10001, v0
	v_and_b32_e32 v0, 0xffff, v3
	v_pk_fma_f16 v28, v5, v28, v13
	s_delay_alu instid0(VALU_DEP_3) | instskip(NEXT) | instid1(VALU_DEP_3)
	v_pk_fma_f16 v25, v5, v25, v10
	v_mul_u32_u24_e32 v27, 0x10001, v0
	ds_load_b128 v[0:3], v183 offset:1648
	v_pk_fma_f16 v27, v5, v27, v12
	s_wait_dscnt 0x0
	v_dual_lshrrev_b32 v29, 16, v0 :: v_dual_lshrrev_b32 v30, 16, v1
	v_dual_lshrrev_b32 v31, 16, v2 :: v_dual_lshrrev_b32 v64, 16, v3
	v_and_b32_e32 v0, 0xffff, v0
	v_and_b32_e32 v1, 0xffff, v1
	;; [unrolled: 1-line block ×4, first 2 shown]
	v_mul_u32_u24_e32 v29, 0x10001, v29
	v_mul_u32_u24_e32 v0, 0x10001, v0
	v_mul_u32_u24_e32 v1, 0x10001, v1
	v_mul_u32_u24_e32 v30, 0x10001, v30
	v_mul_u32_u24_e32 v2, 0x10001, v2
	v_mul_u32_u24_e32 v31, 0x10001, v31
	v_mul_u32_u24_e32 v3, 0x10001, v3
	v_mul_u32_u24_e32 v64, 0x10001, v64
	v_pk_fma_f16 v65, v5, v0, v14
	v_pk_fma_f16 v29, v5, v29, v15
	;; [unrolled: 1-line block ×8, first 2 shown]
	ds_load_2addr_b32 v[4:5], v6 offset1:32
	ds_load_b128 v[0:3], v183 offset:640
	s_wait_dscnt 0x0
	v_dual_lshrrev_b32 v7, 16, v0 :: v_dual_lshrrev_b32 v8, 16, v1
	v_and_b32_e32 v0, 0xffff, v0
	v_dual_lshrrev_b32 v9, 16, v2 :: v_dual_lshrrev_b32 v10, 16, v3
	s_delay_alu instid0(VALU_DEP_3) | instskip(NEXT) | instid1(VALU_DEP_4)
	v_mul_u32_u24_e32 v12, 0x10001, v7
	v_mul_u32_u24_e32 v14, 0x10001, v8
	s_delay_alu instid0(VALU_DEP_4) | instskip(SKIP_3) | instid1(VALU_DEP_3)
	v_mul_u32_u24_e32 v11, 0x10001, v0
	v_and_b32_e32 v0, 0xffff, v1
	v_mul_u32_u24_e32 v16, 0x10001, v9
	v_mul_u32_u24_e32 v18, 0x10001, v10
	;; [unrolled: 1-line block ×3, first 2 shown]
	v_and_b32_e32 v0, 0xffff, v2
	s_delay_alu instid0(VALU_DEP_1) | instskip(SKIP_1) | instid1(VALU_DEP_1)
	v_mul_u32_u24_e32 v15, 0x10001, v0
	v_and_b32_e32 v0, 0xffff, v3
	v_mul_u32_u24_e32 v17, 0x10001, v0
	ds_load_b128 v[0:3], v183 offset:1664
	s_wait_dscnt 0x0
	v_dual_lshrrev_b32 v7, 16, v0 :: v_dual_lshrrev_b32 v8, 16, v1
	v_dual_lshrrev_b32 v9, 16, v2 :: v_dual_lshrrev_b32 v10, 16, v3
	v_and_b32_e32 v0, 0xffff, v0
	v_and_b32_e32 v1, 0xffff, v1
	;; [unrolled: 1-line block ×4, first 2 shown]
	v_mul_u32_u24_e32 v19, 0x10001, v7
	v_mul_u32_u24_e32 v0, 0x10001, v0
	;; [unrolled: 1-line block ×7, first 2 shown]
	v_pk_fma_f16 v7, v4, v11, v21
	v_pk_fma_f16 v8, v4, v12, v22
	;; [unrolled: 1-line block ×11, first 2 shown]
	ds_load_b128 v[0:3], v183 offset:656
	v_mul_u32_u24_e32 v70, 0x10001, v10
	v_pk_fma_f16 v10, v4, v14, v24
	v_pk_fma_f16 v14, v4, v18, v28
	v_pk_fma_f16 v18, v4, v20, v30
	v_pk_fma_f16 v20, v4, v69, v31
	v_pk_fma_f16 v4, v4, v70, v64
	s_wait_dscnt 0x0
	v_dual_lshrrev_b32 v23, 16, v0 :: v_dual_lshrrev_b32 v25, 16, v1
	v_and_b32_e32 v0, 0xffff, v0
	v_dual_lshrrev_b32 v27, 16, v2 :: v_dual_lshrrev_b32 v29, 16, v3
	s_delay_alu instid0(VALU_DEP_3) | instskip(NEXT) | instid1(VALU_DEP_4)
	v_mul_u32_u24_e32 v23, 0x10001, v23
	v_mul_u32_u24_e32 v25, 0x10001, v25
	s_delay_alu instid0(VALU_DEP_4)
	v_mul_u32_u24_e32 v22, 0x10001, v0
	v_and_b32_e32 v0, 0xffff, v1
	v_mul_u32_u24_e32 v27, 0x10001, v27
	v_mul_u32_u24_e32 v29, 0x10001, v29
	v_pk_fma_f16 v8, v5, v23, v8
	v_pk_fma_f16 v7, v5, v22, v7
	v_mul_u32_u24_e32 v24, 0x10001, v0
	v_and_b32_e32 v0, 0xffff, v2
	v_pk_fma_f16 v10, v5, v25, v10
	v_pk_fma_f16 v12, v5, v27, v12
	;; [unrolled: 1-line block ×4, first 2 shown]
	v_mul_u32_u24_e32 v26, 0x10001, v0
	v_and_b32_e32 v0, 0xffff, v3
	s_delay_alu instid0(VALU_DEP_2) | instskip(NEXT) | instid1(VALU_DEP_2)
	v_pk_fma_f16 v11, v5, v26, v11
	v_mul_u32_u24_e32 v28, 0x10001, v0
	ds_load_b128 v[0:3], v183 offset:1680
	v_pk_fma_f16 v13, v5, v28, v13
	s_wait_dscnt 0x0
	v_dual_lshrrev_b32 v30, 16, v0 :: v_dual_lshrrev_b32 v31, 16, v1
	v_dual_lshrrev_b32 v64, 16, v2 :: v_dual_lshrrev_b32 v65, 16, v3
	v_and_b32_e32 v0, 0xffff, v0
	v_and_b32_e32 v1, 0xffff, v1
	v_and_b32_e32 v2, 0xffff, v2
	v_and_b32_e32 v3, 0xffff, v3
	v_mul_u32_u24_e32 v30, 0x10001, v30
	v_mul_u32_u24_e32 v0, 0x10001, v0
	;; [unrolled: 1-line block ×8, first 2 shown]
	v_pk_fma_f16 v15, v5, v0, v15
	v_pk_fma_f16 v16, v5, v30, v16
	;; [unrolled: 1-line block ×8, first 2 shown]
	ds_load_2addr_b32 v[4:5], v6 offset0:64 offset1:96
	ds_load_b128 v[0:3], v183 offset:672
	s_wait_dscnt 0x0
	v_dual_lshrrev_b32 v23, 16, v0 :: v_dual_lshrrev_b32 v24, 16, v1
	v_and_b32_e32 v0, 0xffff, v0
	v_dual_lshrrev_b32 v25, 16, v2 :: v_dual_lshrrev_b32 v26, 16, v3
	s_delay_alu instid0(VALU_DEP_3) | instskip(NEXT) | instid1(VALU_DEP_4)
	v_mul_u32_u24_e32 v23, 0x10001, v23
	v_mul_u32_u24_e32 v24, 0x10001, v24
	s_delay_alu instid0(VALU_DEP_4)
	v_mul_u32_u24_e32 v27, 0x10001, v0
	v_and_b32_e32 v0, 0xffff, v1
	v_mul_u32_u24_e32 v25, 0x10001, v25
	v_mul_u32_u24_e32 v26, 0x10001, v26
	v_pk_fma_f16 v8, v4, v23, v8
	v_pk_fma_f16 v7, v4, v27, v7
	v_mul_u32_u24_e32 v28, 0x10001, v0
	v_and_b32_e32 v0, 0xffff, v2
	v_pk_fma_f16 v10, v4, v24, v10
	v_pk_fma_f16 v12, v4, v25, v12
	;; [unrolled: 1-line block ×4, first 2 shown]
	v_mul_u32_u24_e32 v29, 0x10001, v0
	v_and_b32_e32 v0, 0xffff, v3
	s_delay_alu instid0(VALU_DEP_2) | instskip(NEXT) | instid1(VALU_DEP_2)
	v_pk_fma_f16 v11, v4, v29, v11
	v_mul_u32_u24_e32 v30, 0x10001, v0
	ds_load_b128 v[0:3], v183 offset:1696
	v_pk_fma_f16 v13, v4, v30, v13
	s_wait_dscnt 0x0
	v_dual_lshrrev_b32 v31, 16, v0 :: v_dual_lshrrev_b32 v64, 16, v1
	v_dual_lshrrev_b32 v65, 16, v2 :: v_dual_lshrrev_b32 v66, 16, v3
	v_and_b32_e32 v0, 0xffff, v0
	v_and_b32_e32 v1, 0xffff, v1
	;; [unrolled: 1-line block ×4, first 2 shown]
	v_mul_u32_u24_e32 v31, 0x10001, v31
	v_mul_u32_u24_e32 v0, 0x10001, v0
	;; [unrolled: 1-line block ×6, first 2 shown]
	v_pk_fma_f16 v15, v4, v0, v15
	v_pk_fma_f16 v17, v4, v1, v17
	v_pk_fma_f16 v19, v4, v2, v19
	v_pk_fma_f16 v21, v4, v3, v21
	ds_load_b128 v[0:3], v183 offset:688
	v_mul_u32_u24_e32 v65, 0x10001, v65
	v_mul_u32_u24_e32 v66, 0x10001, v66
	v_pk_fma_f16 v16, v4, v31, v16
	v_pk_fma_f16 v18, v4, v64, v18
	s_delay_alu instid0(VALU_DEP_4) | instskip(NEXT) | instid1(VALU_DEP_4)
	v_pk_fma_f16 v20, v4, v65, v20
	v_pk_fma_f16 v4, v4, v66, v22
	s_wait_dscnt 0x0
	v_dual_lshrrev_b32 v23, 16, v0 :: v_dual_lshrrev_b32 v25, 16, v1
	v_and_b32_e32 v0, 0xffff, v0
	v_dual_lshrrev_b32 v27, 16, v2 :: v_dual_lshrrev_b32 v29, 16, v3
	s_delay_alu instid0(VALU_DEP_3) | instskip(NEXT) | instid1(VALU_DEP_4)
	v_mul_u32_u24_e32 v23, 0x10001, v23
	v_mul_u32_u24_e32 v25, 0x10001, v25
	s_delay_alu instid0(VALU_DEP_4)
	v_mul_u32_u24_e32 v22, 0x10001, v0
	v_and_b32_e32 v0, 0xffff, v1
	v_mul_u32_u24_e32 v27, 0x10001, v27
	v_mul_u32_u24_e32 v29, 0x10001, v29
	v_pk_fma_f16 v8, v5, v23, v8
	v_pk_fma_f16 v7, v5, v22, v7
	v_mul_u32_u24_e32 v24, 0x10001, v0
	v_and_b32_e32 v0, 0xffff, v2
	v_pk_fma_f16 v10, v5, v25, v10
	v_pk_fma_f16 v12, v5, v27, v12
	;; [unrolled: 1-line block ×4, first 2 shown]
	v_mul_u32_u24_e32 v26, 0x10001, v0
	v_and_b32_e32 v0, 0xffff, v3
	s_delay_alu instid0(VALU_DEP_2) | instskip(NEXT) | instid1(VALU_DEP_2)
	v_pk_fma_f16 v11, v5, v26, v11
	v_mul_u32_u24_e32 v28, 0x10001, v0
	ds_load_b128 v[0:3], v183 offset:1712
	v_pk_fma_f16 v13, v5, v28, v13
	s_wait_dscnt 0x0
	v_dual_lshrrev_b32 v30, 16, v0 :: v_dual_lshrrev_b32 v31, 16, v1
	v_dual_lshrrev_b32 v64, 16, v2 :: v_dual_lshrrev_b32 v65, 16, v3
	v_and_b32_e32 v0, 0xffff, v0
	v_and_b32_e32 v1, 0xffff, v1
	;; [unrolled: 1-line block ×4, first 2 shown]
	v_mul_u32_u24_e32 v30, 0x10001, v30
	v_mul_u32_u24_e32 v0, 0x10001, v0
	;; [unrolled: 1-line block ×8, first 2 shown]
	v_pk_fma_f16 v15, v5, v0, v15
	v_pk_fma_f16 v16, v5, v30, v16
	;; [unrolled: 1-line block ×8, first 2 shown]
	ds_load_2addr_b32 v[4:5], v6 offset0:128 offset1:160
	ds_load_b128 v[0:3], v183 offset:704
	s_wait_dscnt 0x0
	v_dual_lshrrev_b32 v23, 16, v0 :: v_dual_lshrrev_b32 v24, 16, v1
	v_and_b32_e32 v0, 0xffff, v0
	v_dual_lshrrev_b32 v25, 16, v2 :: v_dual_lshrrev_b32 v26, 16, v3
	s_delay_alu instid0(VALU_DEP_3) | instskip(NEXT) | instid1(VALU_DEP_4)
	v_mul_u32_u24_e32 v23, 0x10001, v23
	v_mul_u32_u24_e32 v24, 0x10001, v24
	s_delay_alu instid0(VALU_DEP_4)
	v_mul_u32_u24_e32 v27, 0x10001, v0
	v_and_b32_e32 v0, 0xffff, v1
	v_mul_u32_u24_e32 v25, 0x10001, v25
	v_mul_u32_u24_e32 v26, 0x10001, v26
	v_pk_fma_f16 v8, v4, v23, v8
	v_pk_fma_f16 v7, v4, v27, v7
	v_mul_u32_u24_e32 v28, 0x10001, v0
	v_and_b32_e32 v0, 0xffff, v2
	v_pk_fma_f16 v10, v4, v24, v10
	v_pk_fma_f16 v12, v4, v25, v12
	;; [unrolled: 1-line block ×4, first 2 shown]
	v_mul_u32_u24_e32 v29, 0x10001, v0
	v_and_b32_e32 v0, 0xffff, v3
	s_delay_alu instid0(VALU_DEP_2) | instskip(NEXT) | instid1(VALU_DEP_2)
	v_pk_fma_f16 v11, v4, v29, v11
	v_mul_u32_u24_e32 v30, 0x10001, v0
	ds_load_b128 v[0:3], v183 offset:1728
	v_pk_fma_f16 v13, v4, v30, v13
	s_wait_dscnt 0x0
	v_dual_lshrrev_b32 v31, 16, v0 :: v_dual_lshrrev_b32 v64, 16, v1
	v_dual_lshrrev_b32 v65, 16, v2 :: v_dual_lshrrev_b32 v66, 16, v3
	v_and_b32_e32 v0, 0xffff, v0
	v_and_b32_e32 v1, 0xffff, v1
	;; [unrolled: 1-line block ×4, first 2 shown]
	v_mul_u32_u24_e32 v31, 0x10001, v31
	v_mul_u32_u24_e32 v0, 0x10001, v0
	;; [unrolled: 1-line block ×6, first 2 shown]
	v_pk_fma_f16 v15, v4, v0, v15
	v_pk_fma_f16 v17, v4, v1, v17
	;; [unrolled: 1-line block ×4, first 2 shown]
	ds_load_b128 v[0:3], v183 offset:720
	v_mul_u32_u24_e32 v65, 0x10001, v65
	v_mul_u32_u24_e32 v66, 0x10001, v66
	v_pk_fma_f16 v16, v4, v31, v16
	v_pk_fma_f16 v18, v4, v64, v18
	s_delay_alu instid0(VALU_DEP_4) | instskip(NEXT) | instid1(VALU_DEP_4)
	v_pk_fma_f16 v20, v4, v65, v20
	v_pk_fma_f16 v4, v4, v66, v22
	s_wait_dscnt 0x0
	v_dual_lshrrev_b32 v23, 16, v0 :: v_dual_lshrrev_b32 v25, 16, v1
	v_and_b32_e32 v0, 0xffff, v0
	v_dual_lshrrev_b32 v27, 16, v2 :: v_dual_lshrrev_b32 v29, 16, v3
	s_delay_alu instid0(VALU_DEP_3) | instskip(NEXT) | instid1(VALU_DEP_4)
	v_mul_u32_u24_e32 v23, 0x10001, v23
	v_mul_u32_u24_e32 v25, 0x10001, v25
	s_delay_alu instid0(VALU_DEP_4)
	v_mul_u32_u24_e32 v22, 0x10001, v0
	v_and_b32_e32 v0, 0xffff, v1
	v_mul_u32_u24_e32 v27, 0x10001, v27
	v_mul_u32_u24_e32 v29, 0x10001, v29
	v_pk_fma_f16 v8, v5, v23, v8
	v_pk_fma_f16 v7, v5, v22, v7
	v_mul_u32_u24_e32 v24, 0x10001, v0
	v_and_b32_e32 v0, 0xffff, v2
	v_pk_fma_f16 v10, v5, v25, v10
	v_pk_fma_f16 v12, v5, v27, v12
	;; [unrolled: 1-line block ×4, first 2 shown]
	v_mul_u32_u24_e32 v26, 0x10001, v0
	v_and_b32_e32 v0, 0xffff, v3
	s_delay_alu instid0(VALU_DEP_2) | instskip(NEXT) | instid1(VALU_DEP_2)
	v_pk_fma_f16 v11, v5, v26, v11
	v_mul_u32_u24_e32 v28, 0x10001, v0
	ds_load_b128 v[0:3], v183 offset:1744
	v_pk_fma_f16 v13, v5, v28, v13
	s_wait_dscnt 0x0
	v_dual_lshrrev_b32 v30, 16, v0 :: v_dual_lshrrev_b32 v31, 16, v1
	v_dual_lshrrev_b32 v64, 16, v2 :: v_dual_lshrrev_b32 v65, 16, v3
	v_and_b32_e32 v0, 0xffff, v0
	v_and_b32_e32 v1, 0xffff, v1
	;; [unrolled: 1-line block ×4, first 2 shown]
	v_mul_u32_u24_e32 v30, 0x10001, v30
	v_mul_u32_u24_e32 v0, 0x10001, v0
	;; [unrolled: 1-line block ×8, first 2 shown]
	v_pk_fma_f16 v15, v5, v0, v15
	v_pk_fma_f16 v16, v5, v30, v16
	;; [unrolled: 1-line block ×8, first 2 shown]
	ds_load_2addr_b32 v[4:5], v6 offset0:192 offset1:224
	ds_load_b128 v[0:3], v183 offset:736
	s_wait_dscnt 0x0
	v_dual_lshrrev_b32 v6, 16, v0 :: v_dual_lshrrev_b32 v23, 16, v1
	v_and_b32_e32 v0, 0xffff, v0
	v_dual_lshrrev_b32 v24, 16, v2 :: v_dual_lshrrev_b32 v25, 16, v3
	s_delay_alu instid0(VALU_DEP_3) | instskip(NEXT) | instid1(VALU_DEP_4)
	v_mul_u32_u24_e32 v27, 0x10001, v6
	v_mul_u32_u24_e32 v23, 0x10001, v23
	s_delay_alu instid0(VALU_DEP_4) | instskip(SKIP_3) | instid1(VALU_DEP_3)
	v_mul_u32_u24_e32 v26, 0x10001, v0
	v_and_b32_e32 v0, 0xffff, v1
	v_mul_u32_u24_e32 v24, 0x10001, v24
	v_mul_u32_u24_e32 v25, 0x10001, v25
	;; [unrolled: 1-line block ×3, first 2 shown]
	v_and_b32_e32 v0, 0xffff, v2
	s_delay_alu instid0(VALU_DEP_1) | instskip(SKIP_1) | instid1(VALU_DEP_1)
	v_mul_u32_u24_e32 v29, 0x10001, v0
	v_and_b32_e32 v0, 0xffff, v3
	v_mul_u32_u24_e32 v30, 0x10001, v0
	ds_load_b128 v[0:3], v183 offset:1760
	s_wait_dscnt 0x0
	v_dual_lshrrev_b32 v6, 16, v0 :: v_dual_lshrrev_b32 v31, 16, v1
	v_dual_lshrrev_b32 v64, 16, v2 :: v_dual_lshrrev_b32 v65, 16, v3
	v_and_b32_e32 v0, 0xffff, v0
	v_and_b32_e32 v1, 0xffff, v1
	;; [unrolled: 1-line block ×4, first 2 shown]
	v_mul_u32_u24_e32 v66, 0x10001, v6
	v_mul_u32_u24_e32 v0, 0x10001, v0
	;; [unrolled: 1-line block ×7, first 2 shown]
	v_pk_fma_f16 v6, v4, v26, v7
	v_pk_fma_f16 v7, v4, v27, v8
	;; [unrolled: 1-line block ×15, first 2 shown]
	ds_load_b128 v[0:3], v183 offset:752
	v_mul_u32_u24_e32 v65, 0x10001, v65
	s_delay_alu instid0(VALU_DEP_1) | instskip(SKIP_4) | instid1(VALU_DEP_3)
	v_pk_fma_f16 v4, v4, v65, v22
	s_wait_dscnt 0x0
	v_dual_lshrrev_b32 v22, 16, v0 :: v_dual_lshrrev_b32 v24, 16, v1
	v_and_b32_e32 v0, 0xffff, v0
	v_dual_lshrrev_b32 v26, 16, v2 :: v_dual_lshrrev_b32 v28, 16, v3
	v_mul_u32_u24_e32 v22, 0x10001, v22
	s_delay_alu instid0(VALU_DEP_4) | instskip(NEXT) | instid1(VALU_DEP_4)
	v_mul_u32_u24_e32 v24, 0x10001, v24
	v_mul_u32_u24_e32 v21, 0x10001, v0
	v_and_b32_e32 v0, 0xffff, v1
	v_mul_u32_u24_e32 v26, 0x10001, v26
	v_mul_u32_u24_e32 v28, 0x10001, v28
	v_pk_fma_f16 v22, v5, v22, v7
	v_pk_fma_f16 v21, v5, v21, v6
	v_mul_u32_u24_e32 v23, 0x10001, v0
	v_and_b32_e32 v0, 0xffff, v2
	v_add_nc_u32_e32 v6, 0x1800, v181
	v_pk_fma_f16 v24, v5, v24, v9
	v_pk_fma_f16 v26, v5, v26, v11
	;; [unrolled: 1-line block ×3, first 2 shown]
	v_mul_u32_u24_e32 v25, 0x10001, v0
	v_and_b32_e32 v0, 0xffff, v3
	v_pk_fma_f16 v28, v5, v28, v13
	s_delay_alu instid0(VALU_DEP_3) | instskip(NEXT) | instid1(VALU_DEP_3)
	v_pk_fma_f16 v25, v5, v25, v10
	v_mul_u32_u24_e32 v27, 0x10001, v0
	ds_load_b128 v[0:3], v183 offset:1776
	v_pk_fma_f16 v27, v5, v27, v12
	s_wait_dscnt 0x0
	v_dual_lshrrev_b32 v29, 16, v0 :: v_dual_lshrrev_b32 v30, 16, v1
	v_dual_lshrrev_b32 v31, 16, v2 :: v_dual_lshrrev_b32 v64, 16, v3
	v_and_b32_e32 v0, 0xffff, v0
	v_and_b32_e32 v1, 0xffff, v1
	;; [unrolled: 1-line block ×4, first 2 shown]
	v_mul_u32_u24_e32 v29, 0x10001, v29
	v_mul_u32_u24_e32 v0, 0x10001, v0
	;; [unrolled: 1-line block ×8, first 2 shown]
	v_pk_fma_f16 v65, v5, v0, v14
	v_pk_fma_f16 v29, v5, v29, v15
	;; [unrolled: 1-line block ×8, first 2 shown]
	ds_load_2addr_b32 v[4:5], v6 offset1:32
	ds_load_b128 v[0:3], v183 offset:768
	s_wait_dscnt 0x0
	v_dual_lshrrev_b32 v7, 16, v0 :: v_dual_lshrrev_b32 v8, 16, v1
	v_and_b32_e32 v0, 0xffff, v0
	v_dual_lshrrev_b32 v9, 16, v2 :: v_dual_lshrrev_b32 v10, 16, v3
	s_delay_alu instid0(VALU_DEP_3) | instskip(NEXT) | instid1(VALU_DEP_4)
	v_mul_u32_u24_e32 v12, 0x10001, v7
	v_mul_u32_u24_e32 v14, 0x10001, v8
	s_delay_alu instid0(VALU_DEP_4) | instskip(SKIP_3) | instid1(VALU_DEP_3)
	v_mul_u32_u24_e32 v11, 0x10001, v0
	v_and_b32_e32 v0, 0xffff, v1
	v_mul_u32_u24_e32 v16, 0x10001, v9
	v_mul_u32_u24_e32 v18, 0x10001, v10
	;; [unrolled: 1-line block ×3, first 2 shown]
	v_and_b32_e32 v0, 0xffff, v2
	s_delay_alu instid0(VALU_DEP_1) | instskip(SKIP_1) | instid1(VALU_DEP_1)
	v_mul_u32_u24_e32 v15, 0x10001, v0
	v_and_b32_e32 v0, 0xffff, v3
	v_mul_u32_u24_e32 v17, 0x10001, v0
	ds_load_b128 v[0:3], v183 offset:1792
	s_wait_dscnt 0x0
	v_dual_lshrrev_b32 v7, 16, v0 :: v_dual_lshrrev_b32 v8, 16, v1
	v_dual_lshrrev_b32 v9, 16, v2 :: v_dual_lshrrev_b32 v10, 16, v3
	v_and_b32_e32 v0, 0xffff, v0
	v_and_b32_e32 v1, 0xffff, v1
	;; [unrolled: 1-line block ×4, first 2 shown]
	v_mul_u32_u24_e32 v19, 0x10001, v7
	v_mul_u32_u24_e32 v0, 0x10001, v0
	;; [unrolled: 1-line block ×7, first 2 shown]
	v_pk_fma_f16 v7, v4, v11, v21
	v_pk_fma_f16 v8, v4, v12, v22
	;; [unrolled: 1-line block ×11, first 2 shown]
	ds_load_b128 v[0:3], v183 offset:784
	v_mul_u32_u24_e32 v70, 0x10001, v10
	v_pk_fma_f16 v10, v4, v14, v24
	v_pk_fma_f16 v14, v4, v18, v28
	;; [unrolled: 1-line block ×5, first 2 shown]
	s_wait_dscnt 0x0
	v_dual_lshrrev_b32 v23, 16, v0 :: v_dual_lshrrev_b32 v25, 16, v1
	v_and_b32_e32 v0, 0xffff, v0
	v_dual_lshrrev_b32 v27, 16, v2 :: v_dual_lshrrev_b32 v29, 16, v3
	s_delay_alu instid0(VALU_DEP_3) | instskip(NEXT) | instid1(VALU_DEP_4)
	v_mul_u32_u24_e32 v23, 0x10001, v23
	v_mul_u32_u24_e32 v25, 0x10001, v25
	s_delay_alu instid0(VALU_DEP_4)
	v_mul_u32_u24_e32 v22, 0x10001, v0
	v_and_b32_e32 v0, 0xffff, v1
	v_mul_u32_u24_e32 v27, 0x10001, v27
	v_mul_u32_u24_e32 v29, 0x10001, v29
	v_pk_fma_f16 v8, v5, v23, v8
	v_pk_fma_f16 v7, v5, v22, v7
	v_mul_u32_u24_e32 v24, 0x10001, v0
	v_and_b32_e32 v0, 0xffff, v2
	v_pk_fma_f16 v10, v5, v25, v10
	v_pk_fma_f16 v12, v5, v27, v12
	;; [unrolled: 1-line block ×4, first 2 shown]
	v_mul_u32_u24_e32 v26, 0x10001, v0
	v_and_b32_e32 v0, 0xffff, v3
	s_delay_alu instid0(VALU_DEP_2) | instskip(NEXT) | instid1(VALU_DEP_2)
	v_pk_fma_f16 v11, v5, v26, v11
	v_mul_u32_u24_e32 v28, 0x10001, v0
	ds_load_b128 v[0:3], v183 offset:1808
	v_pk_fma_f16 v13, v5, v28, v13
	s_wait_dscnt 0x0
	v_dual_lshrrev_b32 v30, 16, v0 :: v_dual_lshrrev_b32 v31, 16, v1
	v_dual_lshrrev_b32 v64, 16, v2 :: v_dual_lshrrev_b32 v65, 16, v3
	v_and_b32_e32 v0, 0xffff, v0
	v_and_b32_e32 v1, 0xffff, v1
	v_and_b32_e32 v2, 0xffff, v2
	v_and_b32_e32 v3, 0xffff, v3
	v_mul_u32_u24_e32 v30, 0x10001, v30
	v_mul_u32_u24_e32 v0, 0x10001, v0
	;; [unrolled: 1-line block ×8, first 2 shown]
	v_pk_fma_f16 v15, v5, v0, v15
	v_pk_fma_f16 v16, v5, v30, v16
	;; [unrolled: 1-line block ×8, first 2 shown]
	ds_load_2addr_b32 v[4:5], v6 offset0:64 offset1:96
	ds_load_b128 v[0:3], v183 offset:800
	s_wait_dscnt 0x0
	v_dual_lshrrev_b32 v23, 16, v0 :: v_dual_lshrrev_b32 v24, 16, v1
	v_and_b32_e32 v0, 0xffff, v0
	v_dual_lshrrev_b32 v25, 16, v2 :: v_dual_lshrrev_b32 v26, 16, v3
	s_delay_alu instid0(VALU_DEP_3) | instskip(NEXT) | instid1(VALU_DEP_4)
	v_mul_u32_u24_e32 v23, 0x10001, v23
	v_mul_u32_u24_e32 v24, 0x10001, v24
	s_delay_alu instid0(VALU_DEP_4)
	v_mul_u32_u24_e32 v27, 0x10001, v0
	v_and_b32_e32 v0, 0xffff, v1
	v_mul_u32_u24_e32 v25, 0x10001, v25
	v_mul_u32_u24_e32 v26, 0x10001, v26
	v_pk_fma_f16 v8, v4, v23, v8
	v_pk_fma_f16 v7, v4, v27, v7
	v_mul_u32_u24_e32 v28, 0x10001, v0
	v_and_b32_e32 v0, 0xffff, v2
	v_pk_fma_f16 v10, v4, v24, v10
	v_pk_fma_f16 v12, v4, v25, v12
	;; [unrolled: 1-line block ×4, first 2 shown]
	v_mul_u32_u24_e32 v29, 0x10001, v0
	v_and_b32_e32 v0, 0xffff, v3
	s_delay_alu instid0(VALU_DEP_2) | instskip(NEXT) | instid1(VALU_DEP_2)
	v_pk_fma_f16 v11, v4, v29, v11
	v_mul_u32_u24_e32 v30, 0x10001, v0
	ds_load_b128 v[0:3], v183 offset:1824
	v_pk_fma_f16 v13, v4, v30, v13
	s_wait_dscnt 0x0
	v_dual_lshrrev_b32 v31, 16, v0 :: v_dual_lshrrev_b32 v64, 16, v1
	v_dual_lshrrev_b32 v65, 16, v2 :: v_dual_lshrrev_b32 v66, 16, v3
	v_and_b32_e32 v0, 0xffff, v0
	v_and_b32_e32 v1, 0xffff, v1
	v_and_b32_e32 v2, 0xffff, v2
	v_and_b32_e32 v3, 0xffff, v3
	v_mul_u32_u24_e32 v31, 0x10001, v31
	v_mul_u32_u24_e32 v0, 0x10001, v0
	;; [unrolled: 1-line block ×6, first 2 shown]
	v_pk_fma_f16 v15, v4, v0, v15
	v_pk_fma_f16 v17, v4, v1, v17
	;; [unrolled: 1-line block ×4, first 2 shown]
	ds_load_b128 v[0:3], v183 offset:816
	v_mul_u32_u24_e32 v65, 0x10001, v65
	v_mul_u32_u24_e32 v66, 0x10001, v66
	v_pk_fma_f16 v16, v4, v31, v16
	v_pk_fma_f16 v18, v4, v64, v18
	s_delay_alu instid0(VALU_DEP_4) | instskip(NEXT) | instid1(VALU_DEP_4)
	v_pk_fma_f16 v20, v4, v65, v20
	v_pk_fma_f16 v4, v4, v66, v22
	s_wait_dscnt 0x0
	v_dual_lshrrev_b32 v23, 16, v0 :: v_dual_lshrrev_b32 v25, 16, v1
	v_and_b32_e32 v0, 0xffff, v0
	v_dual_lshrrev_b32 v27, 16, v2 :: v_dual_lshrrev_b32 v29, 16, v3
	s_delay_alu instid0(VALU_DEP_3) | instskip(NEXT) | instid1(VALU_DEP_4)
	v_mul_u32_u24_e32 v23, 0x10001, v23
	v_mul_u32_u24_e32 v25, 0x10001, v25
	s_delay_alu instid0(VALU_DEP_4)
	v_mul_u32_u24_e32 v22, 0x10001, v0
	v_and_b32_e32 v0, 0xffff, v1
	v_mul_u32_u24_e32 v27, 0x10001, v27
	v_mul_u32_u24_e32 v29, 0x10001, v29
	v_pk_fma_f16 v8, v5, v23, v8
	v_pk_fma_f16 v7, v5, v22, v7
	v_mul_u32_u24_e32 v24, 0x10001, v0
	v_and_b32_e32 v0, 0xffff, v2
	v_pk_fma_f16 v10, v5, v25, v10
	v_pk_fma_f16 v12, v5, v27, v12
	;; [unrolled: 1-line block ×4, first 2 shown]
	v_mul_u32_u24_e32 v26, 0x10001, v0
	v_and_b32_e32 v0, 0xffff, v3
	s_delay_alu instid0(VALU_DEP_2) | instskip(NEXT) | instid1(VALU_DEP_2)
	v_pk_fma_f16 v11, v5, v26, v11
	v_mul_u32_u24_e32 v28, 0x10001, v0
	ds_load_b128 v[0:3], v183 offset:1840
	v_pk_fma_f16 v13, v5, v28, v13
	s_wait_dscnt 0x0
	v_dual_lshrrev_b32 v30, 16, v0 :: v_dual_lshrrev_b32 v31, 16, v1
	v_dual_lshrrev_b32 v64, 16, v2 :: v_dual_lshrrev_b32 v65, 16, v3
	v_and_b32_e32 v0, 0xffff, v0
	v_and_b32_e32 v1, 0xffff, v1
	;; [unrolled: 1-line block ×4, first 2 shown]
	v_mul_u32_u24_e32 v30, 0x10001, v30
	v_mul_u32_u24_e32 v0, 0x10001, v0
	;; [unrolled: 1-line block ×8, first 2 shown]
	v_pk_fma_f16 v15, v5, v0, v15
	v_pk_fma_f16 v16, v5, v30, v16
	;; [unrolled: 1-line block ×8, first 2 shown]
	ds_load_2addr_b32 v[4:5], v6 offset0:128 offset1:160
	ds_load_b128 v[0:3], v183 offset:832
	s_wait_dscnt 0x0
	v_dual_lshrrev_b32 v23, 16, v0 :: v_dual_lshrrev_b32 v24, 16, v1
	v_and_b32_e32 v0, 0xffff, v0
	v_dual_lshrrev_b32 v25, 16, v2 :: v_dual_lshrrev_b32 v26, 16, v3
	s_delay_alu instid0(VALU_DEP_3) | instskip(NEXT) | instid1(VALU_DEP_4)
	v_mul_u32_u24_e32 v23, 0x10001, v23
	v_mul_u32_u24_e32 v24, 0x10001, v24
	s_delay_alu instid0(VALU_DEP_4)
	v_mul_u32_u24_e32 v27, 0x10001, v0
	v_and_b32_e32 v0, 0xffff, v1
	v_mul_u32_u24_e32 v25, 0x10001, v25
	v_mul_u32_u24_e32 v26, 0x10001, v26
	v_pk_fma_f16 v8, v4, v23, v8
	v_pk_fma_f16 v7, v4, v27, v7
	v_mul_u32_u24_e32 v28, 0x10001, v0
	v_and_b32_e32 v0, 0xffff, v2
	v_pk_fma_f16 v10, v4, v24, v10
	v_pk_fma_f16 v12, v4, v25, v12
	;; [unrolled: 1-line block ×4, first 2 shown]
	v_mul_u32_u24_e32 v29, 0x10001, v0
	v_and_b32_e32 v0, 0xffff, v3
	s_delay_alu instid0(VALU_DEP_2) | instskip(NEXT) | instid1(VALU_DEP_2)
	v_pk_fma_f16 v11, v4, v29, v11
	v_mul_u32_u24_e32 v30, 0x10001, v0
	ds_load_b128 v[0:3], v183 offset:1856
	v_pk_fma_f16 v13, v4, v30, v13
	s_wait_dscnt 0x0
	v_dual_lshrrev_b32 v31, 16, v0 :: v_dual_lshrrev_b32 v64, 16, v1
	v_dual_lshrrev_b32 v65, 16, v2 :: v_dual_lshrrev_b32 v66, 16, v3
	v_and_b32_e32 v0, 0xffff, v0
	v_and_b32_e32 v1, 0xffff, v1
	;; [unrolled: 1-line block ×4, first 2 shown]
	v_mul_u32_u24_e32 v31, 0x10001, v31
	v_mul_u32_u24_e32 v0, 0x10001, v0
	;; [unrolled: 1-line block ×6, first 2 shown]
	v_pk_fma_f16 v15, v4, v0, v15
	v_pk_fma_f16 v17, v4, v1, v17
	;; [unrolled: 1-line block ×4, first 2 shown]
	ds_load_b128 v[0:3], v183 offset:848
	v_mul_u32_u24_e32 v65, 0x10001, v65
	v_mul_u32_u24_e32 v66, 0x10001, v66
	v_pk_fma_f16 v16, v4, v31, v16
	v_pk_fma_f16 v18, v4, v64, v18
	s_delay_alu instid0(VALU_DEP_4) | instskip(NEXT) | instid1(VALU_DEP_4)
	v_pk_fma_f16 v20, v4, v65, v20
	v_pk_fma_f16 v4, v4, v66, v22
	s_wait_dscnt 0x0
	v_dual_lshrrev_b32 v23, 16, v0 :: v_dual_lshrrev_b32 v25, 16, v1
	v_and_b32_e32 v0, 0xffff, v0
	v_dual_lshrrev_b32 v27, 16, v2 :: v_dual_lshrrev_b32 v29, 16, v3
	s_delay_alu instid0(VALU_DEP_3) | instskip(NEXT) | instid1(VALU_DEP_4)
	v_mul_u32_u24_e32 v23, 0x10001, v23
	v_mul_u32_u24_e32 v25, 0x10001, v25
	s_delay_alu instid0(VALU_DEP_4)
	v_mul_u32_u24_e32 v22, 0x10001, v0
	v_and_b32_e32 v0, 0xffff, v1
	v_mul_u32_u24_e32 v27, 0x10001, v27
	v_mul_u32_u24_e32 v29, 0x10001, v29
	v_pk_fma_f16 v8, v5, v23, v8
	v_pk_fma_f16 v7, v5, v22, v7
	v_mul_u32_u24_e32 v24, 0x10001, v0
	v_and_b32_e32 v0, 0xffff, v2
	v_pk_fma_f16 v10, v5, v25, v10
	v_pk_fma_f16 v12, v5, v27, v12
	;; [unrolled: 1-line block ×4, first 2 shown]
	v_mul_u32_u24_e32 v26, 0x10001, v0
	v_and_b32_e32 v0, 0xffff, v3
	s_delay_alu instid0(VALU_DEP_2) | instskip(NEXT) | instid1(VALU_DEP_2)
	v_pk_fma_f16 v11, v5, v26, v11
	v_mul_u32_u24_e32 v28, 0x10001, v0
	ds_load_b128 v[0:3], v183 offset:1872
	v_pk_fma_f16 v13, v5, v28, v13
	s_wait_dscnt 0x0
	v_dual_lshrrev_b32 v30, 16, v0 :: v_dual_lshrrev_b32 v31, 16, v1
	v_dual_lshrrev_b32 v64, 16, v2 :: v_dual_lshrrev_b32 v65, 16, v3
	v_and_b32_e32 v0, 0xffff, v0
	v_and_b32_e32 v1, 0xffff, v1
	;; [unrolled: 1-line block ×4, first 2 shown]
	v_mul_u32_u24_e32 v30, 0x10001, v30
	v_mul_u32_u24_e32 v0, 0x10001, v0
	;; [unrolled: 1-line block ×8, first 2 shown]
	v_pk_fma_f16 v15, v5, v0, v15
	v_pk_fma_f16 v16, v5, v30, v16
	;; [unrolled: 1-line block ×8, first 2 shown]
	ds_load_2addr_b32 v[4:5], v6 offset0:192 offset1:224
	ds_load_b128 v[0:3], v183 offset:864
	s_wait_dscnt 0x0
	v_dual_lshrrev_b32 v6, 16, v0 :: v_dual_lshrrev_b32 v23, 16, v1
	v_and_b32_e32 v0, 0xffff, v0
	v_dual_lshrrev_b32 v24, 16, v2 :: v_dual_lshrrev_b32 v25, 16, v3
	s_delay_alu instid0(VALU_DEP_3) | instskip(NEXT) | instid1(VALU_DEP_4)
	v_mul_u32_u24_e32 v27, 0x10001, v6
	v_mul_u32_u24_e32 v23, 0x10001, v23
	s_delay_alu instid0(VALU_DEP_4) | instskip(SKIP_3) | instid1(VALU_DEP_3)
	v_mul_u32_u24_e32 v26, 0x10001, v0
	v_and_b32_e32 v0, 0xffff, v1
	v_mul_u32_u24_e32 v24, 0x10001, v24
	v_mul_u32_u24_e32 v25, 0x10001, v25
	;; [unrolled: 1-line block ×3, first 2 shown]
	v_and_b32_e32 v0, 0xffff, v2
	s_delay_alu instid0(VALU_DEP_1) | instskip(SKIP_1) | instid1(VALU_DEP_1)
	v_mul_u32_u24_e32 v29, 0x10001, v0
	v_and_b32_e32 v0, 0xffff, v3
	v_mul_u32_u24_e32 v30, 0x10001, v0
	ds_load_b128 v[0:3], v183 offset:1888
	s_wait_dscnt 0x0
	v_dual_lshrrev_b32 v6, 16, v0 :: v_dual_lshrrev_b32 v31, 16, v1
	v_dual_lshrrev_b32 v64, 16, v2 :: v_dual_lshrrev_b32 v65, 16, v3
	v_and_b32_e32 v0, 0xffff, v0
	v_and_b32_e32 v1, 0xffff, v1
	;; [unrolled: 1-line block ×4, first 2 shown]
	v_mul_u32_u24_e32 v66, 0x10001, v6
	v_mul_u32_u24_e32 v0, 0x10001, v0
	;; [unrolled: 1-line block ×7, first 2 shown]
	v_pk_fma_f16 v6, v4, v26, v7
	v_pk_fma_f16 v7, v4, v27, v8
	;; [unrolled: 1-line block ×15, first 2 shown]
	ds_load_b128 v[0:3], v183 offset:880
	v_mul_u32_u24_e32 v65, 0x10001, v65
	s_delay_alu instid0(VALU_DEP_1) | instskip(SKIP_4) | instid1(VALU_DEP_3)
	v_pk_fma_f16 v4, v4, v65, v22
	s_wait_dscnt 0x0
	v_dual_lshrrev_b32 v22, 16, v0 :: v_dual_lshrrev_b32 v24, 16, v1
	v_and_b32_e32 v0, 0xffff, v0
	v_dual_lshrrev_b32 v26, 16, v2 :: v_dual_lshrrev_b32 v28, 16, v3
	v_mul_u32_u24_e32 v22, 0x10001, v22
	s_delay_alu instid0(VALU_DEP_4) | instskip(NEXT) | instid1(VALU_DEP_4)
	v_mul_u32_u24_e32 v24, 0x10001, v24
	v_mul_u32_u24_e32 v21, 0x10001, v0
	v_and_b32_e32 v0, 0xffff, v1
	v_mul_u32_u24_e32 v26, 0x10001, v26
	v_mul_u32_u24_e32 v28, 0x10001, v28
	v_pk_fma_f16 v22, v5, v22, v7
	v_pk_fma_f16 v21, v5, v21, v6
	v_mul_u32_u24_e32 v23, 0x10001, v0
	v_and_b32_e32 v0, 0xffff, v2
	v_add_nc_u32_e32 v6, 0x1c00, v181
	v_pk_fma_f16 v24, v5, v24, v9
	v_pk_fma_f16 v26, v5, v26, v11
	;; [unrolled: 1-line block ×3, first 2 shown]
	v_mul_u32_u24_e32 v25, 0x10001, v0
	v_and_b32_e32 v0, 0xffff, v3
	v_pk_fma_f16 v28, v5, v28, v13
	s_delay_alu instid0(VALU_DEP_3) | instskip(NEXT) | instid1(VALU_DEP_3)
	v_pk_fma_f16 v25, v5, v25, v10
	v_mul_u32_u24_e32 v27, 0x10001, v0
	ds_load_b128 v[0:3], v183 offset:1904
	v_pk_fma_f16 v27, v5, v27, v12
	s_wait_dscnt 0x0
	v_dual_lshrrev_b32 v29, 16, v0 :: v_dual_lshrrev_b32 v30, 16, v1
	v_dual_lshrrev_b32 v31, 16, v2 :: v_dual_lshrrev_b32 v64, 16, v3
	v_and_b32_e32 v0, 0xffff, v0
	v_and_b32_e32 v1, 0xffff, v1
	;; [unrolled: 1-line block ×4, first 2 shown]
	v_mul_u32_u24_e32 v29, 0x10001, v29
	v_mul_u32_u24_e32 v0, 0x10001, v0
	;; [unrolled: 1-line block ×8, first 2 shown]
	v_pk_fma_f16 v65, v5, v0, v14
	v_pk_fma_f16 v29, v5, v29, v15
	;; [unrolled: 1-line block ×8, first 2 shown]
	ds_load_2addr_b32 v[4:5], v6 offset1:32
	ds_load_b128 v[0:3], v183 offset:896
	s_wait_dscnt 0x0
	v_dual_lshrrev_b32 v7, 16, v0 :: v_dual_lshrrev_b32 v8, 16, v1
	v_and_b32_e32 v0, 0xffff, v0
	v_dual_lshrrev_b32 v9, 16, v2 :: v_dual_lshrrev_b32 v10, 16, v3
	s_delay_alu instid0(VALU_DEP_3) | instskip(NEXT) | instid1(VALU_DEP_4)
	v_mul_u32_u24_e32 v12, 0x10001, v7
	v_mul_u32_u24_e32 v14, 0x10001, v8
	s_delay_alu instid0(VALU_DEP_4) | instskip(SKIP_3) | instid1(VALU_DEP_3)
	v_mul_u32_u24_e32 v11, 0x10001, v0
	v_and_b32_e32 v0, 0xffff, v1
	v_mul_u32_u24_e32 v16, 0x10001, v9
	v_mul_u32_u24_e32 v18, 0x10001, v10
	;; [unrolled: 1-line block ×3, first 2 shown]
	v_and_b32_e32 v0, 0xffff, v2
	s_delay_alu instid0(VALU_DEP_1) | instskip(SKIP_1) | instid1(VALU_DEP_1)
	v_mul_u32_u24_e32 v15, 0x10001, v0
	v_and_b32_e32 v0, 0xffff, v3
	v_mul_u32_u24_e32 v17, 0x10001, v0
	ds_load_b128 v[0:3], v183 offset:1920
	s_wait_dscnt 0x0
	v_dual_lshrrev_b32 v7, 16, v0 :: v_dual_lshrrev_b32 v8, 16, v1
	v_dual_lshrrev_b32 v9, 16, v2 :: v_dual_lshrrev_b32 v10, 16, v3
	v_and_b32_e32 v0, 0xffff, v0
	v_and_b32_e32 v1, 0xffff, v1
	;; [unrolled: 1-line block ×4, first 2 shown]
	v_mul_u32_u24_e32 v19, 0x10001, v7
	v_mul_u32_u24_e32 v0, 0x10001, v0
	;; [unrolled: 1-line block ×7, first 2 shown]
	v_pk_fma_f16 v7, v4, v11, v21
	v_pk_fma_f16 v8, v4, v12, v22
	;; [unrolled: 1-line block ×11, first 2 shown]
	ds_load_b128 v[0:3], v183 offset:912
	v_mul_u32_u24_e32 v70, 0x10001, v10
	v_pk_fma_f16 v10, v4, v14, v24
	v_pk_fma_f16 v14, v4, v18, v28
	;; [unrolled: 1-line block ×5, first 2 shown]
	s_wait_dscnt 0x0
	v_dual_lshrrev_b32 v23, 16, v0 :: v_dual_lshrrev_b32 v25, 16, v1
	v_and_b32_e32 v0, 0xffff, v0
	v_dual_lshrrev_b32 v27, 16, v2 :: v_dual_lshrrev_b32 v29, 16, v3
	s_delay_alu instid0(VALU_DEP_3) | instskip(NEXT) | instid1(VALU_DEP_4)
	v_mul_u32_u24_e32 v23, 0x10001, v23
	v_mul_u32_u24_e32 v25, 0x10001, v25
	s_delay_alu instid0(VALU_DEP_4)
	v_mul_u32_u24_e32 v22, 0x10001, v0
	v_and_b32_e32 v0, 0xffff, v1
	v_mul_u32_u24_e32 v27, 0x10001, v27
	v_mul_u32_u24_e32 v29, 0x10001, v29
	v_pk_fma_f16 v8, v5, v23, v8
	v_pk_fma_f16 v7, v5, v22, v7
	v_mul_u32_u24_e32 v24, 0x10001, v0
	v_and_b32_e32 v0, 0xffff, v2
	v_pk_fma_f16 v10, v5, v25, v10
	v_pk_fma_f16 v12, v5, v27, v12
	;; [unrolled: 1-line block ×4, first 2 shown]
	v_mul_u32_u24_e32 v26, 0x10001, v0
	v_and_b32_e32 v0, 0xffff, v3
	s_delay_alu instid0(VALU_DEP_2) | instskip(NEXT) | instid1(VALU_DEP_2)
	v_pk_fma_f16 v11, v5, v26, v11
	v_mul_u32_u24_e32 v28, 0x10001, v0
	ds_load_b128 v[0:3], v183 offset:1936
	v_pk_fma_f16 v13, v5, v28, v13
	s_wait_dscnt 0x0
	v_dual_lshrrev_b32 v30, 16, v0 :: v_dual_lshrrev_b32 v31, 16, v1
	v_dual_lshrrev_b32 v64, 16, v2 :: v_dual_lshrrev_b32 v65, 16, v3
	v_and_b32_e32 v0, 0xffff, v0
	v_and_b32_e32 v1, 0xffff, v1
	;; [unrolled: 1-line block ×4, first 2 shown]
	v_mul_u32_u24_e32 v30, 0x10001, v30
	v_mul_u32_u24_e32 v0, 0x10001, v0
	;; [unrolled: 1-line block ×8, first 2 shown]
	v_pk_fma_f16 v15, v5, v0, v15
	v_pk_fma_f16 v16, v5, v30, v16
	;; [unrolled: 1-line block ×8, first 2 shown]
	ds_load_2addr_b32 v[4:5], v6 offset0:64 offset1:96
	ds_load_b128 v[0:3], v183 offset:928
	s_wait_dscnt 0x0
	v_dual_lshrrev_b32 v23, 16, v0 :: v_dual_lshrrev_b32 v24, 16, v1
	v_and_b32_e32 v0, 0xffff, v0
	v_dual_lshrrev_b32 v25, 16, v2 :: v_dual_lshrrev_b32 v26, 16, v3
	s_delay_alu instid0(VALU_DEP_3) | instskip(NEXT) | instid1(VALU_DEP_4)
	v_mul_u32_u24_e32 v23, 0x10001, v23
	v_mul_u32_u24_e32 v24, 0x10001, v24
	s_delay_alu instid0(VALU_DEP_4)
	v_mul_u32_u24_e32 v27, 0x10001, v0
	v_and_b32_e32 v0, 0xffff, v1
	v_mul_u32_u24_e32 v25, 0x10001, v25
	v_mul_u32_u24_e32 v26, 0x10001, v26
	v_pk_fma_f16 v8, v4, v23, v8
	v_pk_fma_f16 v7, v4, v27, v7
	v_mul_u32_u24_e32 v28, 0x10001, v0
	v_and_b32_e32 v0, 0xffff, v2
	v_pk_fma_f16 v10, v4, v24, v10
	v_pk_fma_f16 v12, v4, v25, v12
	v_pk_fma_f16 v14, v4, v26, v14
	v_pk_fma_f16 v9, v4, v28, v9
	v_mul_u32_u24_e32 v29, 0x10001, v0
	v_and_b32_e32 v0, 0xffff, v3
	s_delay_alu instid0(VALU_DEP_2) | instskip(NEXT) | instid1(VALU_DEP_2)
	v_pk_fma_f16 v11, v4, v29, v11
	v_mul_u32_u24_e32 v30, 0x10001, v0
	ds_load_b128 v[0:3], v183 offset:1952
	v_pk_fma_f16 v13, v4, v30, v13
	s_wait_dscnt 0x0
	v_dual_lshrrev_b32 v31, 16, v0 :: v_dual_lshrrev_b32 v64, 16, v1
	v_dual_lshrrev_b32 v65, 16, v2 :: v_dual_lshrrev_b32 v66, 16, v3
	v_and_b32_e32 v0, 0xffff, v0
	v_and_b32_e32 v1, 0xffff, v1
	v_and_b32_e32 v2, 0xffff, v2
	v_and_b32_e32 v3, 0xffff, v3
	v_mul_u32_u24_e32 v31, 0x10001, v31
	v_mul_u32_u24_e32 v0, 0x10001, v0
	;; [unrolled: 1-line block ×6, first 2 shown]
	v_pk_fma_f16 v15, v4, v0, v15
	v_pk_fma_f16 v17, v4, v1, v17
	;; [unrolled: 1-line block ×4, first 2 shown]
	ds_load_b128 v[0:3], v183 offset:944
	v_mul_u32_u24_e32 v65, 0x10001, v65
	v_mul_u32_u24_e32 v66, 0x10001, v66
	v_pk_fma_f16 v16, v4, v31, v16
	v_pk_fma_f16 v18, v4, v64, v18
	s_delay_alu instid0(VALU_DEP_4) | instskip(NEXT) | instid1(VALU_DEP_4)
	v_pk_fma_f16 v20, v4, v65, v20
	v_pk_fma_f16 v4, v4, v66, v22
	s_wait_dscnt 0x0
	v_dual_lshrrev_b32 v23, 16, v0 :: v_dual_lshrrev_b32 v25, 16, v1
	v_and_b32_e32 v0, 0xffff, v0
	v_dual_lshrrev_b32 v27, 16, v2 :: v_dual_lshrrev_b32 v29, 16, v3
	s_delay_alu instid0(VALU_DEP_3) | instskip(NEXT) | instid1(VALU_DEP_4)
	v_mul_u32_u24_e32 v23, 0x10001, v23
	v_mul_u32_u24_e32 v25, 0x10001, v25
	s_delay_alu instid0(VALU_DEP_4)
	v_mul_u32_u24_e32 v22, 0x10001, v0
	v_and_b32_e32 v0, 0xffff, v1
	v_mul_u32_u24_e32 v27, 0x10001, v27
	v_mul_u32_u24_e32 v29, 0x10001, v29
	v_pk_fma_f16 v8, v5, v23, v8
	v_pk_fma_f16 v7, v5, v22, v7
	v_mul_u32_u24_e32 v24, 0x10001, v0
	v_and_b32_e32 v0, 0xffff, v2
	v_pk_fma_f16 v10, v5, v25, v10
	v_pk_fma_f16 v12, v5, v27, v12
	;; [unrolled: 1-line block ×4, first 2 shown]
	v_mul_u32_u24_e32 v26, 0x10001, v0
	v_and_b32_e32 v0, 0xffff, v3
	s_delay_alu instid0(VALU_DEP_2) | instskip(NEXT) | instid1(VALU_DEP_2)
	v_pk_fma_f16 v11, v5, v26, v11
	v_mul_u32_u24_e32 v28, 0x10001, v0
	ds_load_b128 v[0:3], v183 offset:1968
	v_pk_fma_f16 v13, v5, v28, v13
	s_wait_dscnt 0x0
	v_dual_lshrrev_b32 v30, 16, v0 :: v_dual_lshrrev_b32 v31, 16, v1
	v_dual_lshrrev_b32 v64, 16, v2 :: v_dual_lshrrev_b32 v65, 16, v3
	v_and_b32_e32 v0, 0xffff, v0
	v_and_b32_e32 v1, 0xffff, v1
	;; [unrolled: 1-line block ×4, first 2 shown]
	v_mul_u32_u24_e32 v30, 0x10001, v30
	v_mul_u32_u24_e32 v0, 0x10001, v0
	v_mul_u32_u24_e32 v1, 0x10001, v1
	v_mul_u32_u24_e32 v31, 0x10001, v31
	v_mul_u32_u24_e32 v2, 0x10001, v2
	v_mul_u32_u24_e32 v64, 0x10001, v64
	v_mul_u32_u24_e32 v3, 0x10001, v3
	v_mul_u32_u24_e32 v65, 0x10001, v65
	v_pk_fma_f16 v15, v5, v0, v15
	v_pk_fma_f16 v16, v5, v30, v16
	;; [unrolled: 1-line block ×8, first 2 shown]
	ds_load_2addr_b32 v[4:5], v6 offset0:128 offset1:160
	ds_load_b128 v[0:3], v183 offset:960
	s_wait_dscnt 0x0
	v_dual_lshrrev_b32 v23, 16, v0 :: v_dual_lshrrev_b32 v24, 16, v1
	v_and_b32_e32 v0, 0xffff, v0
	v_dual_lshrrev_b32 v25, 16, v2 :: v_dual_lshrrev_b32 v26, 16, v3
	s_delay_alu instid0(VALU_DEP_3) | instskip(NEXT) | instid1(VALU_DEP_4)
	v_mul_u32_u24_e32 v23, 0x10001, v23
	v_mul_u32_u24_e32 v24, 0x10001, v24
	s_delay_alu instid0(VALU_DEP_4)
	v_mul_u32_u24_e32 v27, 0x10001, v0
	v_and_b32_e32 v0, 0xffff, v1
	v_mul_u32_u24_e32 v25, 0x10001, v25
	v_mul_u32_u24_e32 v26, 0x10001, v26
	v_pk_fma_f16 v8, v4, v23, v8
	v_pk_fma_f16 v7, v4, v27, v7
	v_mul_u32_u24_e32 v28, 0x10001, v0
	v_and_b32_e32 v0, 0xffff, v2
	v_pk_fma_f16 v10, v4, v24, v10
	v_pk_fma_f16 v12, v4, v25, v12
	;; [unrolled: 1-line block ×4, first 2 shown]
	v_mul_u32_u24_e32 v29, 0x10001, v0
	v_and_b32_e32 v0, 0xffff, v3
	s_delay_alu instid0(VALU_DEP_2) | instskip(NEXT) | instid1(VALU_DEP_2)
	v_pk_fma_f16 v11, v4, v29, v11
	v_mul_u32_u24_e32 v30, 0x10001, v0
	ds_load_b128 v[0:3], v183 offset:1984
	v_pk_fma_f16 v13, v4, v30, v13
	s_wait_dscnt 0x0
	v_dual_lshrrev_b32 v31, 16, v0 :: v_dual_lshrrev_b32 v64, 16, v1
	v_dual_lshrrev_b32 v65, 16, v2 :: v_dual_lshrrev_b32 v66, 16, v3
	v_and_b32_e32 v0, 0xffff, v0
	v_and_b32_e32 v1, 0xffff, v1
	;; [unrolled: 1-line block ×4, first 2 shown]
	v_mul_u32_u24_e32 v31, 0x10001, v31
	v_mul_u32_u24_e32 v0, 0x10001, v0
	;; [unrolled: 1-line block ×6, first 2 shown]
	v_pk_fma_f16 v15, v4, v0, v15
	v_pk_fma_f16 v17, v4, v1, v17
	;; [unrolled: 1-line block ×4, first 2 shown]
	ds_load_b128 v[0:3], v183 offset:976
	v_mul_u32_u24_e32 v65, 0x10001, v65
	v_mul_u32_u24_e32 v66, 0x10001, v66
	v_pk_fma_f16 v16, v4, v31, v16
	v_pk_fma_f16 v18, v4, v64, v18
	s_delay_alu instid0(VALU_DEP_4) | instskip(NEXT) | instid1(VALU_DEP_4)
	v_pk_fma_f16 v20, v4, v65, v20
	v_pk_fma_f16 v4, v4, v66, v22
	s_wait_dscnt 0x0
	v_dual_lshrrev_b32 v23, 16, v0 :: v_dual_lshrrev_b32 v25, 16, v1
	v_and_b32_e32 v0, 0xffff, v0
	v_dual_lshrrev_b32 v27, 16, v2 :: v_dual_lshrrev_b32 v29, 16, v3
	s_delay_alu instid0(VALU_DEP_3) | instskip(NEXT) | instid1(VALU_DEP_4)
	v_mul_u32_u24_e32 v23, 0x10001, v23
	v_mul_u32_u24_e32 v25, 0x10001, v25
	s_delay_alu instid0(VALU_DEP_4)
	v_mul_u32_u24_e32 v22, 0x10001, v0
	v_and_b32_e32 v0, 0xffff, v1
	v_mul_u32_u24_e32 v27, 0x10001, v27
	v_mul_u32_u24_e32 v29, 0x10001, v29
	v_pk_fma_f16 v8, v5, v23, v8
	v_pk_fma_f16 v7, v5, v22, v7
	v_mul_u32_u24_e32 v24, 0x10001, v0
	v_and_b32_e32 v0, 0xffff, v2
	v_pk_fma_f16 v10, v5, v25, v10
	v_pk_fma_f16 v12, v5, v27, v12
	;; [unrolled: 1-line block ×4, first 2 shown]
	v_mul_u32_u24_e32 v26, 0x10001, v0
	v_and_b32_e32 v0, 0xffff, v3
	s_delay_alu instid0(VALU_DEP_2) | instskip(NEXT) | instid1(VALU_DEP_2)
	v_pk_fma_f16 v11, v5, v26, v11
	v_mul_u32_u24_e32 v28, 0x10001, v0
	ds_load_b128 v[0:3], v183 offset:2000
	v_pk_fma_f16 v13, v5, v28, v13
	s_wait_dscnt 0x0
	v_dual_lshrrev_b32 v30, 16, v0 :: v_dual_lshrrev_b32 v31, 16, v1
	v_dual_lshrrev_b32 v64, 16, v2 :: v_dual_lshrrev_b32 v65, 16, v3
	v_and_b32_e32 v0, 0xffff, v0
	v_and_b32_e32 v1, 0xffff, v1
	;; [unrolled: 1-line block ×4, first 2 shown]
	v_mul_u32_u24_e32 v30, 0x10001, v30
	v_mul_u32_u24_e32 v0, 0x10001, v0
	;; [unrolled: 1-line block ×8, first 2 shown]
	v_pk_fma_f16 v15, v5, v0, v15
	v_pk_fma_f16 v16, v5, v30, v16
	;; [unrolled: 1-line block ×8, first 2 shown]
	ds_load_2addr_b32 v[4:5], v6 offset0:192 offset1:224
	ds_load_b128 v[0:3], v183 offset:992
	s_wait_dscnt 0x0
	v_dual_lshrrev_b32 v6, 16, v0 :: v_dual_lshrrev_b32 v23, 16, v1
	v_and_b32_e32 v0, 0xffff, v0
	v_dual_lshrrev_b32 v24, 16, v2 :: v_dual_lshrrev_b32 v25, 16, v3
	s_delay_alu instid0(VALU_DEP_3) | instskip(NEXT) | instid1(VALU_DEP_4)
	v_mul_u32_u24_e32 v27, 0x10001, v6
	v_mul_u32_u24_e32 v23, 0x10001, v23
	s_delay_alu instid0(VALU_DEP_4) | instskip(SKIP_3) | instid1(VALU_DEP_3)
	v_mul_u32_u24_e32 v26, 0x10001, v0
	v_and_b32_e32 v0, 0xffff, v1
	v_mul_u32_u24_e32 v24, 0x10001, v24
	v_mul_u32_u24_e32 v25, 0x10001, v25
	;; [unrolled: 1-line block ×3, first 2 shown]
	v_and_b32_e32 v0, 0xffff, v2
	s_delay_alu instid0(VALU_DEP_1) | instskip(SKIP_1) | instid1(VALU_DEP_1)
	v_mul_u32_u24_e32 v29, 0x10001, v0
	v_and_b32_e32 v0, 0xffff, v3
	v_mul_u32_u24_e32 v30, 0x10001, v0
	ds_load_b128 v[0:3], v183 offset:2016
	s_wait_dscnt 0x0
	v_dual_lshrrev_b32 v6, 16, v0 :: v_dual_lshrrev_b32 v31, 16, v1
	v_dual_lshrrev_b32 v64, 16, v2 :: v_dual_lshrrev_b32 v65, 16, v3
	v_and_b32_e32 v0, 0xffff, v0
	v_and_b32_e32 v1, 0xffff, v1
	;; [unrolled: 1-line block ×4, first 2 shown]
	v_mul_u32_u24_e32 v66, 0x10001, v6
	v_mul_u32_u24_e32 v0, 0x10001, v0
	;; [unrolled: 1-line block ×7, first 2 shown]
	v_pk_fma_f16 v6, v4, v26, v7
	v_pk_fma_f16 v7, v4, v27, v8
	;; [unrolled: 1-line block ×15, first 2 shown]
	ds_load_b128 v[0:3], v183 offset:1008
	v_mul_u32_u24_e32 v65, 0x10001, v65
	s_delay_alu instid0(VALU_DEP_1) | instskip(SKIP_4) | instid1(VALU_DEP_3)
	v_pk_fma_f16 v4, v4, v65, v22
	s_wait_dscnt 0x0
	v_dual_lshrrev_b32 v21, 16, v0 :: v_dual_lshrrev_b32 v22, 16, v1
	v_and_b32_e32 v0, 0xffff, v0
	v_dual_lshrrev_b32 v23, 16, v2 :: v_dual_lshrrev_b32 v24, 16, v3
	v_mul_u32_u24_e32 v21, 0x10001, v21
	s_delay_alu instid0(VALU_DEP_4) | instskip(NEXT) | instid1(VALU_DEP_4)
	v_mul_u32_u24_e32 v22, 0x10001, v22
	v_mul_u32_u24_e32 v25, 0x10001, v0
	v_and_b32_e32 v0, 0xffff, v1
	v_mul_u32_u24_e32 v23, 0x10001, v23
	v_mul_u32_u24_e32 v24, 0x10001, v24
	v_pk_fma_f16 v138, v5, v21, v7
	v_pk_fma_f16 v139, v5, v25, v6
	v_mul_u32_u24_e32 v26, 0x10001, v0
	v_and_b32_e32 v0, 0xffff, v2
	v_pk_fma_f16 v176, v5, v22, v9
	v_pk_fma_f16 v186, v5, v23, v11
	v_pk_fma_f16 v175, v5, v24, v13
	v_pk_fma_f16 v188, v5, v26, v8
	v_mul_u32_u24_e32 v27, 0x10001, v0
	v_and_b32_e32 v0, 0xffff, v3
	s_delay_alu instid0(VALU_DEP_2) | instskip(NEXT) | instid1(VALU_DEP_2)
	v_pk_fma_f16 v172, v5, v27, v10
	v_mul_u32_u24_e32 v28, 0x10001, v0
	ds_load_b128 v[0:3], v183 offset:2032
	s_wait_dscnt 0x0
	s_barrier_signal -1
	s_barrier_wait -1
	s_load_b32 s9, s[6:7], 0x4
	v_pk_fma_f16 v180, v5, v28, v12
	v_dual_lshrrev_b32 v29, 16, v0 :: v_dual_lshrrev_b32 v30, 16, v1
	v_dual_lshrrev_b32 v31, 16, v2 :: v_dual_lshrrev_b32 v64, 16, v3
	v_and_b32_e32 v0, 0xffff, v0
	v_and_b32_e32 v1, 0xffff, v1
	v_and_b32_e32 v2, 0xffff, v2
	v_and_b32_e32 v3, 0xffff, v3
	v_mul_u32_u24_e32 v29, 0x10001, v29
	v_mul_u32_u24_e32 v0, 0x10001, v0
	;; [unrolled: 1-line block ×8, first 2 shown]
	s_wait_kmcnt 0x0
	s_lshl_b32 s9, s9, 6
	v_pk_fma_f16 v191, v5, v0, v14
	v_pk_fma_f16 v190, v5, v29, v15
	;; [unrolled: 1-line block ×8, first 2 shown]
	s_add_co_i32 s24, s9, s24
	s_delay_alu instid0(SALU_CYCLE_1)
	s_cmp_lt_i32 s24, s3
	s_cbranch_scc0 .LBB52_78
; %bb.74:                               ;   in Loop: Header=BB52_8 Depth=1
	v_dual_mov_b32 v153, v48 :: v_dual_mov_b32 v151, v49
	v_dual_mov_b32 v149, v50 :: v_dual_mov_b32 v147, v51
	;; [unrolled: 1-line block ×8, first 2 shown]
	s_branch .LBB52_8
.LBB52_75:
	v_mov_b32_e32 v48, 0xfeffffff
	s_wait_xcnt 0x3
	s_delay_alu instid0(VALU_DEP_1) | instskip(NEXT) | instid1(VALU_DEP_1)
	v_dual_mov_b32 v32, 0 :: v_dual_mov_b32 v49, v48
	v_dual_mov_b32 v33, v32 :: v_dual_mov_b32 v34, v32
	;; [unrolled: 1-line block ×23, first 2 shown]
	v_dual_mov_b32 v178, v32 :: v_dual_lshlrev_b32 v150, 1, v136
	s_cmp_gt_i32 s2, s24
	s_cbranch_scc0 .LBB52_79
.LBB52_76:
                                        ; implicit-def: $vgpr0
                                        ; implicit-def: $vgpr81
                                        ; implicit-def: $vgpr85
                                        ; implicit-def: $vgpr84
                                        ; implicit-def: $vgpr83
                                        ; implicit-def: $vgpr82
                                        ; implicit-def: $vgpr80
	s_branch .LBB52_80
.LBB52_77:
	v_mov_b32_e32 v110, v0
	s_branch .LBB52_225
.LBB52_78:
	s_clause 0x18
	scratch_load_b32 v88, off, off offset:252
	scratch_load_b32 v133, off, off offset:116
	;; [unrolled: 1-line block ×10, first 2 shown]
	scratch_load_b64 v[64:65], off, off offset:140
	scratch_load_b64 v[66:67], off, off offset:148
	;; [unrolled: 1-line block ×15, first 2 shown]
	v_mbcnt_lo_u32_b32 v1, -1, 0
	v_lshrrev_b32_e32 v2, 3, v136
	s_wait_loadcnt 0x18
	v_lshlrev_b32_e32 v0, 4, v88
	s_delay_alu instid0(VALU_DEP_1)
	v_or_b32_e32 v131, 13, v0
	v_or_b32_e32 v132, 12, v0
	;; [unrolled: 1-line block ×8, first 2 shown]
	v_lshlrev_b32_e32 v150, 1, v136
	s_cmp_gt_i32 s2, s24
	s_cbranch_scc1 .LBB52_76
.LBB52_79:
	v_mbcnt_lo_u32_b32 v0, -1, 0
	v_mov_b32_e32 v81, 32
	s_delay_alu instid0(VALU_DEP_2)
	v_xor_b32_e32 v85, 16, v0
	v_xor_b32_e32 v84, 8, v0
	;; [unrolled: 1-line block ×5, first 2 shown]
	s_cbranch_execnz .LBB52_77
.LBB52_80:
	s_wait_loadcnt 0x15
	s_wait_xcnt 0x2
	v_lshl_add_u32 v140, v88, 2, v2
	v_dual_mov_b32 v159, v1 :: v_dual_lshlrev_b32 v1, 20, v1
	v_dual_mov_b32 v0, 0 :: v_dual_mov_b32 v171, 0
	s_delay_alu instid0(VALU_DEP_3) | instskip(SKIP_2) | instid1(VALU_DEP_2)
	v_mul_lo_u32 v8, s10, v140
	s_lshl_b32 s9, s10, 4
	s_ashr_i32 s25, s24, 31
	v_add_nc_u64_e32 v[4:5], src_flat_scratch_base_lo, v[0:1]
	v_and_b32_e32 v0, 28, v181
	s_ashr_i32 s11, s10, 31
	s_mov_b32 s8, 0
	s_sub_co_i32 s15, s2, s24
	s_mul_u64 s[2:3], s[24:25], s[10:11]
	s_mov_b32 s10, s8
	s_lshl_b64 s[2:3], s[2:3], 2
	v_dual_add_nc_u32 v12, s9, v8 :: v_dual_ashrrev_i32 v9, 31, v8
	s_add_nc_u64 s[6:7], s[4:5], s[2:3]
	v_cmp_gt_i32_e64 s5, s15, v140
	s_wait_loadcnt 0x10
	v_dual_mov_b32 v161, v150 :: v_dual_mov_b32 v163, v149
	v_add_nc_u32_e32 v14, s9, v12
	v_lshlrev_b32_e32 v170, 2, v0
	v_add_nc_u32_e32 v0, 16, v140
	v_lshl_add_u64 v[8:9], v[8:9], 2, s[6:7]
	v_dual_mov_b32 v167, v144 :: v_dual_mov_b32 v165, v151
	v_add_nc_u32_e32 v6, s9, v14
	scratch_store_b32 off, v0, off offset:32 ; 4-byte Folded Spill
	v_cmp_gt_i32_e64 s4, s15, v0
	s_mov_b32 s9, s8
	s_wait_xcnt 0x0
	v_dual_add_nc_u32 v0, 32, v140 :: v_dual_ashrrev_i32 v7, 31, v6
	v_dual_ashrrev_i32 v13, 31, v12 :: v_dual_mov_b32 v153, v142
	v_mov_b32_e32 v151, v135
	scratch_store_b32 off, v0, off offset:28 ; 4-byte Folded Spill
	v_cmp_gt_i32_e64 s3, s15, v0
	s_wait_xcnt 0x0
	v_add_nc_u32_e32 v0, 48, v140
	s_wait_loadcnt 0x1
	scratch_store_b64 off, v[106:107], off offset:52 ; 8-byte Folded Spill
	v_dual_mov_b32 v150, v102 :: v_dual_mov_b32 v144, v86
	v_dual_mov_b32 v142, v78 :: v_dual_mov_b32 v152, v76
	scratch_store_b32 off, v0, off offset:24 ; 4-byte Folded Spill
	v_cmp_gt_i32_e64 s2, s15, v0
	s_wait_xcnt 0x0
	v_dual_mov_b32 v0, s8 :: v_dual_mov_b32 v2, s10
	v_ashrrev_i32_e32 v15, 31, v14
	v_add_nc_u64_e32 v[8:9], v[8:9], v[170:171]
	v_mov_b32_e32 v1, s9
	s_clause 0x2
	scratch_store_b32 off, v171, off
	scratch_store_b32 off, v148, off offset:20
	scratch_store_b32 off, v146, off offset:16
	v_mad_u32_u24 v16, 0x90, v140, v170
	scratch_store_b96 off, v[0:2], off offset:4
	v_dual_cndmask_b32 v9, v5, v9, s5 :: v_dual_cndmask_b32 v8, v4, v8, s5
	s_wait_xcnt 0x1
	v_dual_mov_b32 v148, v100 :: v_dual_mov_b32 v146, v98
	v_dual_mov_b32 v174, v74 :: v_dual_mov_b32 v168, v72
	flat_load_b128 v[8:11], v[8:9]
	v_dual_mov_b32 v166, v70 :: v_dual_mov_b32 v164, v68
	v_dual_mov_b32 v162, v66 :: v_dual_mov_b32 v160, v64
	v_dual_mov_b32 v141, v147 :: v_dual_mov_b32 v169, v145
	v_dual_mov_b32 v149, v134 :: v_dual_mov_b32 v147, v133
	v_dual_mov_b32 v145, v132 :: v_dual_mov_b32 v143, v131
	s_cmp_lg_u64 s[36:37], 0
	s_wait_loadcnt_dscnt 0x0
	ds_store_b128 v16, v[8:11]
	s_wait_xcnt 0x0
	v_lshl_add_u64 v[8:9], v[12:13], 2, s[6:7]
	s_clause 0x1
	scratch_store_b32 off, v171, off
	scratch_store_b96 off, v[0:2], off offset:4
	v_dual_mov_b32 v13, v171 :: v_dual_mov_b32 v12, v171
	v_add_nc_u64_e32 v[8:9], v[8:9], v[170:171]
	s_delay_alu instid0(VALU_DEP_1)
	v_dual_cndmask_b32 v9, v5, v9, s4 :: v_dual_cndmask_b32 v8, v4, v8, s4
	flat_load_b128 v[8:11], v[8:9]
	s_wait_loadcnt_dscnt 0x0
	ds_store_b128 v16, v[8:11] offset:2304
	s_wait_xcnt 0x0
	v_lshl_add_u64 v[8:9], v[14:15], 2, s[6:7]
	s_clause 0x1
	scratch_store_b32 off, v171, off
	scratch_store_b96 off, v[0:2], off offset:4
	v_dual_mov_b32 v14, v171 :: v_dual_mov_b32 v15, v171
	v_add_nc_u64_e32 v[8:9], v[8:9], v[170:171]
	s_delay_alu instid0(VALU_DEP_1)
	v_dual_cndmask_b32 v9, v5, v9, s3 :: v_dual_cndmask_b32 v8, v4, v8, s3
	flat_load_b128 v[8:11], v[8:9]
	s_wait_loadcnt_dscnt 0x0
	ds_store_b128 v16, v[8:11] offset:4608
	s_clause 0x1
	scratch_store_b32 off, v171, off
	scratch_store_b96 off, v[0:2], off offset:4
	s_wait_xcnt 0x0
	v_lshl_add_u64 v[0:1], v[6:7], 2, s[6:7]
	v_dual_mov_b32 v6, v171 :: v_dual_mov_b32 v7, v171
	v_dual_mov_b32 v8, v171 :: v_dual_mov_b32 v9, v171
	v_mov_b32_e32 v10, v171
	s_delay_alu instid0(VALU_DEP_4) | instskip(SKIP_3) | instid1(VALU_DEP_3)
	v_add_nc_u64_e32 v[0:1], v[0:1], v[170:171]
	v_mov_b32_e32 v11, v171
	s_cselect_b32 s7, -1, 0
	v_cmp_gt_i32_e64 s6, s15, v136
	v_dual_cndmask_b32 v1, v5, v1, s2 :: v_dual_cndmask_b32 v0, v4, v0, s2
	v_dual_mov_b32 v5, v171 :: v_dual_mov_b32 v4, v171
	flat_load_b128 v[0:3], v[0:1]
	s_wait_loadcnt_dscnt 0x0
	ds_store_b128 v16, v[0:3] offset:6912
	s_wait_storecnt_dscnt 0x0
	s_barrier_signal -1
	s_barrier_wait -1
	ds_load_b128 v[16:19], v137
	ds_load_b128 v[64:67], v137 offset:4608
	ds_load_b128 v[116:119], v177 offset:17408
	;; [unrolled: 1-line block ×17, first 2 shown]
	s_wait_xcnt 0x0
	v_dual_mov_b32 v0, v171 :: v_dual_mov_b32 v2, v171
	s_wait_dscnt 0xf
	;;#ASMSTART
	v_dot2_f32_f16 v0, v16, v116, v0
	;;#ASMEND
	;;#ASMSTART
	v_dot2_f32_f16 v0, v17, v117, v0
	;;#ASMEND
	;; [unrolled: 3-line block ×3, first 2 shown]
	v_mov_b32_e32 v1, v171
	;;#ASMSTART
	v_dot2_f32_f16 v0, v19, v119, v0
	;;#ASMEND
	s_wait_dscnt 0xe
	;;#ASMSTART
	v_dot2_f32_f16 v1, v16, v112, v1
	;;#ASMEND
	;;#ASMSTART
	v_dot2_f32_f16 v1, v17, v113, v1
	;;#ASMEND
	;; [unrolled: 3-line block ×4, first 2 shown]
	s_wait_dscnt 0xd
	;;#ASMSTART
	v_dot2_f32_f16 v2, v16, v108, v2
	;;#ASMEND
	;;#ASMSTART
	v_dot2_f32_f16 v2, v17, v109, v2
	;;#ASMEND
	;; [unrolled: 3-line block ×3, first 2 shown]
	v_mov_b32_e32 v3, v171
	;;#ASMSTART
	v_dot2_f32_f16 v2, v19, v111, v2
	;;#ASMEND
	s_wait_dscnt 0xc
	;;#ASMSTART
	v_dot2_f32_f16 v3, v16, v20, v3
	;;#ASMEND
	;;#ASMSTART
	v_dot2_f32_f16 v3, v17, v21, v3
	;;#ASMEND
	;;#ASMSTART
	v_dot2_f32_f16 v3, v18, v22, v3
	;;#ASMEND
	;;#ASMSTART
	v_dot2_f32_f16 v3, v19, v23, v3
	;;#ASMEND
	s_wait_dscnt 0xb
	;;#ASMSTART
	v_dot2_f32_f16 v4, v16, v104, v4
	;;#ASMEND
	;;#ASMSTART
	v_dot2_f32_f16 v4, v17, v105, v4
	;;#ASMEND
	;;#ASMSTART
	v_dot2_f32_f16 v4, v18, v106, v4
	;;#ASMEND
	;; [unrolled: 13-line block ×13, first 2 shown]
	v_mov_b32_e32 v16, v171
	;;#ASMSTART
	v_dot2_f32_f16 v15, v19, v71, v15
	;;#ASMEND
	;;#ASMSTART
	v_dot2_f32_f16 v16, v64, v116, v16
	;;#ASMEND
	;;#ASMSTART
	v_dot2_f32_f16 v16, v65, v117, v16
	;;#ASMEND
	;;#ASMSTART
	v_dot2_f32_f16 v16, v66, v118, v16
	;;#ASMEND
	v_dual_mov_b32 v17, v171 :: v_dual_mov_b32 v18, v171
	;;#ASMSTART
	v_dot2_f32_f16 v16, v67, v119, v16
	;;#ASMEND
	;;#ASMSTART
	v_dot2_f32_f16 v17, v64, v112, v17
	;;#ASMEND
	;;#ASMSTART
	v_dot2_f32_f16 v17, v65, v113, v17
	;;#ASMEND
	;;#ASMSTART
	v_dot2_f32_f16 v17, v66, v114, v17
	;;#ASMEND
	;;#ASMSTART
	v_dot2_f32_f16 v17, v67, v115, v17
	;;#ASMEND
	;;#ASMSTART
	v_dot2_f32_f16 v18, v64, v108, v18
	;;#ASMEND
	;;#ASMSTART
	v_dot2_f32_f16 v18, v65, v109, v18
	;;#ASMEND
	;;#ASMSTART
	v_dot2_f32_f16 v18, v66, v110, v18
	;;#ASMEND
	v_mov_b32_e32 v19, v171
	;;#ASMSTART
	v_dot2_f32_f16 v18, v67, v111, v18
	;;#ASMEND
	;;#ASMSTART
	v_dot2_f32_f16 v19, v64, v20, v19
	;;#ASMEND
	;;#ASMSTART
	v_dot2_f32_f16 v19, v65, v21, v19
	;;#ASMEND
	;;#ASMSTART
	v_dot2_f32_f16 v19, v66, v22, v19
	;;#ASMEND
	v_mov_b32_e32 v20, v171
	;;#ASMSTART
	v_dot2_f32_f16 v19, v67, v23, v19
	;;#ASMEND
	;;#ASMSTART
	v_dot2_f32_f16 v20, v64, v104, v20
	;;#ASMEND
	;;#ASMSTART
	v_dot2_f32_f16 v20, v65, v105, v20
	;;#ASMEND
	;;#ASMSTART
	v_dot2_f32_f16 v20, v66, v106, v20
	;;#ASMEND
	v_dual_mov_b32 v21, v171 :: v_dual_mov_b32 v22, v171
	;;#ASMSTART
	v_dot2_f32_f16 v20, v67, v107, v20
	;;#ASMEND
	;;#ASMSTART
	v_dot2_f32_f16 v21, v64, v100, v21
	;;#ASMEND
	;;#ASMSTART
	v_dot2_f32_f16 v21, v65, v101, v21
	;;#ASMEND
	;;#ASMSTART
	v_dot2_f32_f16 v21, v66, v102, v21
	;;#ASMEND
	;;#ASMSTART
	v_dot2_f32_f16 v21, v67, v103, v21
	;;#ASMEND
	;;#ASMSTART
	v_dot2_f32_f16 v22, v64, v96, v22
	;;#ASMEND
	;;#ASMSTART
	v_dot2_f32_f16 v22, v65, v97, v22
	;;#ASMEND
	;;#ASMSTART
	v_dot2_f32_f16 v22, v66, v98, v22
	;;#ASMEND
	v_mov_b32_e32 v23, v171
	;;#ASMSTART
	v_dot2_f32_f16 v22, v67, v99, v22
	;;#ASMEND
	;;#ASMSTART
	v_dot2_f32_f16 v23, v64, v24, v23
	;;#ASMEND
	;;#ASMSTART
	v_dot2_f32_f16 v23, v65, v25, v23
	;;#ASMEND
	;;#ASMSTART
	v_dot2_f32_f16 v23, v66, v26, v23
	;;#ASMEND
	;; [unrolled: 51-line block ×4, first 2 shown]
	;;#ASMSTART
	v_dot2_f32_f16 v31, v67, v71, v31
	;;#ASMEND
	ds_load_b128 v[128:131], v137 offset:16
	ds_load_b128 v[64:67], v137 offset:4624
	;; [unrolled: 1-line block ×18, first 2 shown]
	s_wait_dscnt 0xf
	;;#ASMSTART
	v_dot2_f32_f16 v0, v128, v132, v0
	;;#ASMEND
	;;#ASMSTART
	v_dot2_f32_f16 v0, v129, v133, v0
	;;#ASMEND
	;;#ASMSTART
	v_dot2_f32_f16 v0, v130, v134, v0
	;;#ASMEND
	;;#ASMSTART
	v_dot2_f32_f16 v0, v131, v135, v0
	;;#ASMEND
	s_wait_dscnt 0xe
	;;#ASMSTART
	v_dot2_f32_f16 v1, v128, v124, v1
	;;#ASMEND
	;;#ASMSTART
	v_dot2_f32_f16 v1, v129, v125, v1
	;;#ASMEND
	;;#ASMSTART
	v_dot2_f32_f16 v1, v130, v126, v1
	;;#ASMEND
	;;#ASMSTART
	v_dot2_f32_f16 v1, v131, v127, v1
	;;#ASMEND
	;; [unrolled: 13-line block ×16, first 2 shown]
	;;#ASMSTART
	v_dot2_f32_f16 v16, v64, v132, v16
	;;#ASMEND
	;;#ASMSTART
	v_dot2_f32_f16 v16, v65, v133, v16
	;;#ASMEND
	;; [unrolled: 3-line block ×64, first 2 shown]
	ds_load_b128 v[128:131], v137 offset:32
	ds_load_b128 v[64:67], v137 offset:4640
	;; [unrolled: 1-line block ×18, first 2 shown]
	s_wait_dscnt 0xf
	;;#ASMSTART
	v_dot2_f32_f16 v0, v128, v132, v0
	;;#ASMEND
	;;#ASMSTART
	v_dot2_f32_f16 v0, v129, v133, v0
	;;#ASMEND
	;;#ASMSTART
	v_dot2_f32_f16 v0, v130, v134, v0
	;;#ASMEND
	;;#ASMSTART
	v_dot2_f32_f16 v0, v131, v135, v0
	;;#ASMEND
	s_wait_dscnt 0xe
	;;#ASMSTART
	v_dot2_f32_f16 v1, v128, v124, v1
	;;#ASMEND
	;;#ASMSTART
	v_dot2_f32_f16 v1, v129, v125, v1
	;;#ASMEND
	;;#ASMSTART
	v_dot2_f32_f16 v1, v130, v126, v1
	;;#ASMEND
	;;#ASMSTART
	v_dot2_f32_f16 v1, v131, v127, v1
	;;#ASMEND
	;; [unrolled: 13-line block ×16, first 2 shown]
	;;#ASMSTART
	v_dot2_f32_f16 v16, v64, v132, v16
	;;#ASMEND
	;;#ASMSTART
	v_dot2_f32_f16 v16, v65, v133, v16
	;;#ASMEND
	;; [unrolled: 3-line block ×64, first 2 shown]
	ds_load_b128 v[128:131], v137 offset:48
	ds_load_b128 v[64:67], v137 offset:4656
	;; [unrolled: 1-line block ×18, first 2 shown]
	s_wait_dscnt 0xf
	;;#ASMSTART
	v_dot2_f32_f16 v0, v128, v132, v0
	;;#ASMEND
	;;#ASMSTART
	v_dot2_f32_f16 v0, v129, v133, v0
	;;#ASMEND
	;;#ASMSTART
	v_dot2_f32_f16 v0, v130, v134, v0
	;;#ASMEND
	;;#ASMSTART
	v_dot2_f32_f16 v0, v131, v135, v0
	;;#ASMEND
	s_wait_dscnt 0xe
	;;#ASMSTART
	v_dot2_f32_f16 v1, v128, v124, v1
	;;#ASMEND
	;;#ASMSTART
	v_dot2_f32_f16 v1, v129, v125, v1
	;;#ASMEND
	;;#ASMSTART
	v_dot2_f32_f16 v1, v130, v126, v1
	;;#ASMEND
	;;#ASMSTART
	v_dot2_f32_f16 v1, v131, v127, v1
	;;#ASMEND
	;; [unrolled: 13-line block ×16, first 2 shown]
	;;#ASMSTART
	v_dot2_f32_f16 v16, v64, v132, v16
	;;#ASMEND
	;;#ASMSTART
	v_dot2_f32_f16 v16, v65, v133, v16
	;;#ASMEND
	;; [unrolled: 3-line block ×64, first 2 shown]
	ds_load_b128 v[128:131], v137 offset:64
	ds_load_b128 v[64:67], v137 offset:4672
	;; [unrolled: 1-line block ×18, first 2 shown]
	s_wait_dscnt 0xf
	;;#ASMSTART
	v_dot2_f32_f16 v0, v128, v132, v0
	;;#ASMEND
	;;#ASMSTART
	v_dot2_f32_f16 v0, v129, v133, v0
	;;#ASMEND
	;;#ASMSTART
	v_dot2_f32_f16 v0, v130, v134, v0
	;;#ASMEND
	;;#ASMSTART
	v_dot2_f32_f16 v0, v131, v135, v0
	;;#ASMEND
	s_wait_dscnt 0xe
	;;#ASMSTART
	v_dot2_f32_f16 v1, v128, v124, v1
	;;#ASMEND
	;;#ASMSTART
	v_dot2_f32_f16 v1, v129, v125, v1
	;;#ASMEND
	;;#ASMSTART
	v_dot2_f32_f16 v1, v130, v126, v1
	;;#ASMEND
	;;#ASMSTART
	v_dot2_f32_f16 v1, v131, v127, v1
	;;#ASMEND
	s_wait_dscnt 0xd
	;;#ASMSTART
	v_dot2_f32_f16 v2, v128, v120, v2
	;;#ASMEND
	;;#ASMSTART
	v_dot2_f32_f16 v2, v129, v121, v2
	;;#ASMEND
	;;#ASMSTART
	v_dot2_f32_f16 v2, v130, v122, v2
	;;#ASMEND
	;;#ASMSTART
	v_dot2_f32_f16 v2, v131, v123, v2
	;;#ASMEND
	s_wait_dscnt 0xc
	;;#ASMSTART
	v_dot2_f32_f16 v3, v128, v116, v3
	;;#ASMEND
	;;#ASMSTART
	v_dot2_f32_f16 v3, v129, v117, v3
	;;#ASMEND
	;;#ASMSTART
	v_dot2_f32_f16 v3, v130, v118, v3
	;;#ASMEND
	;;#ASMSTART
	v_dot2_f32_f16 v3, v131, v119, v3
	;;#ASMEND
	s_wait_dscnt 0xb
	;;#ASMSTART
	v_dot2_f32_f16 v4, v128, v112, v4
	;;#ASMEND
	;;#ASMSTART
	v_dot2_f32_f16 v4, v129, v113, v4
	;;#ASMEND
	;;#ASMSTART
	v_dot2_f32_f16 v4, v130, v114, v4
	;;#ASMEND
	;;#ASMSTART
	v_dot2_f32_f16 v4, v131, v115, v4
	;;#ASMEND
	s_wait_dscnt 0xa
	;;#ASMSTART
	v_dot2_f32_f16 v5, v128, v108, v5
	;;#ASMEND
	;;#ASMSTART
	v_dot2_f32_f16 v5, v129, v109, v5
	;;#ASMEND
	;;#ASMSTART
	v_dot2_f32_f16 v5, v130, v110, v5
	;;#ASMEND
	;;#ASMSTART
	v_dot2_f32_f16 v5, v131, v111, v5
	;;#ASMEND
	s_wait_dscnt 0x9
	;;#ASMSTART
	v_dot2_f32_f16 v6, v128, v104, v6
	;;#ASMEND
	;;#ASMSTART
	v_dot2_f32_f16 v6, v129, v105, v6
	;;#ASMEND
	;;#ASMSTART
	v_dot2_f32_f16 v6, v130, v106, v6
	;;#ASMEND
	;;#ASMSTART
	v_dot2_f32_f16 v6, v131, v107, v6
	;;#ASMEND
	s_wait_dscnt 0x8
	;;#ASMSTART
	v_dot2_f32_f16 v7, v128, v100, v7
	;;#ASMEND
	;;#ASMSTART
	v_dot2_f32_f16 v7, v129, v101, v7
	;;#ASMEND
	;;#ASMSTART
	v_dot2_f32_f16 v7, v130, v102, v7
	;;#ASMEND
	;;#ASMSTART
	v_dot2_f32_f16 v7, v131, v103, v7
	;;#ASMEND
	s_wait_dscnt 0x7
	;;#ASMSTART
	v_dot2_f32_f16 v8, v128, v96, v8
	;;#ASMEND
	;;#ASMSTART
	v_dot2_f32_f16 v8, v129, v97, v8
	;;#ASMEND
	;;#ASMSTART
	v_dot2_f32_f16 v8, v130, v98, v8
	;;#ASMEND
	;;#ASMSTART
	v_dot2_f32_f16 v8, v131, v99, v8
	;;#ASMEND
	s_wait_dscnt 0x6
	;;#ASMSTART
	v_dot2_f32_f16 v9, v128, v92, v9
	;;#ASMEND
	;;#ASMSTART
	v_dot2_f32_f16 v9, v129, v93, v9
	;;#ASMEND
	;;#ASMSTART
	v_dot2_f32_f16 v9, v130, v94, v9
	;;#ASMEND
	;;#ASMSTART
	v_dot2_f32_f16 v9, v131, v95, v9
	;;#ASMEND
	s_wait_dscnt 0x5
	;;#ASMSTART
	v_dot2_f32_f16 v10, v128, v88, v10
	;;#ASMEND
	;;#ASMSTART
	v_dot2_f32_f16 v10, v129, v89, v10
	;;#ASMEND
	;;#ASMSTART
	v_dot2_f32_f16 v10, v130, v90, v10
	;;#ASMEND
	;;#ASMSTART
	v_dot2_f32_f16 v10, v131, v91, v10
	;;#ASMEND
	s_wait_dscnt 0x4
	;;#ASMSTART
	v_dot2_f32_f16 v11, v128, v84, v11
	;;#ASMEND
	;;#ASMSTART
	v_dot2_f32_f16 v11, v129, v85, v11
	;;#ASMEND
	;;#ASMSTART
	v_dot2_f32_f16 v11, v130, v86, v11
	;;#ASMEND
	;;#ASMSTART
	v_dot2_f32_f16 v11, v131, v87, v11
	;;#ASMEND
	s_wait_dscnt 0x3
	;;#ASMSTART
	v_dot2_f32_f16 v12, v128, v80, v12
	;;#ASMEND
	;;#ASMSTART
	v_dot2_f32_f16 v12, v129, v81, v12
	;;#ASMEND
	;;#ASMSTART
	v_dot2_f32_f16 v12, v130, v82, v12
	;;#ASMEND
	;;#ASMSTART
	v_dot2_f32_f16 v12, v131, v83, v12
	;;#ASMEND
	s_wait_dscnt 0x2
	;;#ASMSTART
	v_dot2_f32_f16 v13, v128, v76, v13
	;;#ASMEND
	;;#ASMSTART
	v_dot2_f32_f16 v13, v129, v77, v13
	;;#ASMEND
	;;#ASMSTART
	v_dot2_f32_f16 v13, v130, v78, v13
	;;#ASMEND
	;;#ASMSTART
	v_dot2_f32_f16 v13, v131, v79, v13
	;;#ASMEND
	s_wait_dscnt 0x1
	;;#ASMSTART
	v_dot2_f32_f16 v14, v128, v72, v14
	;;#ASMEND
	;;#ASMSTART
	v_dot2_f32_f16 v14, v129, v73, v14
	;;#ASMEND
	;;#ASMSTART
	v_dot2_f32_f16 v14, v130, v74, v14
	;;#ASMEND
	;;#ASMSTART
	v_dot2_f32_f16 v14, v131, v75, v14
	;;#ASMEND
	s_wait_dscnt 0x0
	;;#ASMSTART
	v_dot2_f32_f16 v15, v128, v68, v15
	;;#ASMEND
	;;#ASMSTART
	v_dot2_f32_f16 v15, v129, v69, v15
	;;#ASMEND
	;;#ASMSTART
	v_dot2_f32_f16 v15, v130, v70, v15
	;;#ASMEND
	;;#ASMSTART
	v_dot2_f32_f16 v15, v131, v71, v15
	;;#ASMEND
	;;#ASMSTART
	v_dot2_f32_f16 v16, v64, v132, v16
	;;#ASMEND
	;;#ASMSTART
	v_dot2_f32_f16 v16, v65, v133, v16
	;;#ASMEND
	;; [unrolled: 3-line block ×64, first 2 shown]
	ds_load_b128 v[128:131], v137 offset:80
	ds_load_b128 v[64:67], v137 offset:4688
	;; [unrolled: 1-line block ×18, first 2 shown]
	s_wait_dscnt 0xf
	;;#ASMSTART
	v_dot2_f32_f16 v0, v128, v132, v0
	;;#ASMEND
	;;#ASMSTART
	v_dot2_f32_f16 v0, v129, v133, v0
	;;#ASMEND
	;;#ASMSTART
	v_dot2_f32_f16 v0, v130, v134, v0
	;;#ASMEND
	;;#ASMSTART
	v_dot2_f32_f16 v0, v131, v135, v0
	;;#ASMEND
	s_wait_dscnt 0xe
	;;#ASMSTART
	v_dot2_f32_f16 v1, v128, v124, v1
	;;#ASMEND
	;;#ASMSTART
	v_dot2_f32_f16 v1, v129, v125, v1
	;;#ASMEND
	;;#ASMSTART
	v_dot2_f32_f16 v1, v130, v126, v1
	;;#ASMEND
	;;#ASMSTART
	v_dot2_f32_f16 v1, v131, v127, v1
	;;#ASMEND
	;; [unrolled: 13-line block ×16, first 2 shown]
	;;#ASMSTART
	v_dot2_f32_f16 v16, v64, v132, v16
	;;#ASMEND
	;;#ASMSTART
	v_dot2_f32_f16 v16, v65, v133, v16
	;;#ASMEND
	;; [unrolled: 3-line block ×64, first 2 shown]
	ds_load_b128 v[128:131], v137 offset:96
	ds_load_b128 v[64:67], v137 offset:4704
	;; [unrolled: 1-line block ×18, first 2 shown]
	s_wait_dscnt 0xf
	;;#ASMSTART
	v_dot2_f32_f16 v0, v128, v132, v0
	;;#ASMEND
	;;#ASMSTART
	v_dot2_f32_f16 v0, v129, v133, v0
	;;#ASMEND
	;;#ASMSTART
	v_dot2_f32_f16 v0, v130, v134, v0
	;;#ASMEND
	;;#ASMSTART
	v_dot2_f32_f16 v0, v131, v135, v0
	;;#ASMEND
	s_wait_dscnt 0xe
	;;#ASMSTART
	v_dot2_f32_f16 v1, v128, v124, v1
	;;#ASMEND
	;;#ASMSTART
	v_dot2_f32_f16 v1, v129, v125, v1
	;;#ASMEND
	;;#ASMSTART
	v_dot2_f32_f16 v1, v130, v126, v1
	;;#ASMEND
	;;#ASMSTART
	v_dot2_f32_f16 v1, v131, v127, v1
	;;#ASMEND
	;; [unrolled: 13-line block ×16, first 2 shown]
	;;#ASMSTART
	v_dot2_f32_f16 v16, v64, v132, v16
	;;#ASMEND
	;;#ASMSTART
	v_dot2_f32_f16 v16, v65, v133, v16
	;;#ASMEND
	;;#ASMSTART
	v_dot2_f32_f16 v16, v66, v134, v16
	;;#ASMEND
	;;#ASMSTART
	v_dot2_f32_f16 v16, v67, v135, v16
	;;#ASMEND
	;;#ASMSTART
	v_dot2_f32_f16 v17, v64, v124, v17
	;;#ASMEND
	;;#ASMSTART
	v_dot2_f32_f16 v17, v65, v125, v17
	;;#ASMEND
	;;#ASMSTART
	v_dot2_f32_f16 v17, v66, v126, v17
	;;#ASMEND
	;;#ASMSTART
	v_dot2_f32_f16 v17, v67, v127, v17
	;;#ASMEND
	;;#ASMSTART
	v_dot2_f32_f16 v18, v64, v120, v18
	;;#ASMEND
	;;#ASMSTART
	v_dot2_f32_f16 v18, v65, v121, v18
	;;#ASMEND
	;;#ASMSTART
	v_dot2_f32_f16 v18, v66, v122, v18
	;;#ASMEND
	;;#ASMSTART
	v_dot2_f32_f16 v18, v67, v123, v18
	;;#ASMEND
	;;#ASMSTART
	v_dot2_f32_f16 v19, v64, v116, v19
	;;#ASMEND
	;;#ASMSTART
	v_dot2_f32_f16 v19, v65, v117, v19
	;;#ASMEND
	;;#ASMSTART
	v_dot2_f32_f16 v19, v66, v118, v19
	;;#ASMEND
	;;#ASMSTART
	v_dot2_f32_f16 v19, v67, v119, v19
	;;#ASMEND
	;;#ASMSTART
	v_dot2_f32_f16 v20, v64, v112, v20
	;;#ASMEND
	;;#ASMSTART
	v_dot2_f32_f16 v20, v65, v113, v20
	;;#ASMEND
	;;#ASMSTART
	v_dot2_f32_f16 v20, v66, v114, v20
	;;#ASMEND
	;;#ASMSTART
	v_dot2_f32_f16 v20, v67, v115, v20
	;;#ASMEND
	;;#ASMSTART
	v_dot2_f32_f16 v21, v64, v108, v21
	;;#ASMEND
	;;#ASMSTART
	v_dot2_f32_f16 v21, v65, v109, v21
	;;#ASMEND
	;;#ASMSTART
	v_dot2_f32_f16 v21, v66, v110, v21
	;;#ASMEND
	;;#ASMSTART
	v_dot2_f32_f16 v21, v67, v111, v21
	;;#ASMEND
	;;#ASMSTART
	v_dot2_f32_f16 v22, v64, v104, v22
	;;#ASMEND
	;;#ASMSTART
	v_dot2_f32_f16 v22, v65, v105, v22
	;;#ASMEND
	;;#ASMSTART
	v_dot2_f32_f16 v22, v66, v106, v22
	;;#ASMEND
	;;#ASMSTART
	v_dot2_f32_f16 v22, v67, v107, v22
	;;#ASMEND
	;;#ASMSTART
	v_dot2_f32_f16 v23, v64, v100, v23
	;;#ASMEND
	;;#ASMSTART
	v_dot2_f32_f16 v23, v65, v101, v23
	;;#ASMEND
	;;#ASMSTART
	v_dot2_f32_f16 v23, v66, v102, v23
	;;#ASMEND
	;;#ASMSTART
	v_dot2_f32_f16 v23, v67, v103, v23
	;;#ASMEND
	;;#ASMSTART
	v_dot2_f32_f16 v24, v64, v96, v24
	;;#ASMEND
	;;#ASMSTART
	v_dot2_f32_f16 v24, v65, v97, v24
	;;#ASMEND
	;;#ASMSTART
	v_dot2_f32_f16 v24, v66, v98, v24
	;;#ASMEND
	;;#ASMSTART
	v_dot2_f32_f16 v24, v67, v99, v24
	;;#ASMEND
	;;#ASMSTART
	v_dot2_f32_f16 v25, v64, v92, v25
	;;#ASMEND
	;;#ASMSTART
	v_dot2_f32_f16 v25, v65, v93, v25
	;;#ASMEND
	;;#ASMSTART
	v_dot2_f32_f16 v25, v66, v94, v25
	;;#ASMEND
	;;#ASMSTART
	v_dot2_f32_f16 v25, v67, v95, v25
	;;#ASMEND
	;;#ASMSTART
	v_dot2_f32_f16 v26, v64, v88, v26
	;;#ASMEND
	;;#ASMSTART
	v_dot2_f32_f16 v26, v65, v89, v26
	;;#ASMEND
	;;#ASMSTART
	v_dot2_f32_f16 v26, v66, v90, v26
	;;#ASMEND
	;;#ASMSTART
	v_dot2_f32_f16 v26, v67, v91, v26
	;;#ASMEND
	;;#ASMSTART
	v_dot2_f32_f16 v27, v64, v84, v27
	;;#ASMEND
	;;#ASMSTART
	v_dot2_f32_f16 v27, v65, v85, v27
	;;#ASMEND
	;;#ASMSTART
	v_dot2_f32_f16 v27, v66, v86, v27
	;;#ASMEND
	;;#ASMSTART
	v_dot2_f32_f16 v27, v67, v87, v27
	;;#ASMEND
	;;#ASMSTART
	v_dot2_f32_f16 v28, v64, v80, v28
	;;#ASMEND
	;;#ASMSTART
	v_dot2_f32_f16 v28, v65, v81, v28
	;;#ASMEND
	;;#ASMSTART
	v_dot2_f32_f16 v28, v66, v82, v28
	;;#ASMEND
	;;#ASMSTART
	v_dot2_f32_f16 v28, v67, v83, v28
	;;#ASMEND
	;;#ASMSTART
	v_dot2_f32_f16 v29, v64, v76, v29
	;;#ASMEND
	;;#ASMSTART
	v_dot2_f32_f16 v29, v65, v77, v29
	;;#ASMEND
	;;#ASMSTART
	v_dot2_f32_f16 v29, v66, v78, v29
	;;#ASMEND
	;;#ASMSTART
	v_dot2_f32_f16 v29, v67, v79, v29
	;;#ASMEND
	;;#ASMSTART
	v_dot2_f32_f16 v30, v64, v72, v30
	;;#ASMEND
	;;#ASMSTART
	v_dot2_f32_f16 v30, v65, v73, v30
	;;#ASMEND
	;;#ASMSTART
	v_dot2_f32_f16 v30, v66, v74, v30
	;;#ASMEND
	;;#ASMSTART
	v_dot2_f32_f16 v30, v67, v75, v30
	;;#ASMEND
	;;#ASMSTART
	v_dot2_f32_f16 v31, v64, v68, v31
	;;#ASMEND
	;;#ASMSTART
	v_dot2_f32_f16 v31, v65, v69, v31
	;;#ASMEND
	;;#ASMSTART
	v_dot2_f32_f16 v31, v66, v70, v31
	;;#ASMEND
	;;#ASMSTART
	v_dot2_f32_f16 v31, v67, v71, v31
	;;#ASMEND
	ds_load_b128 v[132:135], v137 offset:112
	ds_load_b128 v[64:67], v137 offset:4720
	;; [unrolled: 1-line block ×18, first 2 shown]
	s_wait_dscnt 0xf
	;;#ASMSTART
	v_dot2_f32_f16 v0, v132, v128, v0
	;;#ASMEND
	;;#ASMSTART
	v_dot2_f32_f16 v0, v133, v129, v0
	;;#ASMEND
	;;#ASMSTART
	v_dot2_f32_f16 v0, v134, v130, v0
	;;#ASMEND
	;;#ASMSTART
	v_dot2_f32_f16 v0, v135, v131, v0
	;;#ASMEND
	s_wait_dscnt 0xe
	;;#ASMSTART
	v_dot2_f32_f16 v1, v132, v124, v1
	;;#ASMEND
	;;#ASMSTART
	v_dot2_f32_f16 v1, v133, v125, v1
	;;#ASMEND
	;;#ASMSTART
	v_dot2_f32_f16 v1, v134, v126, v1
	;;#ASMEND
	;;#ASMSTART
	v_dot2_f32_f16 v1, v135, v127, v1
	;;#ASMEND
	;; [unrolled: 13-line block ×16, first 2 shown]
	;;#ASMSTART
	v_dot2_f32_f16 v16, v64, v128, v16
	;;#ASMEND
	;;#ASMSTART
	v_dot2_f32_f16 v16, v65, v129, v16
	;;#ASMEND
	;; [unrolled: 3-line block ×61, first 2 shown]
	v_mad_u32 v64, v158, s30, s24
	;;#ASMSTART
	v_dot2_f32_f16 v31, v65, v69, v31
	;;#ASMEND
	;;#ASMSTART
	v_dot2_f32_f16 v31, v66, v70, v31
	;;#ASMEND
	v_mov_b32_e32 v112, v156
	;;#ASMSTART
	v_dot2_f32_f16 v31, v67, v71, v31
	;;#ASMEND
	v_cndmask_b32_e64 v66, 0, 1, s7
	v_mov_b32_e32 v67, v48
	s_and_saveexec_b32 s8, s6
	s_cbranch_execz .LBB52_84
; %bb.81:
	s_and_not1_b32 vcc_lo, exec_lo, s7
	s_cbranch_vccnz .LBB52_83
; %bb.82:
	v_add_nc_u32_e32 v65, v64, v136
	global_load_u16 v65, v65, s[36:37] scale_offset
	s_wait_loadcnt 0x0
	v_cvt_f32_f16_e32 v65, v65
	s_delay_alu instid0(VALU_DEP_1)
	v_mul_f32_e32 v171, v173, v65
.LBB52_83:
	v_max_num_f32_e32 v67, v48, v48
	s_delay_alu instid0(VALU_DEP_2) | instskip(NEXT) | instid1(VALU_DEP_1)
	v_add_f32_e32 v0, v0, v171
	v_add_f32_e32 v65, 0x40051340, v0
	s_delay_alu instid0(VALU_DEP_1)
	v_max_num_f32_e32 v67, v67, v65
.LBB52_84:
	s_or_b32 exec_lo, exec_lo, s8
	v_add_nc_u32_e32 v86, 32, v136
	s_delay_alu instid0(VALU_DEP_1)
	v_cmp_gt_i32_e64 s7, s15, v86
	s_mov_b32 s8, exec_lo
	scratch_load_b64 v[156:157], off, off offset:52 ; 8-byte Folded Reload
	v_dual_mov_b32 v110, v159 :: v_dual_mov_b32 v76, v174
	v_dual_mov_b32 v131, v143 :: v_dual_mov_b32 v132, v145
	;; [unrolled: 1-line block ×3, first 2 shown]
	v_mov_b32_e32 v135, v151
	s_and_b32 s9, s8, s7
	s_wait_xcnt 0x0
	s_mov_b32 exec_lo, s9
	s_cbranch_execz .LBB52_89
; %bb.85:
	v_cmp_ne_u32_e32 vcc_lo, 1, v66
	s_cbranch_vccnz .LBB52_87
; %bb.86:
	v_dual_ashrrev_i32 v65, 31, v64 :: v_dual_mov_b32 v137, 0
	s_delay_alu instid0(VALU_DEP_1) | instskip(NEXT) | instid1(VALU_DEP_1)
	v_add_nc_u64_e32 v[64:65], v[64:65], v[136:137]
	v_lshl_add_u64 v[64:65], v[64:65], 1, s[36:37]
	global_load_u16 v64, v[64:65], off offset:64
	s_wait_loadcnt 0x0
	v_cvt_f32_f16_e32 v64, v64
	s_delay_alu instid0(VALU_DEP_1)
	v_mul_f32_e32 v64, v173, v64
	s_branch .LBB52_88
.LBB52_87:
	v_mov_b32_e32 v64, 0
.LBB52_88:
	s_delay_alu instid0(VALU_DEP_1) | instskip(NEXT) | instid1(VALU_DEP_1)
	v_dual_add_f32 v16, v16, v64 :: v_dual_max_num_f32 v65, v67, v67
	v_add_f32_e32 v64, 0x40051340, v16
	s_delay_alu instid0(VALU_DEP_1)
	v_max_num_f32_e32 v67, v65, v64
.LBB52_89:
	s_or_b32 exec_lo, exec_lo, s8
	v_dual_mov_b32 v113, 0 :: v_dual_bitop2_b32 v85, 16, v110 bitop3:0x14
	v_xor_b32_e32 v82, 2, v110
	v_xor_b32_e32 v84, 8, v110
	;; [unrolled: 1-line block ×3, first 2 shown]
	s_delay_alu instid0(VALU_DEP_4) | instskip(SKIP_3) | instid1(VALU_DEP_2)
	v_cmp_gt_i32_e32 vcc_lo, 32, v85
	v_dual_mov_b32 v81, 32 :: v_dual_bitop2_b32 v80, 1, v110 bitop3:0x14
	v_cndmask_b32_e32 v64, v110, v85, vcc_lo
	v_cmp_gt_i32_e32 vcc_lo, 32, v84
	v_lshlrev_b32_e32 v79, 2, v64
	v_cndmask_b32_e32 v65, v110, v84, vcc_lo
	v_cmp_gt_i32_e32 vcc_lo, 32, v83
	ds_bpermute_b32 v64, v79, v67
	v_dual_max_num_f32 v67, v67, v67 :: v_dual_lshlrev_b32 v87, 2, v65
	s_wait_dscnt 0x0
	v_max_num_f32_e32 v64, v64, v64
	s_delay_alu instid0(VALU_DEP_1) | instskip(SKIP_4) | instid1(VALU_DEP_2)
	v_max_num_f32_e32 v64, v67, v64
	ds_bpermute_b32 v65, v87, v64
	v_cndmask_b32_e32 v67, v110, v83, vcc_lo
	v_cmp_gt_i32_e32 vcc_lo, 32, v82
	s_wait_dscnt 0x0
	v_dual_max_num_f32 v65, v65, v65 :: v_dual_lshlrev_b32 v88, 2, v67
	s_delay_alu instid0(VALU_DEP_1)
	v_max_num_f32_e32 v67, v64, v65
	v_mul_u64_e32 v[64:65], s[28:29], v[112:113]
	ds_bpermute_b32 v68, v88, v67
	v_cndmask_b32_e32 v64, v110, v82, vcc_lo
	v_cmp_gt_i32_e32 vcc_lo, 32, v80
	s_wait_dscnt 0x0
	v_max_num_f32_e32 v68, v68, v68
	s_delay_alu instid0(VALU_DEP_3) | instskip(NEXT) | instid1(VALU_DEP_2)
	v_lshlrev_b32_e32 v89, 2, v64
	v_max_num_f32_e32 v64, v67, v68
	v_dual_cndmask_b32 v68, v110, v80 :: v_dual_add_nc_u32 v65, v112, v65
	ds_bpermute_b32 v67, v89, v64
	v_dual_lshlrev_b32 v90, 2, v68 :: v_dual_lshrrev_b32 v65, s21, v65
	s_delay_alu instid0(VALU_DEP_1) | instskip(SKIP_2) | instid1(VALU_DEP_1)
	v_mul_lo_u32 v65, v65, s22
	s_wait_dscnt 0x0
	v_max_num_f32_e32 v67, v67, v67
	v_max_num_f32_e32 v91, v64, v67
	s_delay_alu instid0(VALU_DEP_3)
	v_dual_mov_b32 v67, v49 :: v_dual_sub_nc_u32 v64, v112, v65
	ds_bpermute_b32 v92, v90, v91
	v_mad_u32 v64, v64, s30, s24
	s_and_saveexec_b32 s8, s6
	s_cbranch_execz .LBB52_93
; %bb.90:
	v_cmp_ne_u32_e32 vcc_lo, 1, v66
	s_cbranch_vccnz .LBB52_92
; %bb.91:
	s_delay_alu instid0(VALU_DEP_2) | instskip(SKIP_3) | instid1(VALU_DEP_1)
	v_add_nc_u32_e32 v65, v64, v136
	global_load_u16 v65, v65, s[36:37] scale_offset
	s_wait_loadcnt 0x0
	v_cvt_f32_f16_e32 v65, v65
	v_mul_f32_e32 v113, v173, v65
.LBB52_92:
	s_delay_alu instid0(VALU_DEP_1) | instskip(SKIP_1) | instid1(VALU_DEP_2)
	v_add_f32_e32 v1, v1, v113
	v_max_num_f32_e32 v67, v49, v49
	v_add_f32_e32 v65, 0x40051340, v1
	s_delay_alu instid0(VALU_DEP_1)
	v_max_num_f32_e32 v67, v67, v65
.LBB52_93:
	s_or_b32 exec_lo, exec_lo, s8
	s_and_saveexec_b32 s8, s7
	s_cbranch_execz .LBB52_98
; %bb.94:
	v_cmp_ne_u32_e32 vcc_lo, 1, v66
	s_cbranch_vccnz .LBB52_96
; %bb.95:
	s_delay_alu instid0(VALU_DEP_2) | instskip(NEXT) | instid1(VALU_DEP_1)
	v_dual_ashrrev_i32 v65, 31, v64 :: v_dual_mov_b32 v137, 0
	v_add_nc_u64_e32 v[64:65], v[64:65], v[136:137]
	s_delay_alu instid0(VALU_DEP_1) | instskip(SKIP_3) | instid1(VALU_DEP_1)
	v_lshl_add_u64 v[64:65], v[64:65], 1, s[36:37]
	global_load_u16 v64, v[64:65], off offset:64
	s_wait_loadcnt 0x0
	v_cvt_f32_f16_e32 v64, v64
	v_mul_f32_e32 v64, v173, v64
	s_branch .LBB52_97
.LBB52_96:
	v_mov_b32_e32 v64, 0
.LBB52_97:
	s_delay_alu instid0(VALU_DEP_1) | instskip(NEXT) | instid1(VALU_DEP_1)
	v_dual_add_f32 v17, v17, v64 :: v_dual_max_num_f32 v65, v67, v67
	v_add_f32_e32 v64, 0x40051340, v17
	s_delay_alu instid0(VALU_DEP_1)
	v_max_num_f32_e32 v67, v65, v64
.LBB52_98:
	s_or_b32 exec_lo, exec_lo, s8
	ds_bpermute_b32 v64, v79, v67
	s_wait_loadcnt 0x0
	v_dual_max_num_f32 v65, v67, v67 :: v_dual_mov_b32 v157, 0
	s_wait_dscnt 0x0
	v_max_num_f32_e32 v64, v64, v64
	s_delay_alu instid0(VALU_DEP_1) | instskip(SKIP_3) | instid1(VALU_DEP_1)
	v_max_num_f32_e32 v64, v65, v64
	ds_bpermute_b32 v65, v87, v64
	s_wait_dscnt 0x0
	v_max_num_f32_e32 v65, v65, v65
	v_max_num_f32_e32 v67, v64, v65
	v_mul_u64_e32 v[64:65], s[28:29], v[156:157]
	ds_bpermute_b32 v68, v88, v67
	v_add_nc_u32_e32 v65, v156, v65
	s_wait_dscnt 0x0
	s_delay_alu instid0(VALU_DEP_1) | instskip(NEXT) | instid1(VALU_DEP_1)
	v_dual_max_num_f32 v64, v68, v68 :: v_dual_lshrrev_b32 v65, s21, v65
	v_max_num_f32_e32 v64, v67, v64
	s_delay_alu instid0(VALU_DEP_2) | instskip(SKIP_3) | instid1(VALU_DEP_1)
	v_mul_lo_u32 v65, v65, s22
	ds_bpermute_b32 v67, v89, v64
	s_wait_dscnt 0x0
	v_max_num_f32_e32 v67, v67, v67
	v_max_num_f32_e32 v93, v64, v67
	v_dual_mov_b32 v67, v50 :: v_dual_sub_nc_u32 v64, v156, v65
	ds_bpermute_b32 v94, v90, v93
	v_mad_u32 v64, v64, s30, s24
	s_and_saveexec_b32 s8, s6
	s_cbranch_execz .LBB52_102
; %bb.99:
	v_cmp_ne_u32_e32 vcc_lo, 1, v66
	s_cbranch_vccnz .LBB52_101
; %bb.100:
	s_delay_alu instid0(VALU_DEP_2) | instskip(SKIP_3) | instid1(VALU_DEP_1)
	v_add_nc_u32_e32 v65, v64, v136
	global_load_u16 v65, v65, s[36:37] scale_offset
	s_wait_loadcnt 0x0
	v_cvt_f32_f16_e32 v65, v65
	v_mul_f32_e32 v157, v173, v65
.LBB52_101:
	s_delay_alu instid0(VALU_DEP_1) | instskip(SKIP_1) | instid1(VALU_DEP_2)
	v_add_f32_e32 v2, v2, v157
	v_max_num_f32_e32 v67, v50, v50
	v_add_f32_e32 v65, 0x40051340, v2
	s_delay_alu instid0(VALU_DEP_1)
	v_max_num_f32_e32 v67, v67, v65
.LBB52_102:
	s_or_b32 exec_lo, exec_lo, s8
	s_and_saveexec_b32 s8, s7
	s_cbranch_execz .LBB52_107
; %bb.103:
	v_cmp_ne_u32_e32 vcc_lo, 1, v66
	s_cbranch_vccnz .LBB52_105
; %bb.104:
	s_delay_alu instid0(VALU_DEP_2) | instskip(NEXT) | instid1(VALU_DEP_1)
	v_dual_ashrrev_i32 v65, 31, v64 :: v_dual_mov_b32 v137, 0
	v_add_nc_u64_e32 v[64:65], v[64:65], v[136:137]
	s_delay_alu instid0(VALU_DEP_1) | instskip(SKIP_3) | instid1(VALU_DEP_1)
	v_lshl_add_u64 v[64:65], v[64:65], 1, s[36:37]
	global_load_u16 v64, v[64:65], off offset:64
	s_wait_loadcnt 0x0
	v_cvt_f32_f16_e32 v64, v64
	v_mul_f32_e32 v64, v173, v64
	s_branch .LBB52_106
.LBB52_105:
	v_mov_b32_e32 v64, 0
.LBB52_106:
	s_delay_alu instid0(VALU_DEP_1) | instskip(NEXT) | instid1(VALU_DEP_1)
	v_dual_add_f32 v18, v18, v64 :: v_dual_max_num_f32 v65, v67, v67
	v_add_f32_e32 v64, 0x40051340, v18
	s_delay_alu instid0(VALU_DEP_1)
	v_max_num_f32_e32 v67, v65, v64
.LBB52_107:
	s_or_b32 exec_lo, exec_lo, s8
	ds_bpermute_b32 v64, v79, v67
	v_dual_max_num_f32 v65, v67, v67 :: v_dual_mov_b32 v155, 0
	s_wait_dscnt 0x0
	v_max_num_f32_e32 v64, v64, v64
	s_delay_alu instid0(VALU_DEP_1) | instskip(SKIP_3) | instid1(VALU_DEP_1)
	v_max_num_f32_e32 v64, v65, v64
	ds_bpermute_b32 v65, v87, v64
	s_wait_dscnt 0x0
	v_max_num_f32_e32 v65, v65, v65
	v_max_num_f32_e32 v67, v64, v65
	v_mul_u64_e32 v[64:65], s[28:29], v[154:155]
	ds_bpermute_b32 v68, v88, v67
	s_wait_dscnt 0x0
	v_dual_max_num_f32 v64, v68, v68 :: v_dual_add_nc_u32 v65, v154, v65
	s_delay_alu instid0(VALU_DEP_1) | instskip(SKIP_4) | instid1(VALU_DEP_1)
	v_dual_max_num_f32 v64, v67, v64 :: v_dual_lshrrev_b32 v65, s21, v65
	ds_bpermute_b32 v67, v89, v64
	v_mul_lo_u32 v65, v65, s22
	s_wait_dscnt 0x0
	v_max_num_f32_e32 v67, v67, v67
	v_dual_max_num_f32 v95, v64, v67 :: v_dual_mov_b32 v67, v51
	s_delay_alu instid0(VALU_DEP_3)
	v_sub_nc_u32_e32 v64, v154, v65
	ds_bpermute_b32 v96, v90, v95
	v_mad_u32 v64, v64, s30, s24
	s_and_saveexec_b32 s8, s6
	s_cbranch_execz .LBB52_111
; %bb.108:
	v_cmp_ne_u32_e32 vcc_lo, 1, v66
	s_cbranch_vccnz .LBB52_110
; %bb.109:
	s_delay_alu instid0(VALU_DEP_2) | instskip(SKIP_3) | instid1(VALU_DEP_1)
	v_add_nc_u32_e32 v65, v64, v136
	global_load_u16 v65, v65, s[36:37] scale_offset
	s_wait_loadcnt 0x0
	v_cvt_f32_f16_e32 v65, v65
	v_mul_f32_e32 v155, v173, v65
.LBB52_110:
	s_delay_alu instid0(VALU_DEP_1) | instskip(SKIP_1) | instid1(VALU_DEP_2)
	v_add_f32_e32 v3, v3, v155
	v_max_num_f32_e32 v67, v51, v51
	v_add_f32_e32 v65, 0x40051340, v3
	s_delay_alu instid0(VALU_DEP_1)
	v_max_num_f32_e32 v67, v67, v65
.LBB52_111:
	s_or_b32 exec_lo, exec_lo, s8
	s_and_saveexec_b32 s8, s7
	s_cbranch_execz .LBB52_116
; %bb.112:
	v_cmp_ne_u32_e32 vcc_lo, 1, v66
	s_cbranch_vccnz .LBB52_114
; %bb.113:
	s_delay_alu instid0(VALU_DEP_2) | instskip(NEXT) | instid1(VALU_DEP_1)
	v_dual_ashrrev_i32 v65, 31, v64 :: v_dual_mov_b32 v137, 0
	v_add_nc_u64_e32 v[64:65], v[64:65], v[136:137]
	s_delay_alu instid0(VALU_DEP_1) | instskip(SKIP_3) | instid1(VALU_DEP_1)
	v_lshl_add_u64 v[64:65], v[64:65], 1, s[36:37]
	global_load_u16 v64, v[64:65], off offset:64
	s_wait_loadcnt 0x0
	v_cvt_f32_f16_e32 v64, v64
	v_mul_f32_e32 v64, v173, v64
	s_branch .LBB52_115
.LBB52_114:
	v_mov_b32_e32 v64, 0
.LBB52_115:
	v_max_num_f32_e32 v65, v67, v67
	s_delay_alu instid0(VALU_DEP_2) | instskip(NEXT) | instid1(VALU_DEP_1)
	v_add_f32_e32 v19, v19, v64
	v_add_f32_e32 v64, 0x40051340, v19
	s_delay_alu instid0(VALU_DEP_1)
	v_max_num_f32_e32 v67, v65, v64
.LBB52_116:
	s_or_b32 exec_lo, exec_lo, s8
	ds_bpermute_b32 v64, v79, v67
	v_dual_max_num_f32 v65, v67, v67 :: v_dual_mov_b32 v151, 0
	s_wait_dscnt 0x0
	v_max_num_f32_e32 v64, v64, v64
	s_delay_alu instid0(VALU_DEP_1) | instskip(SKIP_3) | instid1(VALU_DEP_1)
	v_max_num_f32_e32 v64, v65, v64
	ds_bpermute_b32 v65, v87, v64
	s_wait_dscnt 0x0
	v_max_num_f32_e32 v65, v65, v65
	v_max_num_f32_e32 v67, v64, v65
	v_mul_u64_e32 v[64:65], s[28:29], v[150:151]
	ds_bpermute_b32 v68, v88, v67
	s_wait_dscnt 0x0
	v_max_num_f32_e32 v64, v68, v68
	v_dual_mov_b32 v68, v52 :: v_dual_add_nc_u32 v65, v150, v65
	s_delay_alu instid0(VALU_DEP_1) | instskip(SKIP_4) | instid1(VALU_DEP_1)
	v_dual_max_num_f32 v64, v67, v64 :: v_dual_lshrrev_b32 v65, s21, v65
	ds_bpermute_b32 v67, v89, v64
	v_mul_lo_u32 v65, v65, s22
	s_wait_dscnt 0x0
	v_max_num_f32_e32 v67, v67, v67
	v_dual_max_num_f32 v67, v64, v67 :: v_dual_sub_nc_u32 v64, v150, v65
	ds_bpermute_b32 v97, v90, v67
	v_mad_u32 v64, v64, s30, s24
	s_mov_b32 s8, exec_lo
	v_mov_b32_e32 v150, v161
	s_and_b32 s9, s8, s6
	s_delay_alu instid0(SALU_CYCLE_1)
	s_mov_b32 exec_lo, s9
	s_cbranch_execz .LBB52_120
; %bb.117:
	v_cmp_ne_u32_e32 vcc_lo, 1, v66
	s_cbranch_vccnz .LBB52_119
; %bb.118:
	s_delay_alu instid0(VALU_DEP_3) | instskip(SKIP_3) | instid1(VALU_DEP_1)
	v_add_nc_u32_e32 v65, v64, v136
	global_load_u16 v65, v65, s[36:37] scale_offset
	s_wait_loadcnt 0x0
	v_cvt_f32_f16_e32 v65, v65
	v_mul_f32_e32 v151, v173, v65
.LBB52_119:
	s_delay_alu instid0(VALU_DEP_1) | instskip(SKIP_1) | instid1(VALU_DEP_2)
	v_add_f32_e32 v4, v4, v151
	v_max_num_f32_e32 v68, v52, v52
	v_add_f32_e32 v65, 0x40051340, v4
	s_delay_alu instid0(VALU_DEP_1)
	v_max_num_f32_e32 v68, v68, v65
.LBB52_120:
	s_or_b32 exec_lo, exec_lo, s8
	s_and_saveexec_b32 s8, s7
	s_cbranch_execz .LBB52_125
; %bb.121:
	v_cmp_ne_u32_e32 vcc_lo, 1, v66
	s_cbranch_vccnz .LBB52_123
; %bb.122:
	v_dual_ashrrev_i32 v65, 31, v64 :: v_dual_mov_b32 v137, 0
	s_delay_alu instid0(VALU_DEP_1) | instskip(NEXT) | instid1(VALU_DEP_1)
	v_add_nc_u64_e32 v[64:65], v[64:65], v[136:137]
	v_lshl_add_u64 v[64:65], v[64:65], 1, s[36:37]
	global_load_u16 v64, v[64:65], off offset:64
	s_wait_loadcnt 0x0
	v_cvt_f32_f16_e32 v64, v64
	s_delay_alu instid0(VALU_DEP_1)
	v_mul_f32_e32 v64, v173, v64
	s_branch .LBB52_124
.LBB52_123:
	v_mov_b32_e32 v64, 0
.LBB52_124:
	v_max_num_f32_e32 v65, v68, v68
	s_delay_alu instid0(VALU_DEP_2) | instskip(NEXT) | instid1(VALU_DEP_1)
	v_add_f32_e32 v20, v20, v64
	v_add_f32_e32 v64, 0x40051340, v20
	s_delay_alu instid0(VALU_DEP_1)
	v_max_num_f32_e32 v68, v65, v64
.LBB52_125:
	s_or_b32 exec_lo, exec_lo, s8
	ds_bpermute_b32 v64, v79, v68
	v_dual_max_num_f32 v65, v68, v68 :: v_dual_mov_b32 v149, 0
	s_wait_dscnt 0x0
	v_max_num_f32_e32 v64, v64, v64
	s_delay_alu instid0(VALU_DEP_1) | instskip(SKIP_3) | instid1(VALU_DEP_1)
	v_max_num_f32_e32 v64, v65, v64
	ds_bpermute_b32 v65, v87, v64
	s_wait_dscnt 0x0
	v_max_num_f32_e32 v65, v65, v65
	v_max_num_f32_e32 v68, v64, v65
	v_mul_u64_e32 v[64:65], s[28:29], v[148:149]
	s_delay_alu instid0(VALU_DEP_1) | instskip(NEXT) | instid1(VALU_DEP_1)
	v_add_nc_u32_e32 v65, v148, v65
	v_lshrrev_b32_e32 v65, s21, v65
	ds_bpermute_b32 v69, v88, v68
	v_mul_lo_u32 v65, v65, s22
	s_wait_dscnt 0x0
	v_max_num_f32_e32 v64, v69, v69
	s_delay_alu instid0(VALU_DEP_1) | instskip(SKIP_3) | instid1(VALU_DEP_1)
	v_dual_mov_b32 v69, v53 :: v_dual_max_num_f32 v64, v68, v64
	ds_bpermute_b32 v68, v89, v64
	s_wait_dscnt 0x0
	v_max_num_f32_e32 v68, v68, v68
	v_max_num_f32_e32 v68, v64, v68
	v_sub_nc_u32_e32 v64, v148, v65
	ds_bpermute_b32 v98, v90, v68
	v_mad_u32 v64, v64, s30, s24
	s_and_saveexec_b32 s8, s6
	s_cbranch_execz .LBB52_129
; %bb.126:
	v_cmp_ne_u32_e32 vcc_lo, 1, v66
	s_cbranch_vccnz .LBB52_128
; %bb.127:
	s_delay_alu instid0(VALU_DEP_2) | instskip(SKIP_3) | instid1(VALU_DEP_1)
	v_add_nc_u32_e32 v65, v64, v136
	global_load_u16 v65, v65, s[36:37] scale_offset
	s_wait_loadcnt 0x0
	v_cvt_f32_f16_e32 v65, v65
	v_mul_f32_e32 v149, v173, v65
.LBB52_128:
	s_delay_alu instid0(VALU_DEP_1) | instskip(SKIP_1) | instid1(VALU_DEP_2)
	v_add_f32_e32 v5, v5, v149
	v_max_num_f32_e32 v69, v53, v53
	v_add_f32_e32 v65, 0x40051340, v5
	s_delay_alu instid0(VALU_DEP_1)
	v_max_num_f32_e32 v69, v69, v65
.LBB52_129:
	s_or_b32 exec_lo, exec_lo, s8
	s_delay_alu instid0(SALU_CYCLE_1) | instskip(SKIP_2) | instid1(SALU_CYCLE_1)
	s_mov_b32 s8, exec_lo
	v_mov_b32_e32 v149, v163
	s_and_b32 s9, s8, s7
	s_mov_b32 exec_lo, s9
	s_cbranch_execz .LBB52_134
; %bb.130:
	v_cmp_ne_u32_e32 vcc_lo, 1, v66
	s_cbranch_vccnz .LBB52_132
; %bb.131:
	v_dual_ashrrev_i32 v65, 31, v64 :: v_dual_mov_b32 v137, 0
	s_delay_alu instid0(VALU_DEP_1) | instskip(NEXT) | instid1(VALU_DEP_1)
	v_add_nc_u64_e32 v[64:65], v[64:65], v[136:137]
	v_lshl_add_u64 v[64:65], v[64:65], 1, s[36:37]
	global_load_u16 v64, v[64:65], off offset:64
	s_wait_loadcnt 0x0
	v_cvt_f32_f16_e32 v64, v64
	s_delay_alu instid0(VALU_DEP_1)
	v_mul_f32_e32 v64, v173, v64
	s_branch .LBB52_133
.LBB52_132:
	v_mov_b32_e32 v64, 0
.LBB52_133:
	s_delay_alu instid0(VALU_DEP_1) | instskip(SKIP_1) | instid1(VALU_DEP_2)
	v_add_f32_e32 v21, v21, v64
	v_max_num_f32_e32 v65, v69, v69
	v_add_f32_e32 v64, 0x40051340, v21
	s_delay_alu instid0(VALU_DEP_1)
	v_max_num_f32_e32 v69, v65, v64
.LBB52_134:
	s_or_b32 exec_lo, exec_lo, s8
	ds_bpermute_b32 v64, v79, v69
	v_dual_max_num_f32 v65, v69, v69 :: v_dual_mov_b32 v147, 0
	s_wait_dscnt 0x0
	v_max_num_f32_e32 v64, v64, v64
	s_delay_alu instid0(VALU_DEP_1) | instskip(SKIP_3) | instid1(VALU_DEP_1)
	v_max_num_f32_e32 v64, v65, v64
	ds_bpermute_b32 v65, v87, v64
	s_wait_dscnt 0x0
	v_max_num_f32_e32 v65, v65, v65
	v_max_num_f32_e32 v69, v64, v65
	v_mul_u64_e32 v[64:65], s[28:29], v[146:147]
	ds_bpermute_b32 v70, v88, v69
	v_add_nc_u32_e32 v65, v146, v65
	s_wait_dscnt 0x0
	v_max_num_f32_e32 v64, v70, v70
	s_delay_alu instid0(VALU_DEP_2) | instskip(NEXT) | instid1(VALU_DEP_2)
	v_dual_mov_b32 v70, v54 :: v_dual_lshrrev_b32 v65, s21, v65
	v_max_num_f32_e32 v64, v69, v64
	s_delay_alu instid0(VALU_DEP_2) | instskip(SKIP_3) | instid1(VALU_DEP_1)
	v_mul_lo_u32 v65, v65, s22
	ds_bpermute_b32 v69, v89, v64
	s_wait_dscnt 0x0
	v_max_num_f32_e32 v69, v69, v69
	v_max_num_f32_e32 v69, v64, v69
	v_sub_nc_u32_e32 v64, v146, v65
	ds_bpermute_b32 v99, v90, v69
	v_mad_u32 v64, v64, s30, s24
	s_and_saveexec_b32 s8, s6
	s_cbranch_execz .LBB52_138
; %bb.135:
	v_cmp_ne_u32_e32 vcc_lo, 1, v66
	s_cbranch_vccnz .LBB52_137
; %bb.136:
	s_delay_alu instid0(VALU_DEP_2) | instskip(SKIP_3) | instid1(VALU_DEP_1)
	v_add_nc_u32_e32 v65, v64, v136
	global_load_u16 v65, v65, s[36:37] scale_offset
	s_wait_loadcnt 0x0
	v_cvt_f32_f16_e32 v65, v65
	v_mul_f32_e32 v147, v173, v65
.LBB52_137:
	s_delay_alu instid0(VALU_DEP_1) | instskip(SKIP_1) | instid1(VALU_DEP_2)
	v_add_f32_e32 v6, v6, v147
	v_max_num_f32_e32 v70, v54, v54
	v_add_f32_e32 v65, 0x40051340, v6
	s_delay_alu instid0(VALU_DEP_1)
	v_max_num_f32_e32 v70, v70, v65
.LBB52_138:
	s_or_b32 exec_lo, exec_lo, s8
	s_delay_alu instid0(SALU_CYCLE_1) | instskip(SKIP_2) | instid1(SALU_CYCLE_1)
	s_mov_b32 s8, exec_lo
	v_mov_b32_e32 v147, v141
	s_and_b32 s9, s8, s7
	s_mov_b32 exec_lo, s9
	s_cbranch_execz .LBB52_143
; %bb.139:
	v_cmp_ne_u32_e32 vcc_lo, 1, v66
	s_cbranch_vccnz .LBB52_141
; %bb.140:
	v_dual_ashrrev_i32 v65, 31, v64 :: v_dual_mov_b32 v137, 0
	s_delay_alu instid0(VALU_DEP_1) | instskip(NEXT) | instid1(VALU_DEP_1)
	v_add_nc_u64_e32 v[64:65], v[64:65], v[136:137]
	v_lshl_add_u64 v[64:65], v[64:65], 1, s[36:37]
	global_load_u16 v64, v[64:65], off offset:64
	s_wait_loadcnt 0x0
	v_cvt_f32_f16_e32 v64, v64
	s_delay_alu instid0(VALU_DEP_1)
	v_mul_f32_e32 v64, v173, v64
	s_branch .LBB52_142
.LBB52_141:
	v_mov_b32_e32 v64, 0
.LBB52_142:
	v_max_num_f32_e32 v65, v70, v70
	s_delay_alu instid0(VALU_DEP_2) | instskip(NEXT) | instid1(VALU_DEP_1)
	v_add_f32_e32 v22, v22, v64
	v_add_f32_e32 v64, 0x40051340, v22
	s_delay_alu instid0(VALU_DEP_1)
	v_max_num_f32_e32 v70, v65, v64
.LBB52_143:
	s_or_b32 exec_lo, exec_lo, s8
	ds_bpermute_b32 v64, v79, v70
	v_dual_max_num_f32 v65, v70, v70 :: v_dual_mov_b32 v145, 0
	s_wait_dscnt 0x0
	v_max_num_f32_e32 v64, v64, v64
	s_delay_alu instid0(VALU_DEP_1) | instskip(SKIP_3) | instid1(VALU_DEP_1)
	v_max_num_f32_e32 v64, v65, v64
	ds_bpermute_b32 v65, v87, v64
	s_wait_dscnt 0x0
	v_max_num_f32_e32 v65, v65, v65
	v_max_num_f32_e32 v70, v64, v65
	v_mul_u64_e32 v[64:65], s[28:29], v[144:145]
	ds_bpermute_b32 v71, v88, v70
	s_wait_dscnt 0x0
	v_max_num_f32_e32 v64, v71, v71
	v_dual_mov_b32 v71, v55 :: v_dual_add_nc_u32 v65, v144, v65
	s_delay_alu instid0(VALU_DEP_1) | instskip(SKIP_4) | instid1(VALU_DEP_1)
	v_dual_max_num_f32 v64, v70, v64 :: v_dual_lshrrev_b32 v65, s21, v65
	ds_bpermute_b32 v70, v89, v64
	v_mul_lo_u32 v65, v65, s22
	s_wait_dscnt 0x0
	v_max_num_f32_e32 v70, v70, v70
	v_max_num_f32_e32 v70, v64, v70
	s_delay_alu instid0(VALU_DEP_3)
	v_sub_nc_u32_e32 v64, v144, v65
	ds_bpermute_b32 v100, v90, v70
	v_mad_u32 v64, v64, s30, s24
	s_mov_b32 s8, exec_lo
	v_dual_mov_b32 v151, v165 :: v_dual_mov_b32 v144, v167
	s_and_b32 s9, s8, s6
	s_delay_alu instid0(SALU_CYCLE_1)
	s_mov_b32 exec_lo, s9
	s_cbranch_execz .LBB52_147
; %bb.144:
	v_cmp_ne_u32_e32 vcc_lo, 1, v66
	s_cbranch_vccnz .LBB52_146
; %bb.145:
	s_delay_alu instid0(VALU_DEP_3) | instskip(SKIP_3) | instid1(VALU_DEP_1)
	v_add_nc_u32_e32 v65, v64, v136
	global_load_u16 v65, v65, s[36:37] scale_offset
	s_wait_loadcnt 0x0
	v_cvt_f32_f16_e32 v65, v65
	v_mul_f32_e32 v145, v173, v65
.LBB52_146:
	s_delay_alu instid0(VALU_DEP_1) | instskip(SKIP_1) | instid1(VALU_DEP_2)
	v_add_f32_e32 v7, v7, v145
	v_max_num_f32_e32 v71, v55, v55
	v_add_f32_e32 v65, 0x40051340, v7
	s_delay_alu instid0(VALU_DEP_1)
	v_max_num_f32_e32 v71, v71, v65
.LBB52_147:
	s_or_b32 exec_lo, exec_lo, s8
	s_delay_alu instid0(SALU_CYCLE_1) | instskip(SKIP_2) | instid1(SALU_CYCLE_1)
	s_mov_b32 s8, exec_lo
	v_mov_b32_e32 v145, v169
	s_and_b32 s9, s8, s7
	s_mov_b32 exec_lo, s9
	s_cbranch_execz .LBB52_152
; %bb.148:
	v_cmp_ne_u32_e32 vcc_lo, 1, v66
	s_cbranch_vccnz .LBB52_150
; %bb.149:
	v_dual_ashrrev_i32 v65, 31, v64 :: v_dual_mov_b32 v137, 0
	s_delay_alu instid0(VALU_DEP_1) | instskip(NEXT) | instid1(VALU_DEP_1)
	v_add_nc_u64_e32 v[64:65], v[64:65], v[136:137]
	v_lshl_add_u64 v[64:65], v[64:65], 1, s[36:37]
	global_load_u16 v64, v[64:65], off offset:64
	s_wait_loadcnt 0x0
	v_cvt_f32_f16_e32 v64, v64
	s_delay_alu instid0(VALU_DEP_1)
	v_mul_f32_e32 v64, v173, v64
	s_branch .LBB52_151
.LBB52_150:
	v_mov_b32_e32 v64, 0
.LBB52_151:
	v_max_num_f32_e32 v65, v71, v71
	s_delay_alu instid0(VALU_DEP_2) | instskip(NEXT) | instid1(VALU_DEP_1)
	v_add_f32_e32 v23, v23, v64
	v_add_f32_e32 v64, 0x40051340, v23
	s_delay_alu instid0(VALU_DEP_1)
	v_max_num_f32_e32 v71, v65, v64
.LBB52_152:
	s_or_b32 exec_lo, exec_lo, s8
	ds_bpermute_b32 v64, v79, v71
	v_dual_max_num_f32 v65, v71, v71 :: v_dual_mov_b32 v143, 0
	s_wait_dscnt 0x0
	v_max_num_f32_e32 v64, v64, v64
	s_delay_alu instid0(VALU_DEP_1) | instskip(SKIP_3) | instid1(VALU_DEP_1)
	v_max_num_f32_e32 v64, v65, v64
	ds_bpermute_b32 v65, v87, v64
	s_wait_dscnt 0x0
	v_max_num_f32_e32 v65, v65, v65
	v_max_num_f32_e32 v71, v64, v65
	v_mul_u64_e32 v[64:65], s[28:29], v[142:143]
	ds_bpermute_b32 v72, v88, v71
	s_wait_dscnt 0x0
	v_max_num_f32_e32 v64, v72, v72
	v_dual_mov_b32 v72, v56 :: v_dual_add_nc_u32 v65, v142, v65
	s_delay_alu instid0(VALU_DEP_1) | instskip(SKIP_4) | instid1(VALU_DEP_1)
	v_dual_max_num_f32 v64, v71, v64 :: v_dual_lshrrev_b32 v65, s21, v65
	ds_bpermute_b32 v71, v89, v64
	v_mul_lo_u32 v65, v65, s22
	s_wait_dscnt 0x0
	v_max_num_f32_e32 v71, v71, v71
	v_dual_max_num_f32 v71, v64, v71 :: v_dual_sub_nc_u32 v64, v142, v65
	ds_bpermute_b32 v101, v90, v71
	v_mad_u32 v64, v64, s30, s24
	s_mov_b32 s8, exec_lo
	v_mov_b32_e32 v142, v153
	s_and_b32 s9, s8, s6
	s_delay_alu instid0(SALU_CYCLE_1)
	s_mov_b32 exec_lo, s9
	s_cbranch_execz .LBB52_156
; %bb.153:
	v_cmp_ne_u32_e32 vcc_lo, 1, v66
	s_cbranch_vccnz .LBB52_155
; %bb.154:
	s_delay_alu instid0(VALU_DEP_3) | instskip(SKIP_3) | instid1(VALU_DEP_1)
	v_add_nc_u32_e32 v65, v64, v136
	global_load_u16 v65, v65, s[36:37] scale_offset
	s_wait_loadcnt 0x0
	v_cvt_f32_f16_e32 v65, v65
	v_mul_f32_e32 v143, v173, v65
.LBB52_155:
	s_delay_alu instid0(VALU_DEP_1) | instskip(SKIP_1) | instid1(VALU_DEP_2)
	v_add_f32_e32 v8, v8, v143
	v_max_num_f32_e32 v72, v56, v56
	v_add_f32_e32 v65, 0x40051340, v8
	s_delay_alu instid0(VALU_DEP_1)
	v_max_num_f32_e32 v72, v72, v65
.LBB52_156:
	s_or_b32 exec_lo, exec_lo, s8
	s_delay_alu instid0(SALU_CYCLE_1)
	s_mov_b32 s8, exec_lo
	s_clause 0x1
	scratch_load_b32 v148, off, off offset:20
	scratch_load_b32 v143, off, off offset:40
	s_and_b32 s9, s8, s7
	s_wait_xcnt 0x0
	s_mov_b32 exec_lo, s9
	s_cbranch_execz .LBB52_161
; %bb.157:
	v_cmp_ne_u32_e32 vcc_lo, 1, v66
	s_cbranch_vccnz .LBB52_159
; %bb.158:
	v_dual_ashrrev_i32 v65, 31, v64 :: v_dual_mov_b32 v137, 0
	s_delay_alu instid0(VALU_DEP_1) | instskip(NEXT) | instid1(VALU_DEP_1)
	v_add_nc_u64_e32 v[64:65], v[64:65], v[136:137]
	v_lshl_add_u64 v[64:65], v[64:65], 1, s[36:37]
	global_load_u16 v64, v[64:65], off offset:64
	s_wait_loadcnt 0x0
	v_cvt_f32_f16_e32 v64, v64
	s_delay_alu instid0(VALU_DEP_1)
	v_mul_f32_e32 v64, v173, v64
	s_branch .LBB52_160
.LBB52_159:
	v_mov_b32_e32 v64, 0
.LBB52_160:
	v_max_num_f32_e32 v65, v72, v72
	s_delay_alu instid0(VALU_DEP_2) | instskip(NEXT) | instid1(VALU_DEP_1)
	v_add_f32_e32 v24, v24, v64
	v_add_f32_e32 v64, 0x40051340, v24
	s_delay_alu instid0(VALU_DEP_1)
	v_max_num_f32_e32 v72, v65, v64
.LBB52_161:
	s_or_b32 exec_lo, exec_lo, s8
	ds_bpermute_b32 v64, v79, v72
	v_dual_max_num_f32 v65, v72, v72 :: v_dual_mov_b32 v153, 0
	s_wait_dscnt 0x0
	v_max_num_f32_e32 v64, v64, v64
	s_delay_alu instid0(VALU_DEP_1) | instskip(SKIP_3) | instid1(VALU_DEP_1)
	v_max_num_f32_e32 v64, v65, v64
	ds_bpermute_b32 v65, v87, v64
	s_wait_dscnt 0x0
	v_max_num_f32_e32 v65, v65, v65
	v_max_num_f32_e32 v72, v64, v65
	v_mul_u64_e32 v[64:65], s[28:29], v[152:153]
	s_delay_alu instid0(VALU_DEP_1) | instskip(NEXT) | instid1(VALU_DEP_1)
	v_add_nc_u32_e32 v65, v152, v65
	v_lshrrev_b32_e32 v65, s21, v65
	ds_bpermute_b32 v73, v88, v72
	v_mul_lo_u32 v65, v65, s22
	s_wait_dscnt 0x0
	v_max_num_f32_e32 v64, v73, v73
	s_delay_alu instid0(VALU_DEP_1) | instskip(SKIP_3) | instid1(VALU_DEP_1)
	v_dual_mov_b32 v73, v57 :: v_dual_max_num_f32 v64, v72, v64
	ds_bpermute_b32 v72, v89, v64
	s_wait_dscnt 0x0
	v_max_num_f32_e32 v72, v72, v72
	v_max_num_f32_e32 v72, v64, v72
	v_sub_nc_u32_e32 v64, v152, v65
	ds_bpermute_b32 v102, v90, v72
	v_mad_u32 v64, v64, s30, s24
	s_mov_b32 s8, exec_lo
	scratch_load_b32 v152, off, off offset:44 ; 4-byte Folded Reload
	s_and_b32 s9, s8, s6
	s_wait_xcnt 0x0
	s_mov_b32 exec_lo, s9
	s_cbranch_execz .LBB52_165
; %bb.162:
	v_cmp_ne_u32_e32 vcc_lo, 1, v66
	s_cbranch_vccnz .LBB52_164
; %bb.163:
	v_add_nc_u32_e32 v65, v64, v136
	global_load_u16 v65, v65, s[36:37] scale_offset
	s_wait_loadcnt 0x0
	v_cvt_f32_f16_e32 v65, v65
	s_delay_alu instid0(VALU_DEP_1)
	v_mul_f32_e32 v153, v173, v65
.LBB52_164:
	s_delay_alu instid0(VALU_DEP_1) | instskip(SKIP_1) | instid1(VALU_DEP_2)
	v_add_f32_e32 v9, v9, v153
	v_max_num_f32_e32 v73, v57, v57
	v_add_f32_e32 v65, 0x40051340, v9
	s_delay_alu instid0(VALU_DEP_1)
	v_max_num_f32_e32 v73, v73, v65
.LBB52_165:
	s_or_b32 exec_lo, exec_lo, s8
	s_and_saveexec_b32 s8, s7
	s_cbranch_execz .LBB52_170
; %bb.166:
	v_cmp_ne_u32_e32 vcc_lo, 1, v66
	s_cbranch_vccnz .LBB52_168
; %bb.167:
	v_dual_ashrrev_i32 v65, 31, v64 :: v_dual_mov_b32 v137, 0
	s_delay_alu instid0(VALU_DEP_1) | instskip(NEXT) | instid1(VALU_DEP_1)
	v_add_nc_u64_e32 v[64:65], v[64:65], v[136:137]
	v_lshl_add_u64 v[64:65], v[64:65], 1, s[36:37]
	global_load_u16 v64, v[64:65], off offset:64
	s_wait_loadcnt 0x0
	v_cvt_f32_f16_e32 v64, v64
	s_delay_alu instid0(VALU_DEP_1)
	v_mul_f32_e32 v64, v173, v64
	s_branch .LBB52_169
.LBB52_168:
	v_mov_b32_e32 v64, 0
.LBB52_169:
	s_delay_alu instid0(VALU_DEP_1) | instskip(SKIP_1) | instid1(VALU_DEP_2)
	v_add_f32_e32 v25, v25, v64
	v_max_num_f32_e32 v65, v73, v73
	v_add_f32_e32 v64, 0x40051340, v25
	s_delay_alu instid0(VALU_DEP_1)
	v_max_num_f32_e32 v73, v65, v64
.LBB52_170:
	s_or_b32 exec_lo, exec_lo, s8
	ds_bpermute_b32 v64, v79, v73
	v_dual_max_num_f32 v65, v73, v73 :: v_dual_mov_b32 v77, 0
	s_wait_dscnt 0x0
	v_max_num_f32_e32 v64, v64, v64
	s_delay_alu instid0(VALU_DEP_1) | instskip(SKIP_3) | instid1(VALU_DEP_1)
	v_max_num_f32_e32 v64, v65, v64
	ds_bpermute_b32 v65, v87, v64
	s_wait_dscnt 0x0
	v_max_num_f32_e32 v65, v65, v65
	v_max_num_f32_e32 v73, v64, v65
	v_mul_u64_e32 v[64:65], s[28:29], v[76:77]
	ds_bpermute_b32 v74, v88, v73
	s_wait_dscnt 0x0
	v_max_num_f32_e32 v64, v74, v74
	v_dual_mov_b32 v74, v58 :: v_dual_add_nc_u32 v65, v76, v65
	s_delay_alu instid0(VALU_DEP_1) | instskip(SKIP_4) | instid1(VALU_DEP_1)
	v_dual_max_num_f32 v64, v73, v64 :: v_dual_lshrrev_b32 v65, s21, v65
	ds_bpermute_b32 v73, v89, v64
	v_mul_lo_u32 v65, v65, s22
	s_wait_dscnt 0x0
	v_max_num_f32_e32 v73, v73, v73
	v_max_num_f32_e32 v73, v64, v73
	s_delay_alu instid0(VALU_DEP_3)
	v_sub_nc_u32_e32 v64, v76, v65
	ds_bpermute_b32 v103, v90, v73
	v_mad_u32 v64, v64, s30, s24
	s_and_saveexec_b32 s8, s6
	s_cbranch_execz .LBB52_174
; %bb.171:
	v_cmp_ne_u32_e32 vcc_lo, 1, v66
	s_cbranch_vccnz .LBB52_173
; %bb.172:
	s_delay_alu instid0(VALU_DEP_2) | instskip(SKIP_3) | instid1(VALU_DEP_1)
	v_add_nc_u32_e32 v65, v64, v136
	global_load_u16 v65, v65, s[36:37] scale_offset
	s_wait_loadcnt 0x0
	v_cvt_f32_f16_e32 v65, v65
	v_mul_f32_e32 v77, v173, v65
.LBB52_173:
	s_delay_alu instid0(VALU_DEP_1) | instskip(SKIP_1) | instid1(VALU_DEP_2)
	v_add_f32_e32 v10, v10, v77
	v_max_num_f32_e32 v74, v58, v58
	v_add_f32_e32 v65, 0x40051340, v10
	s_delay_alu instid0(VALU_DEP_1)
	v_max_num_f32_e32 v74, v74, v65
.LBB52_174:
	s_or_b32 exec_lo, exec_lo, s8
	s_and_saveexec_b32 s8, s7
	s_cbranch_execz .LBB52_179
; %bb.175:
	v_cmp_ne_u32_e32 vcc_lo, 1, v66
	s_cbranch_vccnz .LBB52_177
; %bb.176:
	s_delay_alu instid0(VALU_DEP_2) | instskip(NEXT) | instid1(VALU_DEP_1)
	v_dual_ashrrev_i32 v65, 31, v64 :: v_dual_mov_b32 v137, 0
	v_add_nc_u64_e32 v[64:65], v[64:65], v[136:137]
	s_delay_alu instid0(VALU_DEP_1) | instskip(SKIP_3) | instid1(VALU_DEP_1)
	v_lshl_add_u64 v[64:65], v[64:65], 1, s[36:37]
	global_load_u16 v64, v[64:65], off offset:64
	s_wait_loadcnt 0x0
	v_cvt_f32_f16_e32 v64, v64
	v_mul_f32_e32 v64, v173, v64
	s_branch .LBB52_178
.LBB52_177:
	v_mov_b32_e32 v64, 0
.LBB52_178:
	v_max_num_f32_e32 v65, v74, v74
	s_delay_alu instid0(VALU_DEP_2) | instskip(NEXT) | instid1(VALU_DEP_1)
	v_add_f32_e32 v26, v26, v64
	v_add_f32_e32 v64, 0x40051340, v26
	s_delay_alu instid0(VALU_DEP_1)
	v_max_num_f32_e32 v74, v65, v64
.LBB52_179:
	s_or_b32 exec_lo, exec_lo, s8
	ds_bpermute_b32 v64, v79, v74
	v_dual_max_num_f32 v65, v74, v74 :: v_dual_mov_b32 v169, 0
	s_wait_dscnt 0x0
	v_max_num_f32_e32 v64, v64, v64
	s_delay_alu instid0(VALU_DEP_1) | instskip(SKIP_3) | instid1(VALU_DEP_1)
	v_max_num_f32_e32 v64, v65, v64
	ds_bpermute_b32 v65, v87, v64
	s_wait_dscnt 0x0
	v_max_num_f32_e32 v65, v65, v65
	v_max_num_f32_e32 v74, v64, v65
	v_mul_u64_e32 v[64:65], s[28:29], v[168:169]
	ds_bpermute_b32 v75, v88, v74
	s_wait_dscnt 0x0
	v_max_num_f32_e32 v64, v75, v75
	v_dual_mov_b32 v75, v59 :: v_dual_add_nc_u32 v65, v168, v65
	s_delay_alu instid0(VALU_DEP_1) | instskip(SKIP_4) | instid1(VALU_DEP_1)
	v_dual_max_num_f32 v64, v74, v64 :: v_dual_lshrrev_b32 v65, s21, v65
	ds_bpermute_b32 v74, v89, v64
	v_mul_lo_u32 v65, v65, s22
	s_wait_dscnt 0x0
	v_max_num_f32_e32 v74, v74, v74
	v_max_num_f32_e32 v74, v64, v74
	s_delay_alu instid0(VALU_DEP_3)
	v_sub_nc_u32_e32 v64, v168, v65
	ds_bpermute_b32 v104, v90, v74
	v_mad_u32 v64, v64, s30, s24
	s_and_saveexec_b32 s8, s6
	s_cbranch_execz .LBB52_183
; %bb.180:
	v_cmp_ne_u32_e32 vcc_lo, 1, v66
	s_cbranch_vccnz .LBB52_182
; %bb.181:
	s_delay_alu instid0(VALU_DEP_2) | instskip(SKIP_3) | instid1(VALU_DEP_1)
	v_add_nc_u32_e32 v65, v64, v136
	global_load_u16 v65, v65, s[36:37] scale_offset
	s_wait_loadcnt 0x0
	v_cvt_f32_f16_e32 v65, v65
	v_mul_f32_e32 v169, v173, v65
.LBB52_182:
	s_delay_alu instid0(VALU_DEP_1) | instskip(SKIP_1) | instid1(VALU_DEP_2)
	v_add_f32_e32 v11, v11, v169
	v_max_num_f32_e32 v75, v59, v59
	v_add_f32_e32 v65, 0x40051340, v11
	s_delay_alu instid0(VALU_DEP_1)
	v_max_num_f32_e32 v75, v75, v65
.LBB52_183:
	s_or_b32 exec_lo, exec_lo, s8
	s_and_saveexec_b32 s8, s7
	s_cbranch_execz .LBB52_188
; %bb.184:
	v_cmp_ne_u32_e32 vcc_lo, 1, v66
	s_cbranch_vccnz .LBB52_186
; %bb.185:
	s_delay_alu instid0(VALU_DEP_2) | instskip(NEXT) | instid1(VALU_DEP_1)
	v_dual_ashrrev_i32 v65, 31, v64 :: v_dual_mov_b32 v137, 0
	v_add_nc_u64_e32 v[64:65], v[64:65], v[136:137]
	s_delay_alu instid0(VALU_DEP_1) | instskip(SKIP_3) | instid1(VALU_DEP_1)
	v_lshl_add_u64 v[64:65], v[64:65], 1, s[36:37]
	global_load_u16 v64, v[64:65], off offset:64
	s_wait_loadcnt 0x0
	v_cvt_f32_f16_e32 v64, v64
	v_mul_f32_e32 v64, v173, v64
	s_branch .LBB52_187
.LBB52_186:
	v_mov_b32_e32 v64, 0
.LBB52_187:
	v_max_num_f32_e32 v65, v75, v75
	s_delay_alu instid0(VALU_DEP_2) | instskip(NEXT) | instid1(VALU_DEP_1)
	v_add_f32_e32 v27, v27, v64
	v_add_f32_e32 v64, 0x40051340, v27
	s_delay_alu instid0(VALU_DEP_1)
	v_max_num_f32_e32 v75, v65, v64
.LBB52_188:
	s_or_b32 exec_lo, exec_lo, s8
	ds_bpermute_b32 v64, v79, v75
	v_dual_max_num_f32 v65, v75, v75 :: v_dual_mov_b32 v167, 0
	s_wait_dscnt 0x0
	v_max_num_f32_e32 v64, v64, v64
	s_delay_alu instid0(VALU_DEP_1) | instskip(SKIP_3) | instid1(VALU_DEP_1)
	v_max_num_f32_e32 v64, v65, v64
	ds_bpermute_b32 v65, v87, v64
	s_wait_dscnt 0x0
	v_max_num_f32_e32 v65, v65, v65
	v_max_num_f32_e32 v75, v64, v65
	v_mul_u64_e32 v[64:65], s[28:29], v[166:167]
	ds_bpermute_b32 v76, v88, v75
	s_wait_dscnt 0x0
	v_max_num_f32_e32 v64, v76, v76
	v_dual_mov_b32 v76, v60 :: v_dual_add_nc_u32 v65, v166, v65
	s_delay_alu instid0(VALU_DEP_1) | instskip(SKIP_4) | instid1(VALU_DEP_1)
	v_dual_max_num_f32 v64, v75, v64 :: v_dual_lshrrev_b32 v65, s21, v65
	ds_bpermute_b32 v75, v89, v64
	v_mul_lo_u32 v65, v65, s22
	s_wait_dscnt 0x0
	v_max_num_f32_e32 v75, v75, v75
	v_dual_max_num_f32 v75, v64, v75 :: v_dual_sub_nc_u32 v64, v166, v65
	ds_bpermute_b32 v105, v90, v75
	v_mad_u32 v64, v64, s30, s24
	s_and_saveexec_b32 s8, s6
	s_cbranch_execz .LBB52_192
; %bb.189:
	v_cmp_ne_u32_e32 vcc_lo, 1, v66
	s_cbranch_vccnz .LBB52_191
; %bb.190:
	s_delay_alu instid0(VALU_DEP_2) | instskip(SKIP_3) | instid1(VALU_DEP_1)
	v_add_nc_u32_e32 v65, v64, v136
	global_load_u16 v65, v65, s[36:37] scale_offset
	s_wait_loadcnt 0x0
	v_cvt_f32_f16_e32 v65, v65
	v_mul_f32_e32 v167, v173, v65
.LBB52_191:
	s_delay_alu instid0(VALU_DEP_1) | instskip(SKIP_1) | instid1(VALU_DEP_2)
	v_add_f32_e32 v12, v12, v167
	v_max_num_f32_e32 v76, v60, v60
	v_add_f32_e32 v65, 0x40051340, v12
	s_delay_alu instid0(VALU_DEP_1)
	v_max_num_f32_e32 v76, v76, v65
.LBB52_192:
	s_or_b32 exec_lo, exec_lo, s8
	s_and_saveexec_b32 s8, s7
	s_cbranch_execz .LBB52_197
; %bb.193:
	v_cmp_ne_u32_e32 vcc_lo, 1, v66
	s_cbranch_vccnz .LBB52_195
; %bb.194:
	s_delay_alu instid0(VALU_DEP_2) | instskip(NEXT) | instid1(VALU_DEP_1)
	v_dual_ashrrev_i32 v65, 31, v64 :: v_dual_mov_b32 v137, 0
	v_add_nc_u64_e32 v[64:65], v[64:65], v[136:137]
	s_delay_alu instid0(VALU_DEP_1) | instskip(SKIP_3) | instid1(VALU_DEP_1)
	v_lshl_add_u64 v[64:65], v[64:65], 1, s[36:37]
	global_load_u16 v64, v[64:65], off offset:64
	s_wait_loadcnt 0x0
	v_cvt_f32_f16_e32 v64, v64
	v_mul_f32_e32 v64, v173, v64
	s_branch .LBB52_196
.LBB52_195:
	v_mov_b32_e32 v64, 0
.LBB52_196:
	v_max_num_f32_e32 v65, v76, v76
	s_delay_alu instid0(VALU_DEP_2) | instskip(NEXT) | instid1(VALU_DEP_1)
	v_add_f32_e32 v28, v28, v64
	v_add_f32_e32 v64, 0x40051340, v28
	s_delay_alu instid0(VALU_DEP_1)
	v_max_num_f32_e32 v76, v65, v64
.LBB52_197:
	s_or_b32 exec_lo, exec_lo, s8
	ds_bpermute_b32 v64, v79, v76
	v_dual_max_num_f32 v65, v76, v76 :: v_dual_mov_b32 v165, 0
	s_wait_dscnt 0x0
	v_max_num_f32_e32 v64, v64, v64
	s_delay_alu instid0(VALU_DEP_1) | instskip(SKIP_3) | instid1(VALU_DEP_1)
	v_max_num_f32_e32 v64, v65, v64
	ds_bpermute_b32 v65, v87, v64
	s_wait_dscnt 0x0
	v_max_num_f32_e32 v65, v65, v65
	v_max_num_f32_e32 v76, v64, v65
	v_mul_u64_e32 v[64:65], s[28:29], v[164:165]
	s_delay_alu instid0(VALU_DEP_1) | instskip(NEXT) | instid1(VALU_DEP_1)
	v_add_nc_u32_e32 v65, v164, v65
	v_lshrrev_b32_e32 v65, s21, v65
	ds_bpermute_b32 v77, v88, v76
	v_mul_lo_u32 v65, v65, s22
	s_wait_dscnt 0x0
	v_max_num_f32_e32 v64, v77, v77
	s_delay_alu instid0(VALU_DEP_1) | instskip(SKIP_3) | instid1(VALU_DEP_1)
	v_dual_mov_b32 v77, v61 :: v_dual_max_num_f32 v64, v76, v64
	ds_bpermute_b32 v76, v89, v64
	s_wait_dscnt 0x0
	v_max_num_f32_e32 v76, v76, v76
	v_max_num_f32_e32 v76, v64, v76
	v_sub_nc_u32_e32 v64, v164, v65
	ds_bpermute_b32 v106, v90, v76
	v_mad_u32 v64, v64, s30, s24
	s_and_saveexec_b32 s8, s6
	s_cbranch_execz .LBB52_201
; %bb.198:
	v_cmp_ne_u32_e32 vcc_lo, 1, v66
	s_cbranch_vccnz .LBB52_200
; %bb.199:
	s_delay_alu instid0(VALU_DEP_2) | instskip(SKIP_3) | instid1(VALU_DEP_1)
	v_add_nc_u32_e32 v65, v64, v136
	global_load_u16 v65, v65, s[36:37] scale_offset
	s_wait_loadcnt 0x0
	v_cvt_f32_f16_e32 v65, v65
	v_mul_f32_e32 v165, v173, v65
.LBB52_200:
	s_delay_alu instid0(VALU_DEP_1) | instskip(SKIP_1) | instid1(VALU_DEP_2)
	v_add_f32_e32 v13, v13, v165
	v_max_num_f32_e32 v77, v61, v61
	v_add_f32_e32 v65, 0x40051340, v13
	s_delay_alu instid0(VALU_DEP_1)
	v_max_num_f32_e32 v77, v77, v65
.LBB52_201:
	s_or_b32 exec_lo, exec_lo, s8
	s_and_saveexec_b32 s8, s7
	s_cbranch_execz .LBB52_206
; %bb.202:
	v_cmp_ne_u32_e32 vcc_lo, 1, v66
	s_cbranch_vccnz .LBB52_204
; %bb.203:
	s_delay_alu instid0(VALU_DEP_2) | instskip(NEXT) | instid1(VALU_DEP_1)
	v_dual_ashrrev_i32 v65, 31, v64 :: v_dual_mov_b32 v137, 0
	v_add_nc_u64_e32 v[64:65], v[64:65], v[136:137]
	s_delay_alu instid0(VALU_DEP_1) | instskip(SKIP_3) | instid1(VALU_DEP_1)
	v_lshl_add_u64 v[64:65], v[64:65], 1, s[36:37]
	global_load_u16 v64, v[64:65], off offset:64
	s_wait_loadcnt 0x0
	v_cvt_f32_f16_e32 v64, v64
	v_mul_f32_e32 v64, v173, v64
	s_branch .LBB52_205
.LBB52_204:
	v_mov_b32_e32 v64, 0
.LBB52_205:
	s_delay_alu instid0(VALU_DEP_1) | instskip(SKIP_1) | instid1(VALU_DEP_2)
	v_add_f32_e32 v29, v29, v64
	v_max_num_f32_e32 v65, v77, v77
	v_add_f32_e32 v64, 0x40051340, v29
	s_delay_alu instid0(VALU_DEP_1)
	v_max_num_f32_e32 v77, v65, v64
.LBB52_206:
	s_or_b32 exec_lo, exec_lo, s8
	ds_bpermute_b32 v64, v79, v77
	v_dual_max_num_f32 v65, v77, v77 :: v_dual_mov_b32 v163, 0
	s_wait_dscnt 0x0
	v_max_num_f32_e32 v64, v64, v64
	s_delay_alu instid0(VALU_DEP_1) | instskip(SKIP_3) | instid1(VALU_DEP_1)
	v_max_num_f32_e32 v64, v65, v64
	ds_bpermute_b32 v65, v87, v64
	s_wait_dscnt 0x0
	v_max_num_f32_e32 v65, v65, v65
	v_max_num_f32_e32 v77, v64, v65
	v_mul_u64_e32 v[64:65], s[28:29], v[162:163]
	ds_bpermute_b32 v78, v88, v77
	v_add_nc_u32_e32 v65, v162, v65
	s_wait_dscnt 0x0
	v_max_num_f32_e32 v64, v78, v78
	s_delay_alu instid0(VALU_DEP_2) | instskip(NEXT) | instid1(VALU_DEP_2)
	v_dual_mov_b32 v78, v62 :: v_dual_lshrrev_b32 v65, s21, v65
	v_max_num_f32_e32 v64, v77, v64
	s_delay_alu instid0(VALU_DEP_2) | instskip(SKIP_3) | instid1(VALU_DEP_1)
	v_mul_lo_u32 v65, v65, s22
	ds_bpermute_b32 v77, v89, v64
	s_wait_dscnt 0x0
	v_max_num_f32_e32 v77, v77, v77
	v_max_num_f32_e32 v77, v64, v77
	v_sub_nc_u32_e32 v64, v162, v65
	ds_bpermute_b32 v108, v90, v77
	v_mad_u32 v64, v64, s30, s24
	s_and_saveexec_b32 s8, s6
	s_cbranch_execz .LBB52_210
; %bb.207:
	v_cmp_ne_u32_e32 vcc_lo, 1, v66
	s_cbranch_vccnz .LBB52_209
; %bb.208:
	s_delay_alu instid0(VALU_DEP_2) | instskip(SKIP_3) | instid1(VALU_DEP_1)
	v_add_nc_u32_e32 v65, v64, v136
	global_load_u16 v65, v65, s[36:37] scale_offset
	s_wait_loadcnt 0x0
	v_cvt_f32_f16_e32 v65, v65
	v_mul_f32_e32 v163, v173, v65
.LBB52_209:
	s_delay_alu instid0(VALU_DEP_1) | instskip(SKIP_1) | instid1(VALU_DEP_2)
	v_add_f32_e32 v14, v14, v163
	v_max_num_f32_e32 v78, v62, v62
	v_add_f32_e32 v65, 0x40051340, v14
	s_delay_alu instid0(VALU_DEP_1)
	v_max_num_f32_e32 v78, v78, v65
.LBB52_210:
	s_or_b32 exec_lo, exec_lo, s8
	s_and_saveexec_b32 s8, s7
	s_cbranch_execz .LBB52_215
; %bb.211:
	v_cmp_ne_u32_e32 vcc_lo, 1, v66
	s_cbranch_vccnz .LBB52_213
; %bb.212:
	s_delay_alu instid0(VALU_DEP_2) | instskip(NEXT) | instid1(VALU_DEP_1)
	v_dual_ashrrev_i32 v65, 31, v64 :: v_dual_mov_b32 v137, 0
	v_add_nc_u64_e32 v[64:65], v[64:65], v[136:137]
	s_delay_alu instid0(VALU_DEP_1) | instskip(SKIP_3) | instid1(VALU_DEP_1)
	v_lshl_add_u64 v[64:65], v[64:65], 1, s[36:37]
	global_load_u16 v64, v[64:65], off offset:64
	s_wait_loadcnt 0x0
	v_cvt_f32_f16_e32 v64, v64
	v_mul_f32_e32 v64, v173, v64
	s_branch .LBB52_214
.LBB52_213:
	v_mov_b32_e32 v64, 0
.LBB52_214:
	v_max_num_f32_e32 v65, v78, v78
	s_delay_alu instid0(VALU_DEP_2) | instskip(NEXT) | instid1(VALU_DEP_1)
	v_add_f32_e32 v30, v30, v64
	v_add_f32_e32 v64, 0x40051340, v30
	s_delay_alu instid0(VALU_DEP_1)
	v_max_num_f32_e32 v78, v65, v64
.LBB52_215:
	s_or_b32 exec_lo, exec_lo, s8
	ds_bpermute_b32 v64, v79, v78
	v_dual_max_num_f32 v65, v78, v78 :: v_dual_mov_b32 v161, 0
	s_wait_dscnt 0x0
	v_max_num_f32_e32 v64, v64, v64
	s_delay_alu instid0(VALU_DEP_1) | instskip(SKIP_3) | instid1(VALU_DEP_1)
	v_max_num_f32_e32 v64, v65, v64
	ds_bpermute_b32 v65, v87, v64
	s_wait_dscnt 0x0
	v_max_num_f32_e32 v65, v65, v65
	v_max_num_f32_e32 v78, v64, v65
	v_mul_u64_e32 v[64:65], s[28:29], v[160:161]
	ds_bpermute_b32 v107, v88, v78
	s_wait_dscnt 0x0
	v_max_num_f32_e32 v64, v107, v107
	v_dual_mov_b32 v107, v63 :: v_dual_add_nc_u32 v65, v160, v65
	s_delay_alu instid0(VALU_DEP_1) | instskip(SKIP_4) | instid1(VALU_DEP_1)
	v_dual_max_num_f32 v64, v78, v64 :: v_dual_lshrrev_b32 v65, s21, v65
	ds_bpermute_b32 v78, v89, v64
	v_mul_lo_u32 v65, v65, s22
	s_wait_dscnt 0x0
	v_max_num_f32_e32 v78, v78, v78
	v_max_num_f32_e32 v78, v64, v78
	s_delay_alu instid0(VALU_DEP_3)
	v_sub_nc_u32_e32 v64, v160, v65
	ds_bpermute_b32 v109, v90, v78
	v_mad_u32 v64, v64, s30, s24
	s_and_saveexec_b32 s8, s6
	s_cbranch_execz .LBB52_219
; %bb.216:
	v_cmp_ne_u32_e32 vcc_lo, 1, v66
	s_cbranch_vccnz .LBB52_218
; %bb.217:
	s_delay_alu instid0(VALU_DEP_2) | instskip(SKIP_3) | instid1(VALU_DEP_1)
	v_add_nc_u32_e32 v65, v64, v136
	global_load_u16 v65, v65, s[36:37] scale_offset
	s_wait_loadcnt 0x0
	v_cvt_f32_f16_e32 v65, v65
	v_mul_f32_e32 v161, v173, v65
.LBB52_218:
	s_delay_alu instid0(VALU_DEP_1) | instskip(SKIP_1) | instid1(VALU_DEP_2)
	v_add_f32_e32 v15, v15, v161
	v_max_num_f32_e32 v107, v63, v63
	v_add_f32_e32 v65, 0x40051340, v15
	s_delay_alu instid0(VALU_DEP_1)
	v_max_num_f32_e32 v107, v107, v65
.LBB52_219:
	s_or_b32 exec_lo, exec_lo, s8
	s_and_saveexec_b32 s6, s7
	s_cbranch_execz .LBB52_224
; %bb.220:
	v_cmp_ne_u32_e32 vcc_lo, 1, v66
	s_cbranch_vccnz .LBB52_222
; %bb.221:
	s_delay_alu instid0(VALU_DEP_2) | instskip(NEXT) | instid1(VALU_DEP_1)
	v_dual_ashrrev_i32 v65, 31, v64 :: v_dual_mov_b32 v137, 0
	v_add_nc_u64_e32 v[64:65], v[64:65], v[136:137]
	s_delay_alu instid0(VALU_DEP_1) | instskip(SKIP_3) | instid1(VALU_DEP_1)
	v_lshl_add_u64 v[64:65], v[64:65], 1, s[36:37]
	global_load_u16 v64, v[64:65], off offset:64
	s_wait_loadcnt 0x0
	v_cvt_f32_f16_e32 v64, v64
	v_mul_f32_e32 v64, v173, v64
	s_branch .LBB52_223
.LBB52_222:
	v_mov_b32_e32 v64, 0
.LBB52_223:
	v_max_num_f32_e32 v65, v107, v107
	s_delay_alu instid0(VALU_DEP_2) | instskip(NEXT) | instid1(VALU_DEP_1)
	v_add_f32_e32 v31, v31, v64
	v_add_f32_e32 v64, 0x40051340, v31
	s_delay_alu instid0(VALU_DEP_1)
	v_max_num_f32_e32 v107, v65, v64
.LBB52_224:
	s_or_b32 exec_lo, exec_lo, s6
	s_wait_dscnt 0x0
	v_dual_max_num_f32 v64, v109, v109 :: v_dual_max_num_f32 v65, v78, v78
	ds_bpermute_b32 v79, v79, v107
	v_cmp_gt_u32_e64 s6, s15, v136
	s_wait_loadcnt_dscnt 0x0
	s_barrier_signal -1
	v_max_num_f32_e32 v78, v65, v64
	v_dual_max_num_f32 v64, v108, v108 :: v_dual_max_num_f32 v65, v77, v77
	s_barrier_wait -1
	s_mov_b32 s8, 0
	s_lshl_b32 s9, s14, 4
	s_delay_alu instid0(VALU_DEP_1) | instskip(SKIP_2) | instid1(VALU_DEP_2)
	v_dual_max_num_f32 v77, v65, v64 :: v_dual_max_num_f32 v64, v106, v106
	v_dual_max_num_f32 v65, v76, v76 :: v_dual_sub_f32 v14, v14, v78
	s_mov_b32 s10, s8
	v_dual_sub_f32 v13, v13, v77 :: v_dual_max_num_f32 v91, v91, v91
	s_delay_alu instid0(VALU_DEP_2) | instskip(SKIP_1) | instid1(VALU_DEP_2)
	v_dual_max_num_f32 v76, v65, v64 :: v_dual_max_num_f32 v65, v75, v75
	v_dual_max_num_f32 v64, v105, v105 :: v_dual_max_num_f32 v79, v79, v79
	v_dual_mov_b32 v171, 0 :: v_dual_sub_f32 v12, v12, v76
	s_delay_alu instid0(VALU_DEP_2) | instskip(SKIP_1) | instid1(VALU_DEP_1)
	v_max_num_f32_e32 v75, v65, v64
	v_dual_max_num_f32 v64, v104, v104 :: v_dual_max_num_f32 v65, v74, v74
	v_dual_max_num_f32 v74, v65, v64 :: v_dual_max_num_f32 v64, v103, v103
	s_delay_alu instid0(VALU_DEP_3) | instskip(NEXT) | instid1(VALU_DEP_1)
	v_dual_max_num_f32 v65, v73, v73 :: v_dual_sub_f32 v11, v11, v75
	v_dual_sub_f32 v10, v10, v74 :: v_dual_max_num_f32 v73, v65, v64
	v_dual_max_num_f32 v64, v102, v102 :: v_dual_max_num_f32 v65, v72, v72
	s_delay_alu instid0(VALU_DEP_2) | instskip(NEXT) | instid1(VALU_DEP_2)
	v_sub_f32_e32 v9, v9, v73
	v_dual_max_num_f32 v72, v65, v64 :: v_dual_max_num_f32 v65, v71, v71
	s_delay_alu instid0(VALU_DEP_1) | instskip(NEXT) | instid1(VALU_DEP_1)
	v_dual_max_num_f32 v64, v101, v101 :: v_dual_sub_f32 v8, v8, v72
	v_max_num_f32_e32 v71, v65, v64
	v_dual_max_num_f32 v64, v100, v100 :: v_dual_max_num_f32 v65, v70, v70
	s_delay_alu instid0(VALU_DEP_1) | instskip(NEXT) | instid1(VALU_DEP_3)
	v_dual_max_num_f32 v70, v65, v64 :: v_dual_max_num_f32 v64, v99, v99
	v_dual_max_num_f32 v65, v69, v69 :: v_dual_sub_f32 v7, v7, v71
	s_delay_alu instid0(VALU_DEP_1) | instskip(SKIP_1) | instid1(VALU_DEP_2)
	v_dual_sub_f32 v6, v6, v70 :: v_dual_max_num_f32 v69, v65, v64
	v_dual_max_num_f32 v64, v98, v98 :: v_dual_max_num_f32 v65, v68, v68
	v_sub_f32_e32 v5, v5, v69
	s_delay_alu instid0(VALU_DEP_2) | instskip(NEXT) | instid1(VALU_DEP_1)
	v_dual_max_num_f32 v68, v65, v64 :: v_dual_max_num_f32 v65, v67, v67
	v_dual_max_num_f32 v64, v97, v97 :: v_dual_sub_f32 v4, v4, v68
	s_delay_alu instid0(VALU_DEP_1) | instskip(SKIP_1) | instid1(VALU_DEP_1)
	v_max_num_f32_e32 v67, v65, v64
	v_dual_max_num_f32 v64, v96, v96 :: v_dual_max_num_f32 v65, v95, v95
	v_dual_max_num_f32 v66, v65, v64 :: v_dual_max_num_f32 v64, v94, v94
	s_delay_alu instid0(VALU_DEP_3) | instskip(NEXT) | instid1(VALU_DEP_1)
	v_dual_max_num_f32 v65, v93, v93 :: v_dual_sub_f32 v3, v3, v67
	v_dual_sub_f32 v2, v2, v66 :: v_dual_max_num_f32 v65, v65, v64
	v_max_num_f32_e32 v64, v92, v92
	s_delay_alu instid0(VALU_DEP_1) | instskip(NEXT) | instid1(VALU_DEP_3)
	v_max_num_f32_e32 v64, v91, v64
	v_dual_max_num_f32 v91, v107, v107 :: v_dual_sub_f32 v1, v1, v65
	s_delay_alu instid0(VALU_DEP_1) | instskip(NEXT) | instid1(VALU_DEP_1)
	v_dual_sub_f32 v0, v0, v64 :: v_dual_max_num_f32 v79, v91, v79
	v_cmp_ngt_f32_e32 vcc_lo, 0xc2ce8ed0, v0
	ds_bpermute_b32 v87, v87, v79
	s_wait_dscnt 0x0
	v_max_num_f32_e32 v87, v87, v87
	s_delay_alu instid0(VALU_DEP_1) | instskip(SKIP_4) | instid1(VALU_DEP_1)
	v_max_num_f32_e32 v79, v79, v87
	ds_bpermute_b32 v87, v88, v79
	v_sub_f32_e32 v88, v48, v64
	s_wait_dscnt 0x0
	v_dual_mul_f32 v48, 0x3fb8aa3b, v0 :: v_dual_max_num_f32 v87, v87, v87
	v_max_num_f32_e32 v79, v79, v87
	ds_bpermute_b32 v87, v89, v79
	v_rndne_f32_e32 v89, v48
	s_wait_dscnt 0x0
	v_max_num_f32_e32 v87, v87, v87
	s_delay_alu instid0(VALU_DEP_1) | instskip(SKIP_3) | instid1(VALU_DEP_1)
	v_max_num_f32_e32 v79, v79, v87
	ds_bpermute_b32 v87, v90, v79
	s_wait_dscnt 0x0
	v_max_num_f32_e32 v87, v87, v87
	v_max_num_f32_e32 v79, v79, v87
	v_fma_f32 v87, 0x3fb8aa3b, v0, -v48
	s_delay_alu instid0(VALU_DEP_1) | instskip(NEXT) | instid1(VALU_DEP_1)
	v_dual_sub_f32 v48, v48, v89 :: v_dual_fmac_f32 v87, 0x32a5705f, v0
	v_add_f32_e32 v48, v48, v87
	v_cvt_i32_f32_e32 v87, v89
	s_delay_alu instid0(VALU_DEP_2) | instskip(SKIP_1) | instid1(TRANS32_DEP_1)
	v_exp_f32_e32 v48, v48
	v_nop
	v_ldexp_f32 v48, v48, v87
	s_delay_alu instid0(VALU_DEP_1) | instskip(SKIP_1) | instid1(VALU_DEP_2)
	v_cndmask_b32_e32 v48, 0, v48, vcc_lo
	v_cmp_nlt_f32_e32 vcc_lo, 0x42b17218, v0
	v_cndmask_b32_e32 v0, 0x7f800000, v48, vcc_lo
	v_cmp_gt_u32_e32 vcc_lo, s15, v86
	s_ashr_i32 s15, s14, 31
	s_delay_alu instid0(VALU_DEP_2) | instskip(SKIP_1) | instid1(VALU_DEP_1)
	v_cndmask_b32_e64 v48, 0, v0, s6
	v_sub_f32_e32 v0, v16, v64
	v_mul_f32_e32 v16, 0x3fb8aa3b, v0
	v_cmp_ngt_f32_e64 s7, 0xc2ce8ed0, v0
	v_sub_f32_e32 v15, v15, v79
	s_delay_alu instid0(VALU_DEP_3) | instskip(SKIP_1) | instid1(VALU_DEP_1)
	v_fma_f32 v87, 0x3fb8aa3b, v0, -v16
	v_rndne_f32_e32 v89, v16
	v_dual_fmac_f32 v87, 0x32a5705f, v0 :: v_dual_sub_f32 v16, v16, v89
	s_delay_alu instid0(VALU_DEP_1) | instskip(SKIP_1) | instid1(VALU_DEP_2)
	v_add_f32_e32 v16, v16, v87
	v_cvt_i32_f32_e32 v87, v89
	v_exp_f32_e32 v16, v16
	v_nop
	s_delay_alu instid0(TRANS32_DEP_1) | instskip(NEXT) | instid1(VALU_DEP_1)
	v_ldexp_f32 v16, v16, v87
	v_cndmask_b32_e64 v16, 0, v16, s7
	v_cmp_nlt_f32_e64 s7, 0x42b17218, v0
	s_delay_alu instid0(VALU_DEP_1) | instskip(SKIP_2) | instid1(VALU_DEP_3)
	v_cndmask_b32_e64 v0, 0x7f800000, v16, s7
	v_mul_f32_e32 v16, 0x3fb8aa3b, v88
	v_cmp_ngt_f32_e64 s7, 0xc2ce8ed0, v88
	v_cndmask_b32_e32 v87, 0, v0, vcc_lo
	s_delay_alu instid0(VALU_DEP_3) | instskip(SKIP_1) | instid1(VALU_DEP_2)
	v_fma_f32 v89, 0x3fb8aa3b, v88, -v16
	v_rndne_f32_e32 v90, v16
	v_dual_add_f32 v0, v48, v87 :: v_dual_fmac_f32 v89, 0x32a5705f, v88
	s_delay_alu instid0(VALU_DEP_2) | instskip(NEXT) | instid1(VALU_DEP_1)
	v_sub_f32_e32 v16, v16, v90
	v_add_f32_e32 v16, v16, v89
	v_cvt_i32_f32_e32 v89, v90
	s_delay_alu instid0(VALU_DEP_2) | instskip(SKIP_1) | instid1(TRANS32_DEP_1)
	v_exp_f32_e32 v16, v16
	v_nop
	v_ldexp_f32 v16, v16, v89
	s_delay_alu instid0(VALU_DEP_1) | instskip(SKIP_1) | instid1(VALU_DEP_1)
	v_cndmask_b32_e64 v16, 0, v16, s7
	v_cmp_nlt_f32_e64 s7, 0x42b17218, v88
	v_cndmask_b32_e64 v16, 0x7f800000, v16, s7
	v_cmp_ngt_f32_e64 s7, 0xc2ce8ed0, v1
	s_delay_alu instid0(VALU_DEP_2) | instskip(SKIP_1) | instid1(VALU_DEP_1)
	v_fmac_f32_e32 v0, v32, v16
	v_cvt_f16_f32_e32 v16, v16
	v_and_b32_e32 v16, 0xffff, v16
	s_delay_alu instid0(VALU_DEP_1) | instskip(NEXT) | instid1(VALU_DEP_1)
	v_mul_u32_u24_e32 v16, 0x10001, v16
	v_pk_mul_f16 v32, v139, v16
	v_sub_f32_e32 v16, v49, v65
	v_mul_f32_e32 v49, 0x3fb8aa3b, v1
	s_delay_alu instid0(VALU_DEP_1) | instskip(SKIP_1) | instid1(VALU_DEP_2)
	v_fma_f32 v88, 0x3fb8aa3b, v1, -v49
	v_rndne_f32_e32 v89, v49
	v_fmac_f32_e32 v88, 0x32a5705f, v1
	s_delay_alu instid0(VALU_DEP_2) | instskip(NEXT) | instid1(VALU_DEP_1)
	v_sub_f32_e32 v49, v49, v89
	v_add_f32_e32 v49, v49, v88
	v_cvt_i32_f32_e32 v88, v89
	s_delay_alu instid0(VALU_DEP_2) | instskip(SKIP_1) | instid1(TRANS32_DEP_1)
	v_exp_f32_e32 v49, v49
	v_nop
	v_ldexp_f32 v49, v49, v88
	s_delay_alu instid0(VALU_DEP_1) | instskip(SKIP_1) | instid1(VALU_DEP_1)
	v_cndmask_b32_e64 v49, 0, v49, s7
	v_cmp_nlt_f32_e64 s7, 0x42b17218, v1
	v_cndmask_b32_e64 v1, 0x7f800000, v49, s7
	s_delay_alu instid0(VALU_DEP_1) | instskip(SKIP_1) | instid1(VALU_DEP_1)
	v_cndmask_b32_e64 v49, 0, v1, s6
	v_sub_f32_e32 v1, v17, v65
	v_mul_f32_e32 v17, 0x3fb8aa3b, v1
	v_cmp_ngt_f32_e64 s7, 0xc2ce8ed0, v1
	s_delay_alu instid0(VALU_DEP_2) | instskip(SKIP_1) | instid1(VALU_DEP_2)
	v_fma_f32 v88, 0x3fb8aa3b, v1, -v17
	v_rndne_f32_e32 v89, v17
	v_fmac_f32_e32 v88, 0x32a5705f, v1
	s_delay_alu instid0(VALU_DEP_2) | instskip(NEXT) | instid1(VALU_DEP_1)
	v_sub_f32_e32 v17, v17, v89
	v_add_f32_e32 v17, v17, v88
	v_cvt_i32_f32_e32 v88, v89
	s_delay_alu instid0(VALU_DEP_2) | instskip(SKIP_1) | instid1(TRANS32_DEP_1)
	v_exp_f32_e32 v17, v17
	v_nop
	v_ldexp_f32 v17, v17, v88
	s_delay_alu instid0(VALU_DEP_1) | instskip(SKIP_1) | instid1(VALU_DEP_1)
	v_cndmask_b32_e64 v17, 0, v17, s7
	v_cmp_nlt_f32_e64 s7, 0x42b17218, v1
	v_cndmask_b32_e64 v1, 0x7f800000, v17, s7
	v_mul_f32_e32 v17, 0x3fb8aa3b, v16
	v_cmp_ngt_f32_e64 s7, 0xc2ce8ed0, v16
	s_delay_alu instid0(VALU_DEP_3) | instskip(NEXT) | instid1(VALU_DEP_3)
	v_cndmask_b32_e32 v88, 0, v1, vcc_lo
	v_fma_f32 v89, 0x3fb8aa3b, v16, -v17
	v_rndne_f32_e32 v90, v17
	s_delay_alu instid0(VALU_DEP_3) | instskip(NEXT) | instid1(VALU_DEP_3)
	v_add_f32_e32 v1, v49, v88
	v_fmac_f32_e32 v89, 0x32a5705f, v16
	s_delay_alu instid0(VALU_DEP_3) | instskip(NEXT) | instid1(VALU_DEP_1)
	v_sub_f32_e32 v17, v17, v90
	v_add_f32_e32 v17, v17, v89
	v_cvt_i32_f32_e32 v89, v90
	s_delay_alu instid0(VALU_DEP_2) | instskip(SKIP_1) | instid1(TRANS32_DEP_1)
	v_exp_f32_e32 v17, v17
	v_nop
	v_ldexp_f32 v17, v17, v89
	s_delay_alu instid0(VALU_DEP_1) | instskip(SKIP_1) | instid1(VALU_DEP_1)
	v_cndmask_b32_e64 v17, 0, v17, s7
	v_cmp_nlt_f32_e64 s7, 0x42b17218, v16
	v_cndmask_b32_e64 v16, 0x7f800000, v17, s7
	v_mul_f32_e32 v17, 0x3fb8aa3b, v2
	v_cmp_ngt_f32_e64 s7, 0xc2ce8ed0, v2
	s_delay_alu instid0(VALU_DEP_3) | instskip(SKIP_1) | instid1(VALU_DEP_4)
	v_fmac_f32_e32 v1, v33, v16
	v_cvt_f16_f32_e32 v16, v16
	v_rndne_f32_e32 v89, v17
	s_delay_alu instid0(VALU_DEP_2) | instskip(NEXT) | instid1(VALU_DEP_1)
	v_and_b32_e32 v16, 0xffff, v16
	v_mul_u32_u24_e32 v16, 0x10001, v16
	s_delay_alu instid0(VALU_DEP_1) | instskip(SKIP_2) | instid1(VALU_DEP_1)
	v_pk_mul_f16 v33, v138, v16
	v_sub_f32_e32 v16, v50, v66
	v_fma_f32 v50, 0x3fb8aa3b, v2, -v17
	v_dual_sub_f32 v17, v17, v89 :: v_dual_fmac_f32 v50, 0x32a5705f, v2
	s_delay_alu instid0(VALU_DEP_1) | instskip(SKIP_1) | instid1(VALU_DEP_2)
	v_add_f32_e32 v17, v17, v50
	v_cvt_i32_f32_e32 v50, v89
	v_exp_f32_e32 v17, v17
	v_nop
	s_delay_alu instid0(TRANS32_DEP_1) | instskip(NEXT) | instid1(VALU_DEP_1)
	v_ldexp_f32 v17, v17, v50
	v_cndmask_b32_e64 v17, 0, v17, s7
	v_cmp_nlt_f32_e64 s7, 0x42b17218, v2
	s_delay_alu instid0(VALU_DEP_1) | instskip(NEXT) | instid1(VALU_DEP_1)
	v_cndmask_b32_e64 v2, 0x7f800000, v17, s7
	v_cndmask_b32_e64 v17, 0, v2, s6
	v_sub_f32_e32 v2, v18, v66
	s_delay_alu instid0(VALU_DEP_1) | instskip(SKIP_1) | instid1(VALU_DEP_2)
	v_mul_f32_e32 v18, 0x3fb8aa3b, v2
	v_cmp_ngt_f32_e64 s7, 0xc2ce8ed0, v2
	v_fma_f32 v50, 0x3fb8aa3b, v2, -v18
	v_rndne_f32_e32 v89, v18
	s_delay_alu instid0(VALU_DEP_2) | instskip(NEXT) | instid1(VALU_DEP_2)
	v_fmac_f32_e32 v50, 0x32a5705f, v2
	v_sub_f32_e32 v18, v18, v89
	s_delay_alu instid0(VALU_DEP_1) | instskip(SKIP_1) | instid1(VALU_DEP_2)
	v_add_f32_e32 v18, v18, v50
	v_cvt_i32_f32_e32 v50, v89
	v_exp_f32_e32 v18, v18
	v_nop
	s_delay_alu instid0(TRANS32_DEP_1) | instskip(SKIP_1) | instid1(VALU_DEP_1)
	v_ldexp_f32 v18, v18, v50
	v_mul_f32_e32 v50, 0x3fb8aa3b, v16
	v_fma_f32 v89, 0x3fb8aa3b, v16, -v50
	v_rndne_f32_e32 v90, v50
	s_delay_alu instid0(VALU_DEP_1) | instskip(SKIP_2) | instid1(VALU_DEP_3)
	v_dual_fmac_f32 v89, 0x32a5705f, v16 :: v_dual_sub_f32 v50, v50, v90
	v_cndmask_b32_e64 v18, 0, v18, s7
	v_cmp_nlt_f32_e64 s7, 0x42b17218, v2
	v_add_f32_e32 v50, v50, v89
	v_cvt_i32_f32_e32 v89, v90
	s_delay_alu instid0(VALU_DEP_3) | instskip(SKIP_1) | instid1(VALU_DEP_4)
	v_cndmask_b32_e64 v2, 0x7f800000, v18, s7
	v_cmp_ngt_f32_e64 s7, 0xc2ce8ed0, v16
	v_exp_f32_e32 v50, v50
	s_delay_alu instid0(VALU_DEP_2) | instskip(NEXT) | instid1(TRANS32_DEP_1)
	v_cndmask_b32_e32 v18, 0, v2, vcc_lo
	v_ldexp_f32 v50, v50, v89
	s_delay_alu instid0(VALU_DEP_2) | instskip(NEXT) | instid1(VALU_DEP_2)
	v_add_f32_e32 v2, v17, v18
	v_cndmask_b32_e64 v50, 0, v50, s7
	v_cmp_nlt_f32_e64 s7, 0x42b17218, v16
	s_delay_alu instid0(VALU_DEP_1) | instskip(SKIP_2) | instid1(VALU_DEP_3)
	v_cndmask_b32_e64 v16, 0x7f800000, v50, s7
	v_mul_f32_e32 v50, 0x3fb8aa3b, v3
	v_cmp_ngt_f32_e64 s7, 0xc2ce8ed0, v3
	v_fmac_f32_e32 v2, v34, v16
	v_cvt_f16_f32_e32 v16, v16
	s_delay_alu instid0(VALU_DEP_4) | instskip(NEXT) | instid1(VALU_DEP_2)
	v_rndne_f32_e32 v89, v50
	v_and_b32_e32 v16, 0xffff, v16
	s_delay_alu instid0(VALU_DEP_1) | instskip(NEXT) | instid1(VALU_DEP_1)
	v_mul_u32_u24_e32 v16, 0x10001, v16
	v_pk_mul_f16 v34, v188, v16
	v_sub_f32_e32 v16, v51, v67
	v_fma_f32 v51, 0x3fb8aa3b, v3, -v50
	s_delay_alu instid0(VALU_DEP_1) | instskip(NEXT) | instid1(VALU_DEP_1)
	v_dual_sub_f32 v50, v50, v89 :: v_dual_fmac_f32 v51, 0x32a5705f, v3
	v_add_f32_e32 v50, v50, v51
	v_cvt_i32_f32_e32 v51, v89
	s_delay_alu instid0(VALU_DEP_2) | instskip(SKIP_1) | instid1(TRANS32_DEP_1)
	v_exp_f32_e32 v50, v50
	v_nop
	v_ldexp_f32 v50, v50, v51
	s_delay_alu instid0(VALU_DEP_1) | instskip(SKIP_1) | instid1(VALU_DEP_1)
	v_cndmask_b32_e64 v50, 0, v50, s7
	v_cmp_nlt_f32_e64 s7, 0x42b17218, v3
	v_cndmask_b32_e64 v3, 0x7f800000, v50, s7
	s_delay_alu instid0(VALU_DEP_1) | instskip(SKIP_1) | instid1(VALU_DEP_1)
	v_cndmask_b32_e64 v50, 0, v3, s6
	v_sub_f32_e32 v3, v19, v67
	v_mul_f32_e32 v19, 0x3fb8aa3b, v3
	v_cmp_ngt_f32_e64 s7, 0xc2ce8ed0, v3
	s_delay_alu instid0(VALU_DEP_2) | instskip(SKIP_1) | instid1(VALU_DEP_2)
	v_fma_f32 v51, 0x3fb8aa3b, v3, -v19
	v_rndne_f32_e32 v89, v19
	v_fmac_f32_e32 v51, 0x32a5705f, v3
	s_delay_alu instid0(VALU_DEP_2) | instskip(NEXT) | instid1(VALU_DEP_1)
	v_sub_f32_e32 v19, v19, v89
	v_add_f32_e32 v19, v19, v51
	v_cvt_i32_f32_e32 v51, v89
	s_delay_alu instid0(VALU_DEP_2) | instskip(SKIP_1) | instid1(TRANS32_DEP_1)
	v_exp_f32_e32 v19, v19
	v_nop
	v_ldexp_f32 v19, v19, v51
	v_mul_f32_e32 v51, 0x3fb8aa3b, v16
	s_delay_alu instid0(VALU_DEP_1) | instskip(NEXT) | instid1(VALU_DEP_3)
	v_rndne_f32_e32 v90, v51
	v_cndmask_b32_e64 v19, 0, v19, s7
	v_cmp_nlt_f32_e64 s7, 0x42b17218, v3
	v_fma_f32 v89, 0x3fb8aa3b, v16, -v51
	s_delay_alu instid0(VALU_DEP_4) | instskip(NEXT) | instid1(VALU_DEP_3)
	v_sub_f32_e32 v51, v51, v90
	v_cndmask_b32_e64 v3, 0x7f800000, v19, s7
	s_delay_alu instid0(VALU_DEP_3) | instskip(SKIP_1) | instid1(VALU_DEP_2)
	v_fmac_f32_e32 v89, 0x32a5705f, v16
	v_cmp_ngt_f32_e64 s7, 0xc2ce8ed0, v16
	v_dual_cndmask_b32 v19, 0, v3, vcc_lo :: v_dual_add_f32 v51, v51, v89
	v_cvt_i32_f32_e32 v89, v90
	s_delay_alu instid0(VALU_DEP_2) | instskip(NEXT) | instid1(VALU_DEP_3)
	v_add_f32_e32 v3, v50, v19
	v_exp_f32_e32 v51, v51
	v_nop
	s_delay_alu instid0(TRANS32_DEP_1) | instskip(NEXT) | instid1(VALU_DEP_1)
	v_ldexp_f32 v51, v51, v89
	v_cndmask_b32_e64 v51, 0, v51, s7
	v_cmp_nlt_f32_e64 s7, 0x42b17218, v16
	s_delay_alu instid0(VALU_DEP_1) | instskip(SKIP_1) | instid1(VALU_DEP_2)
	v_cndmask_b32_e64 v16, 0x7f800000, v51, s7
	v_mul_f32_e32 v51, 0x3fb8aa3b, v4
	v_fmac_f32_e32 v3, v35, v16
	v_cvt_f16_f32_e32 v16, v16
	s_delay_alu instid0(VALU_DEP_3) | instskip(NEXT) | instid1(VALU_DEP_2)
	v_rndne_f32_e32 v89, v51
	v_and_b32_e32 v16, 0xffff, v16
	s_delay_alu instid0(VALU_DEP_1) | instskip(NEXT) | instid1(VALU_DEP_1)
	v_mul_u32_u24_e32 v16, 0x10001, v16
	v_pk_mul_f16 v35, v176, v16
	v_sub_f32_e32 v16, v52, v68
	v_fma_f32 v52, 0x3fb8aa3b, v4, -v51
	v_sub_f32_e32 v51, v51, v89
	v_cmp_ngt_f32_e64 s7, 0xc2ce8ed0, v4
	s_delay_alu instid0(VALU_DEP_3) | instskip(NEXT) | instid1(VALU_DEP_1)
	v_fmac_f32_e32 v52, 0x32a5705f, v4
	v_add_f32_e32 v51, v51, v52
	v_cvt_i32_f32_e32 v52, v89
	s_delay_alu instid0(VALU_DEP_2) | instskip(SKIP_1) | instid1(TRANS32_DEP_1)
	v_exp_f32_e32 v51, v51
	v_nop
	v_ldexp_f32 v51, v51, v52
	s_delay_alu instid0(VALU_DEP_1) | instskip(SKIP_1) | instid1(VALU_DEP_1)
	v_cndmask_b32_e64 v51, 0, v51, s7
	v_cmp_nlt_f32_e64 s7, 0x42b17218, v4
	v_cndmask_b32_e64 v4, 0x7f800000, v51, s7
	s_delay_alu instid0(VALU_DEP_1) | instskip(SKIP_1) | instid1(VALU_DEP_1)
	v_cndmask_b32_e64 v51, 0, v4, s6
	v_sub_f32_e32 v4, v20, v68
	v_mul_f32_e32 v20, 0x3fb8aa3b, v4
	v_cmp_ngt_f32_e64 s7, 0xc2ce8ed0, v4
	s_delay_alu instid0(VALU_DEP_2) | instskip(SKIP_1) | instid1(VALU_DEP_2)
	v_fma_f32 v52, 0x3fb8aa3b, v4, -v20
	v_rndne_f32_e32 v89, v20
	v_fmac_f32_e32 v52, 0x32a5705f, v4
	s_delay_alu instid0(VALU_DEP_2) | instskip(NEXT) | instid1(VALU_DEP_1)
	v_sub_f32_e32 v20, v20, v89
	v_add_f32_e32 v20, v20, v52
	v_cvt_i32_f32_e32 v52, v89
	s_delay_alu instid0(VALU_DEP_2) | instskip(SKIP_1) | instid1(TRANS32_DEP_1)
	v_exp_f32_e32 v20, v20
	v_nop
	v_ldexp_f32 v20, v20, v52
	v_mul_f32_e32 v52, 0x3fb8aa3b, v16
	s_delay_alu instid0(VALU_DEP_1) | instskip(SKIP_1) | instid1(VALU_DEP_1)
	v_fma_f32 v89, 0x3fb8aa3b, v16, -v52
	v_rndne_f32_e32 v90, v52
	v_dual_fmac_f32 v89, 0x32a5705f, v16 :: v_dual_sub_f32 v52, v52, v90
	v_cndmask_b32_e64 v20, 0, v20, s7
	v_cmp_nlt_f32_e64 s7, 0x42b17218, v4
	s_delay_alu instid0(VALU_DEP_3) | instskip(SKIP_1) | instid1(VALU_DEP_3)
	v_add_f32_e32 v52, v52, v89
	v_cvt_i32_f32_e32 v89, v90
	v_cndmask_b32_e64 v4, 0x7f800000, v20, s7
	v_cmp_ngt_f32_e64 s7, 0xc2ce8ed0, v16
	s_delay_alu instid0(VALU_DEP_4) | instskip(NEXT) | instid1(VALU_DEP_2)
	v_exp_f32_e32 v52, v52
	v_cndmask_b32_e32 v20, 0, v4, vcc_lo
	s_delay_alu instid0(TRANS32_DEP_1) | instskip(NEXT) | instid1(VALU_DEP_2)
	v_ldexp_f32 v52, v52, v89
	v_add_f32_e32 v4, v51, v20
	s_delay_alu instid0(VALU_DEP_2) | instskip(SKIP_1) | instid1(VALU_DEP_1)
	v_cndmask_b32_e64 v52, 0, v52, s7
	v_cmp_nlt_f32_e64 s7, 0x42b17218, v16
	v_cndmask_b32_e64 v16, 0x7f800000, v52, s7
	v_mul_f32_e32 v52, 0x3fb8aa3b, v5
	v_cmp_ngt_f32_e64 s7, 0xc2ce8ed0, v5
	s_delay_alu instid0(VALU_DEP_3) | instskip(SKIP_1) | instid1(VALU_DEP_4)
	v_fmac_f32_e32 v4, v36, v16
	v_cvt_f16_f32_e32 v16, v16
	v_rndne_f32_e32 v89, v52
	s_delay_alu instid0(VALU_DEP_2) | instskip(NEXT) | instid1(VALU_DEP_1)
	v_and_b32_e32 v16, 0xffff, v16
	v_mul_u32_u24_e32 v16, 0x10001, v16
	s_delay_alu instid0(VALU_DEP_1) | instskip(SKIP_3) | instid1(VALU_DEP_2)
	v_pk_mul_f16 v36, v172, v16
	v_sub_f32_e32 v16, v53, v69
	v_fma_f32 v53, 0x3fb8aa3b, v5, -v52
	v_sub_f32_e32 v52, v52, v89
	v_fmac_f32_e32 v53, 0x32a5705f, v5
	s_delay_alu instid0(VALU_DEP_1) | instskip(SKIP_1) | instid1(VALU_DEP_2)
	v_add_f32_e32 v52, v52, v53
	v_cvt_i32_f32_e32 v53, v89
	v_exp_f32_e32 v52, v52
	v_nop
	s_delay_alu instid0(TRANS32_DEP_1) | instskip(NEXT) | instid1(VALU_DEP_1)
	v_ldexp_f32 v52, v52, v53
	v_cndmask_b32_e64 v52, 0, v52, s7
	v_cmp_nlt_f32_e64 s7, 0x42b17218, v5
	s_delay_alu instid0(VALU_DEP_1) | instskip(NEXT) | instid1(VALU_DEP_1)
	v_cndmask_b32_e64 v5, 0x7f800000, v52, s7
	v_cndmask_b32_e64 v52, 0, v5, s6
	v_sub_f32_e32 v5, v21, v69
	s_delay_alu instid0(VALU_DEP_1) | instskip(SKIP_1) | instid1(VALU_DEP_2)
	v_mul_f32_e32 v21, 0x3fb8aa3b, v5
	v_cmp_ngt_f32_e64 s7, 0xc2ce8ed0, v5
	v_fma_f32 v53, 0x3fb8aa3b, v5, -v21
	v_rndne_f32_e32 v89, v21
	s_delay_alu instid0(VALU_DEP_2) | instskip(NEXT) | instid1(VALU_DEP_2)
	v_fmac_f32_e32 v53, 0x32a5705f, v5
	v_sub_f32_e32 v21, v21, v89
	s_delay_alu instid0(VALU_DEP_1) | instskip(SKIP_1) | instid1(VALU_DEP_2)
	v_add_f32_e32 v21, v21, v53
	v_cvt_i32_f32_e32 v53, v89
	v_exp_f32_e32 v21, v21
	v_nop
	s_delay_alu instid0(TRANS32_DEP_1) | instskip(SKIP_1) | instid1(VALU_DEP_2)
	v_ldexp_f32 v21, v21, v53
	v_mul_f32_e32 v53, 0x3fb8aa3b, v16
	v_cndmask_b32_e64 v21, 0, v21, s7
	v_cmp_nlt_f32_e64 s7, 0x42b17218, v5
	s_delay_alu instid0(VALU_DEP_3) | instskip(SKIP_1) | instid1(VALU_DEP_3)
	v_fma_f32 v89, 0x3fb8aa3b, v16, -v53
	v_rndne_f32_e32 v90, v53
	v_cndmask_b32_e64 v5, 0x7f800000, v21, s7
	s_delay_alu instid0(VALU_DEP_3) | instskip(NEXT) | instid1(VALU_DEP_3)
	v_fmac_f32_e32 v89, 0x32a5705f, v16
	v_sub_f32_e32 v53, v53, v90
	v_cmp_ngt_f32_e64 s7, 0xc2ce8ed0, v16
	s_delay_alu instid0(VALU_DEP_4) | instskip(NEXT) | instid1(VALU_DEP_3)
	v_cndmask_b32_e32 v21, 0, v5, vcc_lo
	v_add_f32_e32 v53, v53, v89
	v_cvt_i32_f32_e32 v89, v90
	s_delay_alu instid0(VALU_DEP_3) | instskip(SKIP_1) | instid1(VALU_DEP_4)
	v_add_f32_e32 v5, v52, v21
	v_cvt_pk_f16_f32 v52, v51, v52
	v_exp_f32_e32 v53, v53
	v_cvt_pk_f16_f32 v51, v17, v50
	v_cvt_pk_f16_f32 v50, v48, v49
	v_lshl_add_u32 v17, v86, 4, v183
	s_delay_alu instid0(TRANS32_DEP_1) | instskip(NEXT) | instid1(VALU_DEP_1)
	v_ldexp_f32 v53, v53, v89
	v_cndmask_b32_e64 v53, 0, v53, s7
	v_cmp_nlt_f32_e64 s7, 0x42b17218, v16
	s_delay_alu instid0(VALU_DEP_1) | instskip(SKIP_2) | instid1(VALU_DEP_3)
	v_cndmask_b32_e64 v16, 0x7f800000, v53, s7
	v_mul_f32_e32 v53, 0x3fb8aa3b, v6
	v_cmp_ngt_f32_e64 s7, 0xc2ce8ed0, v6
	v_fmac_f32_e32 v5, v37, v16
	v_cvt_f16_f32_e32 v16, v16
	s_delay_alu instid0(VALU_DEP_4) | instskip(NEXT) | instid1(VALU_DEP_2)
	v_rndne_f32_e32 v89, v53
	v_and_b32_e32 v16, 0xffff, v16
	s_delay_alu instid0(VALU_DEP_1) | instskip(NEXT) | instid1(VALU_DEP_1)
	v_mul_u32_u24_e32 v16, 0x10001, v16
	v_pk_mul_f16 v37, v186, v16
	v_sub_f32_e32 v16, v54, v70
	v_fma_f32 v54, 0x3fb8aa3b, v6, -v53
	s_delay_alu instid0(VALU_DEP_1) | instskip(NEXT) | instid1(VALU_DEP_1)
	v_dual_sub_f32 v53, v53, v89 :: v_dual_fmac_f32 v54, 0x32a5705f, v6
	v_add_f32_e32 v53, v53, v54
	v_cvt_i32_f32_e32 v54, v89
	s_delay_alu instid0(VALU_DEP_2) | instskip(SKIP_1) | instid1(TRANS32_DEP_1)
	v_exp_f32_e32 v53, v53
	v_nop
	v_ldexp_f32 v53, v53, v54
	s_delay_alu instid0(VALU_DEP_1) | instskip(SKIP_1) | instid1(VALU_DEP_1)
	v_cndmask_b32_e64 v53, 0, v53, s7
	v_cmp_nlt_f32_e64 s7, 0x42b17218, v6
	v_cndmask_b32_e64 v6, 0x7f800000, v53, s7
	s_delay_alu instid0(VALU_DEP_1) | instskip(SKIP_1) | instid1(VALU_DEP_1)
	v_cndmask_b32_e64 v53, 0, v6, s6
	v_sub_f32_e32 v6, v22, v70
	v_mul_f32_e32 v22, 0x3fb8aa3b, v6
	v_cmp_ngt_f32_e64 s7, 0xc2ce8ed0, v6
	s_delay_alu instid0(VALU_DEP_2) | instskip(SKIP_1) | instid1(VALU_DEP_2)
	v_fma_f32 v54, 0x3fb8aa3b, v6, -v22
	v_rndne_f32_e32 v89, v22
	v_fmac_f32_e32 v54, 0x32a5705f, v6
	s_delay_alu instid0(VALU_DEP_2) | instskip(NEXT) | instid1(VALU_DEP_1)
	v_sub_f32_e32 v22, v22, v89
	v_add_f32_e32 v22, v22, v54
	v_cvt_i32_f32_e32 v54, v89
	s_delay_alu instid0(VALU_DEP_2) | instskip(SKIP_1) | instid1(TRANS32_DEP_1)
	v_exp_f32_e32 v22, v22
	v_nop
	v_ldexp_f32 v22, v22, v54
	v_mul_f32_e32 v54, 0x3fb8aa3b, v16
	s_delay_alu instid0(VALU_DEP_1) | instskip(SKIP_1) | instid1(VALU_DEP_1)
	v_fma_f32 v89, 0x3fb8aa3b, v16, -v54
	v_rndne_f32_e32 v90, v54
	v_dual_fmac_f32 v89, 0x32a5705f, v16 :: v_dual_sub_f32 v54, v54, v90
	v_cndmask_b32_e64 v22, 0, v22, s7
	v_cmp_nlt_f32_e64 s7, 0x42b17218, v6
	s_delay_alu instid0(VALU_DEP_3) | instskip(SKIP_1) | instid1(VALU_DEP_3)
	v_add_f32_e32 v54, v54, v89
	v_cvt_i32_f32_e32 v89, v90
	v_cndmask_b32_e64 v6, 0x7f800000, v22, s7
	v_cmp_ngt_f32_e64 s7, 0xc2ce8ed0, v16
	s_delay_alu instid0(VALU_DEP_4) | instskip(NEXT) | instid1(VALU_DEP_2)
	v_exp_f32_e32 v54, v54
	v_cndmask_b32_e32 v22, 0, v6, vcc_lo
	s_delay_alu instid0(TRANS32_DEP_1) | instskip(NEXT) | instid1(VALU_DEP_2)
	v_ldexp_f32 v54, v54, v89
	v_add_f32_e32 v6, v53, v22
	s_delay_alu instid0(VALU_DEP_2) | instskip(SKIP_1) | instid1(VALU_DEP_1)
	v_cndmask_b32_e64 v54, 0, v54, s7
	v_cmp_nlt_f32_e64 s7, 0x42b17218, v16
	v_cndmask_b32_e64 v16, 0x7f800000, v54, s7
	v_mul_f32_e32 v54, 0x3fb8aa3b, v7
	v_cmp_ngt_f32_e64 s7, 0xc2ce8ed0, v7
	s_delay_alu instid0(VALU_DEP_3) | instskip(SKIP_1) | instid1(VALU_DEP_4)
	v_fmac_f32_e32 v6, v38, v16
	v_cvt_f16_f32_e32 v16, v16
	v_rndne_f32_e32 v89, v54
	s_delay_alu instid0(VALU_DEP_2) | instskip(NEXT) | instid1(VALU_DEP_1)
	v_and_b32_e32 v16, 0xffff, v16
	v_mul_u32_u24_e32 v16, 0x10001, v16
	s_delay_alu instid0(VALU_DEP_1) | instskip(SKIP_2) | instid1(VALU_DEP_1)
	v_pk_mul_f16 v38, v180, v16
	v_sub_f32_e32 v16, v55, v71
	v_fma_f32 v55, 0x3fb8aa3b, v7, -v54
	v_dual_sub_f32 v54, v54, v89 :: v_dual_fmac_f32 v55, 0x32a5705f, v7
	s_delay_alu instid0(VALU_DEP_1) | instskip(SKIP_1) | instid1(VALU_DEP_2)
	v_add_f32_e32 v54, v54, v55
	v_cvt_i32_f32_e32 v55, v89
	v_exp_f32_e32 v54, v54
	v_nop
	s_delay_alu instid0(TRANS32_DEP_1) | instskip(NEXT) | instid1(VALU_DEP_1)
	v_ldexp_f32 v54, v54, v55
	v_cndmask_b32_e64 v54, 0, v54, s7
	v_cmp_nlt_f32_e64 s7, 0x42b17218, v7
	s_delay_alu instid0(VALU_DEP_1) | instskip(NEXT) | instid1(VALU_DEP_1)
	v_cndmask_b32_e64 v7, 0x7f800000, v54, s7
	v_cndmask_b32_e64 v54, 0, v7, s6
	v_sub_f32_e32 v7, v23, v71
	s_delay_alu instid0(VALU_DEP_1) | instskip(SKIP_1) | instid1(VALU_DEP_2)
	v_mul_f32_e32 v23, 0x3fb8aa3b, v7
	v_cmp_ngt_f32_e64 s7, 0xc2ce8ed0, v7
	v_fma_f32 v55, 0x3fb8aa3b, v7, -v23
	v_rndne_f32_e32 v89, v23
	s_delay_alu instid0(VALU_DEP_2) | instskip(NEXT) | instid1(VALU_DEP_2)
	v_fmac_f32_e32 v55, 0x32a5705f, v7
	v_sub_f32_e32 v23, v23, v89
	s_delay_alu instid0(VALU_DEP_1) | instskip(SKIP_1) | instid1(VALU_DEP_2)
	v_add_f32_e32 v23, v23, v55
	v_cvt_i32_f32_e32 v55, v89
	v_exp_f32_e32 v23, v23
	v_nop
	s_delay_alu instid0(TRANS32_DEP_1) | instskip(SKIP_1) | instid1(VALU_DEP_1)
	v_ldexp_f32 v23, v23, v55
	v_mul_f32_e32 v55, 0x3fb8aa3b, v16
	v_rndne_f32_e32 v90, v55
	s_delay_alu instid0(VALU_DEP_3) | instskip(SKIP_2) | instid1(VALU_DEP_4)
	v_cndmask_b32_e64 v23, 0, v23, s7
	v_cmp_nlt_f32_e64 s7, 0x42b17218, v7
	v_fma_f32 v89, 0x3fb8aa3b, v16, -v55
	v_sub_f32_e32 v55, v55, v90
	s_delay_alu instid0(VALU_DEP_3) | instskip(NEXT) | instid1(VALU_DEP_3)
	v_cndmask_b32_e64 v7, 0x7f800000, v23, s7
	v_fmac_f32_e32 v89, 0x32a5705f, v16
	v_cmp_ngt_f32_e64 s7, 0xc2ce8ed0, v16
	s_delay_alu instid0(VALU_DEP_2) | instskip(SKIP_2) | instid1(VALU_DEP_3)
	v_dual_cndmask_b32 v23, 0, v7, vcc_lo :: v_dual_add_f32 v55, v55, v89
	v_cvt_i32_f32_e32 v89, v90
	v_cvt_pk_f16_f32 v53, v53, v54
	v_add_f32_e32 v7, v54, v23
	s_delay_alu instid0(VALU_DEP_4)
	v_exp_f32_e32 v55, v55
	v_cvt_pk_f16_f32 v23, v22, v23
	v_cvt_pk_f16_f32 v22, v20, v21
	v_cvt_pk_f16_f32 v21, v18, v19
	v_cvt_pk_f16_f32 v20, v87, v88
	v_mul_f32_e32 v18, 0x3fb8aa3b, v8
	s_delay_alu instid0(TRANS32_DEP_1)
	v_ldexp_f32 v55, v55, v89
	ds_store_b128 v17, v[20:23]
	v_fma_f32 v19, 0x3fb8aa3b, v8, -v18
	v_rndne_f32_e32 v21, v18
	v_cndmask_b32_e64 v55, 0, v55, s7
	v_cmp_nlt_f32_e64 s7, 0x42b17218, v16
	v_sub_f32_e32 v20, v56, v72
	s_delay_alu instid0(VALU_DEP_4) | instskip(NEXT) | instid1(VALU_DEP_3)
	v_dual_fmac_f32 v19, 0x32a5705f, v8 :: v_dual_sub_f32 v18, v18, v21
	v_cndmask_b32_e64 v16, 0x7f800000, v55, s7
	v_cmp_ngt_f32_e64 s7, 0xc2ce8ed0, v8
	s_delay_alu instid0(VALU_DEP_3) | instskip(SKIP_1) | instid1(VALU_DEP_4)
	v_add_f32_e32 v18, v18, v19
	v_cvt_i32_f32_e32 v19, v21
	v_fmac_f32_e32 v7, v39, v16
	v_cvt_f16_f32_e32 v16, v16
	s_delay_alu instid0(VALU_DEP_4) | instskip(NEXT) | instid1(VALU_DEP_1)
	v_exp_f32_e32 v18, v18
	v_and_b32_e32 v16, 0xffff, v16
	s_delay_alu instid0(TRANS32_DEP_1) | instskip(NEXT) | instid1(VALU_DEP_2)
	v_ldexp_f32 v18, v18, v19
	v_mul_u32_u24_e32 v16, 0x10001, v16
	s_delay_alu instid0(VALU_DEP_2) | instskip(NEXT) | instid1(VALU_DEP_2)
	v_cndmask_b32_e64 v18, 0, v18, s7
	v_pk_mul_f16 v39, v175, v16
	v_lshl_add_u32 v16, v136, 4, v183
	v_cmp_nlt_f32_e64 s7, 0x42b17218, v8
	ds_store_b128 v16, v[50:53]
	v_cndmask_b32_e64 v8, 0x7f800000, v18, s7
	s_delay_alu instid0(VALU_DEP_1) | instskip(SKIP_1) | instid1(VALU_DEP_1)
	v_cndmask_b32_e64 v18, 0, v8, s6
	v_sub_f32_e32 v8, v24, v72
	v_mul_f32_e32 v19, 0x3fb8aa3b, v8
	s_delay_alu instid0(VALU_DEP_1) | instskip(SKIP_1) | instid1(VALU_DEP_1)
	v_fma_f32 v21, 0x3fb8aa3b, v8, -v19
	v_rndne_f32_e32 v22, v19
	v_sub_f32_e32 v19, v19, v22
	s_delay_alu instid0(VALU_DEP_3) | instskip(NEXT) | instid1(VALU_DEP_1)
	v_fmac_f32_e32 v21, 0x32a5705f, v8
	v_add_f32_e32 v19, v19, v21
	v_cvt_i32_f32_e32 v21, v22
	v_cmp_ngt_f32_e64 s7, 0xc2ce8ed0, v8
	s_delay_alu instid0(VALU_DEP_3) | instskip(SKIP_1) | instid1(TRANS32_DEP_1)
	v_exp_f32_e32 v19, v19
	v_nop
	v_ldexp_f32 v19, v19, v21
	v_mul_f32_e32 v21, 0x3fb8aa3b, v20
	s_delay_alu instid0(VALU_DEP_1) | instskip(SKIP_1) | instid1(VALU_DEP_1)
	v_fma_f32 v22, 0x3fb8aa3b, v20, -v21
	v_rndne_f32_e32 v23, v21
	v_dual_fmac_f32 v22, 0x32a5705f, v20 :: v_dual_sub_f32 v21, v21, v23
	v_cndmask_b32_e64 v19, 0, v19, s7
	v_cmp_nlt_f32_e64 s7, 0x42b17218, v8
	s_delay_alu instid0(VALU_DEP_3) | instskip(SKIP_1) | instid1(VALU_DEP_3)
	v_add_f32_e32 v21, v21, v22
	v_cvt_i32_f32_e32 v22, v23
	v_cndmask_b32_e64 v8, 0x7f800000, v19, s7
	v_cmp_ngt_f32_e64 s7, 0xc2ce8ed0, v20
	s_delay_alu instid0(VALU_DEP_4) | instskip(SKIP_1) | instid1(TRANS32_DEP_1)
	v_exp_f32_e32 v21, v21
	v_nop
	v_ldexp_f32 v21, v21, v22
	v_dual_cndmask_b32 v19, 0, v8 :: v_dual_sub_f32 v22, v57, v73
	s_delay_alu instid0(VALU_DEP_2) | instskip(SKIP_1) | instid1(VALU_DEP_3)
	v_cndmask_b32_e64 v21, 0, v21, s7
	v_cmp_nlt_f32_e64 s7, 0x42b17218, v20
	v_add_f32_e32 v8, v18, v19
	s_delay_alu instid0(VALU_DEP_2) | instskip(NEXT) | instid1(VALU_DEP_1)
	v_cndmask_b32_e64 v20, 0x7f800000, v21, s7
	v_fmac_f32_e32 v8, v40, v20
	v_cvt_f16_f32_e32 v20, v20
	s_delay_alu instid0(VALU_DEP_1) | instskip(NEXT) | instid1(VALU_DEP_1)
	v_and_b32_e32 v20, 0xffff, v20
	v_mul_u32_u24_e32 v20, 0x10001, v20
	s_delay_alu instid0(VALU_DEP_1) | instskip(SKIP_1) | instid1(VALU_DEP_1)
	v_pk_mul_f16 v40, v191, v20
	v_mul_f32_e32 v20, 0x3fb8aa3b, v9
	v_fma_f32 v21, 0x3fb8aa3b, v9, -v20
	v_rndne_f32_e32 v23, v20
	s_delay_alu instid0(VALU_DEP_1) | instskip(SKIP_1) | instid1(VALU_DEP_2)
	v_dual_sub_f32 v20, v20, v23 :: v_dual_fmac_f32 v21, 0x32a5705f, v9
	v_cmp_ngt_f32_e64 s7, 0xc2ce8ed0, v9
	v_add_f32_e32 v20, v20, v21
	v_cvt_i32_f32_e32 v21, v23
	s_delay_alu instid0(VALU_DEP_2) | instskip(SKIP_1) | instid1(TRANS32_DEP_1)
	v_exp_f32_e32 v20, v20
	v_nop
	v_ldexp_f32 v20, v20, v21
	s_delay_alu instid0(VALU_DEP_1) | instskip(SKIP_1) | instid1(VALU_DEP_1)
	v_cndmask_b32_e64 v20, 0, v20, s7
	v_cmp_nlt_f32_e64 s7, 0x42b17218, v9
	v_cndmask_b32_e64 v9, 0x7f800000, v20, s7
	s_delay_alu instid0(VALU_DEP_1) | instskip(SKIP_1) | instid1(VALU_DEP_1)
	v_cndmask_b32_e64 v20, 0, v9, s6
	v_sub_f32_e32 v9, v25, v73
	v_mul_f32_e32 v21, 0x3fb8aa3b, v9
	v_cmp_ngt_f32_e64 s7, 0xc2ce8ed0, v9
	s_delay_alu instid0(VALU_DEP_2) | instskip(SKIP_1) | instid1(VALU_DEP_2)
	v_fma_f32 v23, 0x3fb8aa3b, v9, -v21
	v_rndne_f32_e32 v24, v21
	v_fmac_f32_e32 v23, 0x32a5705f, v9
	s_delay_alu instid0(VALU_DEP_2) | instskip(NEXT) | instid1(VALU_DEP_1)
	v_sub_f32_e32 v21, v21, v24
	v_add_f32_e32 v21, v21, v23
	v_cvt_i32_f32_e32 v23, v24
	s_delay_alu instid0(VALU_DEP_2) | instskip(SKIP_1) | instid1(TRANS32_DEP_1)
	v_exp_f32_e32 v21, v21
	v_nop
	v_ldexp_f32 v21, v21, v23
	v_mul_f32_e32 v23, 0x3fb8aa3b, v22
	s_delay_alu instid0(VALU_DEP_1) | instskip(SKIP_1) | instid1(VALU_DEP_1)
	v_fma_f32 v24, 0x3fb8aa3b, v22, -v23
	v_rndne_f32_e32 v25, v23
	v_dual_fmac_f32 v24, 0x32a5705f, v22 :: v_dual_sub_f32 v23, v23, v25
	v_cndmask_b32_e64 v21, 0, v21, s7
	v_cmp_nlt_f32_e64 s7, 0x42b17218, v9
	s_delay_alu instid0(VALU_DEP_3) | instskip(SKIP_1) | instid1(VALU_DEP_3)
	v_add_f32_e32 v23, v23, v24
	v_cvt_i32_f32_e32 v24, v25
	v_cndmask_b32_e64 v9, 0x7f800000, v21, s7
	v_cmp_ngt_f32_e64 s7, 0xc2ce8ed0, v22
	s_delay_alu instid0(VALU_DEP_4) | instskip(SKIP_1) | instid1(TRANS32_DEP_1)
	v_exp_f32_e32 v23, v23
	v_nop
	v_ldexp_f32 v23, v23, v24
	v_dual_cndmask_b32 v21, 0, v9 :: v_dual_sub_f32 v24, v58, v74
	s_delay_alu instid0(VALU_DEP_2) | instskip(SKIP_1) | instid1(VALU_DEP_3)
	v_cndmask_b32_e64 v23, 0, v23, s7
	v_cmp_nlt_f32_e64 s7, 0x42b17218, v22
	v_add_f32_e32 v9, v20, v21
	s_delay_alu instid0(VALU_DEP_2) | instskip(SKIP_1) | instid1(VALU_DEP_2)
	v_cndmask_b32_e64 v22, 0x7f800000, v23, s7
	v_cmp_ngt_f32_e64 s7, 0xc2ce8ed0, v10
	v_fmac_f32_e32 v9, v41, v22
	v_cvt_f16_f32_e32 v22, v22
	s_delay_alu instid0(VALU_DEP_1) | instskip(NEXT) | instid1(VALU_DEP_1)
	v_and_b32_e32 v22, 0xffff, v22
	v_mul_u32_u24_e32 v22, 0x10001, v22
	s_delay_alu instid0(VALU_DEP_1) | instskip(SKIP_1) | instid1(VALU_DEP_1)
	v_pk_mul_f16 v41, v190, v22
	v_mul_f32_e32 v22, 0x3fb8aa3b, v10
	v_fma_f32 v23, 0x3fb8aa3b, v10, -v22
	v_rndne_f32_e32 v25, v22
	s_delay_alu instid0(VALU_DEP_1) | instskip(NEXT) | instid1(VALU_DEP_1)
	v_dual_fmac_f32 v23, 0x32a5705f, v10 :: v_dual_sub_f32 v22, v22, v25
	v_add_f32_e32 v22, v22, v23
	v_cvt_i32_f32_e32 v23, v25
	s_delay_alu instid0(VALU_DEP_2) | instskip(SKIP_1) | instid1(TRANS32_DEP_1)
	v_exp_f32_e32 v22, v22
	v_nop
	v_ldexp_f32 v22, v22, v23
	s_delay_alu instid0(VALU_DEP_1) | instskip(SKIP_1) | instid1(VALU_DEP_1)
	v_cndmask_b32_e64 v22, 0, v22, s7
	v_cmp_nlt_f32_e64 s7, 0x42b17218, v10
	v_cndmask_b32_e64 v10, 0x7f800000, v22, s7
	s_delay_alu instid0(VALU_DEP_1) | instskip(SKIP_1) | instid1(VALU_DEP_1)
	v_cndmask_b32_e64 v22, 0, v10, s6
	v_sub_f32_e32 v10, v26, v74
	v_mul_f32_e32 v23, 0x3fb8aa3b, v10
	s_delay_alu instid0(VALU_DEP_1) | instskip(SKIP_1) | instid1(VALU_DEP_2)
	v_fma_f32 v25, 0x3fb8aa3b, v10, -v23
	v_rndne_f32_e32 v26, v23
	v_fmac_f32_e32 v25, 0x32a5705f, v10
	s_delay_alu instid0(VALU_DEP_2) | instskip(NEXT) | instid1(VALU_DEP_1)
	v_sub_f32_e32 v23, v23, v26
	v_add_f32_e32 v23, v23, v25
	v_cvt_i32_f32_e32 v25, v26
	s_delay_alu instid0(VALU_DEP_2) | instskip(SKIP_1) | instid1(TRANS32_DEP_1)
	v_exp_f32_e32 v23, v23
	v_nop
	v_ldexp_f32 v23, v23, v25
	v_mul_f32_e32 v25, 0x3fb8aa3b, v24
	v_cmp_ngt_f32_e64 s7, 0xc2ce8ed0, v10
	s_delay_alu instid0(VALU_DEP_2) | instskip(SKIP_1) | instid1(VALU_DEP_3)
	v_fma_f32 v26, 0x3fb8aa3b, v24, -v25
	v_rndne_f32_e32 v48, v25
	v_cndmask_b32_e64 v23, 0, v23, s7
	v_cmp_nlt_f32_e64 s7, 0x42b17218, v10
	s_delay_alu instid0(VALU_DEP_4) | instskip(NEXT) | instid1(VALU_DEP_4)
	v_fmac_f32_e32 v26, 0x32a5705f, v24
	v_sub_f32_e32 v25, v25, v48
	s_delay_alu instid0(VALU_DEP_3) | instskip(SKIP_1) | instid1(VALU_DEP_3)
	v_cndmask_b32_e64 v10, 0x7f800000, v23, s7
	v_cmp_ngt_f32_e64 s7, 0xc2ce8ed0, v24
	v_add_f32_e32 v25, v25, v26
	v_cvt_i32_f32_e32 v26, v48
	s_delay_alu instid0(VALU_DEP_2) | instskip(SKIP_1) | instid1(TRANS32_DEP_1)
	v_exp_f32_e32 v25, v25
	v_nop
	v_ldexp_f32 v25, v25, v26
	s_delay_alu instid0(VALU_DEP_1) | instskip(SKIP_1) | instid1(VALU_DEP_2)
	v_dual_cndmask_b32 v23, 0, v10, vcc_lo :: v_dual_cndmask_b32 v25, 0, v25, s7
	v_cmp_nlt_f32_e64 s7, 0x42b17218, v24
	v_add_f32_e32 v10, v22, v23
	s_delay_alu instid0(VALU_DEP_2) | instskip(SKIP_1) | instid1(VALU_DEP_2)
	v_cndmask_b32_e64 v24, 0x7f800000, v25, s7
	v_cmp_ngt_f32_e64 s7, 0xc2ce8ed0, v11
	v_fmac_f32_e32 v10, v42, v24
	v_cvt_f16_f32_e32 v24, v24
	s_delay_alu instid0(VALU_DEP_1) | instskip(NEXT) | instid1(VALU_DEP_1)
	v_and_b32_e32 v24, 0xffff, v24
	v_mul_u32_u24_e32 v24, 0x10001, v24
	s_delay_alu instid0(VALU_DEP_1) | instskip(SKIP_1) | instid1(VALU_DEP_1)
	v_pk_mul_f16 v26, v189, v24
	v_mul_f32_e32 v24, 0x3fb8aa3b, v11
	v_fma_f32 v25, 0x3fb8aa3b, v11, -v24
	v_rndne_f32_e32 v48, v24
	s_delay_alu instid0(VALU_DEP_1) | instskip(NEXT) | instid1(VALU_DEP_1)
	v_dual_fmac_f32 v25, 0x32a5705f, v11 :: v_dual_sub_f32 v24, v24, v48
	v_dual_sub_f32 v42, v59, v75 :: v_dual_add_f32 v24, v24, v25
	v_cvt_i32_f32_e32 v25, v48
	s_delay_alu instid0(VALU_DEP_2) | instskip(SKIP_1) | instid1(TRANS32_DEP_1)
	v_exp_f32_e32 v24, v24
	v_nop
	v_ldexp_f32 v24, v24, v25
	s_delay_alu instid0(VALU_DEP_1) | instskip(SKIP_1) | instid1(VALU_DEP_1)
	v_cndmask_b32_e64 v24, 0, v24, s7
	v_cmp_nlt_f32_e64 s7, 0x42b17218, v11
	v_cndmask_b32_e64 v11, 0x7f800000, v24, s7
	s_delay_alu instid0(VALU_DEP_1) | instskip(SKIP_1) | instid1(VALU_DEP_1)
	v_cndmask_b32_e64 v24, 0, v11, s6
	v_sub_f32_e32 v11, v27, v75
	v_mul_f32_e32 v25, 0x3fb8aa3b, v11
	v_cmp_ngt_f32_e64 s7, 0xc2ce8ed0, v11
	s_delay_alu instid0(VALU_DEP_2) | instskip(SKIP_1) | instid1(VALU_DEP_2)
	v_fma_f32 v27, 0x3fb8aa3b, v11, -v25
	v_rndne_f32_e32 v48, v25
	v_fmac_f32_e32 v27, 0x32a5705f, v11
	s_delay_alu instid0(VALU_DEP_2) | instskip(NEXT) | instid1(VALU_DEP_1)
	v_sub_f32_e32 v25, v25, v48
	v_add_f32_e32 v25, v25, v27
	v_cvt_i32_f32_e32 v27, v48
	s_delay_alu instid0(VALU_DEP_2) | instskip(SKIP_1) | instid1(TRANS32_DEP_1)
	v_exp_f32_e32 v25, v25
	v_nop
	v_ldexp_f32 v25, v25, v27
	v_mul_f32_e32 v27, 0x3fb8aa3b, v42
	s_delay_alu instid0(VALU_DEP_2) | instskip(SKIP_1) | instid1(VALU_DEP_3)
	v_cndmask_b32_e64 v25, 0, v25, s7
	v_cmp_nlt_f32_e64 s7, 0x42b17218, v11
	v_fma_f32 v48, 0x3fb8aa3b, v42, -v27
	v_rndne_f32_e32 v49, v27
	s_delay_alu instid0(VALU_DEP_3) | instskip(NEXT) | instid1(VALU_DEP_2)
	v_cndmask_b32_e64 v11, 0x7f800000, v25, s7
	v_dual_fmac_f32 v48, 0x32a5705f, v42 :: v_dual_sub_f32 v27, v27, v49
	v_cmp_ngt_f32_e64 s7, 0xc2ce8ed0, v42
	s_delay_alu instid0(VALU_DEP_2) | instskip(SKIP_1) | instid1(VALU_DEP_2)
	v_dual_cndmask_b32 v25, 0, v11, vcc_lo :: v_dual_add_f32 v27, v27, v48
	v_cvt_i32_f32_e32 v48, v49
	v_exp_f32_e32 v27, v27
	v_nop
	s_delay_alu instid0(TRANS32_DEP_1) | instskip(SKIP_1) | instid1(VALU_DEP_2)
	v_ldexp_f32 v27, v27, v48
	v_add_f32_e32 v11, v24, v25
	v_dual_sub_f32 v48, v60, v76 :: v_dual_cndmask_b32 v27, 0, v27, s7
	v_cmp_nlt_f32_e64 s7, 0x42b17218, v42
	v_mul_f32_e32 v42, 0x3fb8aa3b, v12
	s_delay_alu instid0(VALU_DEP_2) | instskip(NEXT) | instid1(VALU_DEP_2)
	v_cndmask_b32_e64 v27, 0x7f800000, v27, s7
	v_rndne_f32_e32 v49, v42
	v_cmp_ngt_f32_e64 s7, 0xc2ce8ed0, v12
	s_delay_alu instid0(VALU_DEP_3) | instskip(SKIP_1) | instid1(VALU_DEP_4)
	v_fmac_f32_e32 v11, v43, v27
	v_fma_f32 v43, 0x3fb8aa3b, v12, -v42
	v_sub_f32_e32 v42, v42, v49
	v_cvt_f16_f32_e32 v27, v27
	s_delay_alu instid0(VALU_DEP_3) | instskip(NEXT) | instid1(VALU_DEP_2)
	v_fmac_f32_e32 v43, 0x32a5705f, v12
	v_and_b32_e32 v27, 0xffff, v27
	s_delay_alu instid0(VALU_DEP_2) | instskip(SKIP_1) | instid1(VALU_DEP_3)
	v_add_f32_e32 v42, v42, v43
	v_cvt_i32_f32_e32 v43, v49
	v_mul_u32_u24_e32 v27, 0x10001, v27
	s_delay_alu instid0(VALU_DEP_3) | instskip(NEXT) | instid1(VALU_DEP_1)
	v_exp_f32_e32 v42, v42
	v_pk_mul_f16 v27, v185, v27
	s_delay_alu instid0(TRANS32_DEP_1) | instskip(NEXT) | instid1(VALU_DEP_1)
	v_ldexp_f32 v42, v42, v43
	v_cndmask_b32_e64 v42, 0, v42, s7
	v_cmp_nlt_f32_e64 s7, 0x42b17218, v12
	s_delay_alu instid0(VALU_DEP_1) | instskip(NEXT) | instid1(VALU_DEP_1)
	v_cndmask_b32_e64 v12, 0x7f800000, v42, s7
	v_cndmask_b32_e64 v42, 0, v12, s6
	v_sub_f32_e32 v12, v28, v76
	s_delay_alu instid0(VALU_DEP_1) | instskip(SKIP_1) | instid1(VALU_DEP_2)
	v_mul_f32_e32 v28, 0x3fb8aa3b, v12
	v_cmp_ngt_f32_e64 s7, 0xc2ce8ed0, v12
	v_fma_f32 v43, 0x3fb8aa3b, v12, -v28
	v_rndne_f32_e32 v49, v28
	s_delay_alu instid0(VALU_DEP_1) | instskip(NEXT) | instid1(VALU_DEP_1)
	v_dual_fmac_f32 v43, 0x32a5705f, v12 :: v_dual_sub_f32 v28, v28, v49
	v_add_f32_e32 v28, v28, v43
	v_cvt_i32_f32_e32 v43, v49
	s_delay_alu instid0(VALU_DEP_2) | instskip(SKIP_1) | instid1(TRANS32_DEP_1)
	v_exp_f32_e32 v28, v28
	v_nop
	v_ldexp_f32 v28, v28, v43
	s_delay_alu instid0(VALU_DEP_1) | instskip(SKIP_1) | instid1(VALU_DEP_1)
	v_cndmask_b32_e64 v28, 0, v28, s7
	v_cmp_nlt_f32_e64 s7, 0x42b17218, v12
	v_cndmask_b32_e64 v12, 0x7f800000, v28, s7
	v_mul_f32_e32 v28, 0x3fb8aa3b, v48
	v_cmp_ngt_f32_e64 s7, 0xc2ce8ed0, v48
	s_delay_alu instid0(VALU_DEP_3) | instskip(NEXT) | instid1(VALU_DEP_3)
	v_cndmask_b32_e32 v43, 0, v12, vcc_lo
	v_fma_f32 v49, 0x3fb8aa3b, v48, -v28
	v_rndne_f32_e32 v50, v28
	s_delay_alu instid0(VALU_DEP_2) | instskip(NEXT) | instid1(VALU_DEP_2)
	v_dual_add_f32 v12, v42, v43 :: v_dual_fmac_f32 v49, 0x32a5705f, v48
	v_sub_f32_e32 v28, v28, v50
	s_delay_alu instid0(VALU_DEP_1) | instskip(SKIP_1) | instid1(VALU_DEP_2)
	v_add_f32_e32 v28, v28, v49
	v_cvt_i32_f32_e32 v49, v50
	v_exp_f32_e32 v28, v28
	v_nop
	s_delay_alu instid0(TRANS32_DEP_1) | instskip(NEXT) | instid1(VALU_DEP_1)
	v_ldexp_f32 v28, v28, v49
	v_dual_sub_f32 v49, v61, v77 :: v_dual_cndmask_b32 v28, 0, v28, s7
	v_cmp_nlt_f32_e64 s7, 0x42b17218, v48
	s_delay_alu instid0(VALU_DEP_1) | instskip(NEXT) | instid1(VALU_DEP_1)
	v_cndmask_b32_e64 v28, 0x7f800000, v28, s7
	v_fmac_f32_e32 v12, v44, v28
	v_mul_f32_e32 v44, 0x3fb8aa3b, v13
	v_cvt_f16_f32_e32 v28, v28
	s_delay_alu instid0(VALU_DEP_2) | instskip(SKIP_1) | instid1(VALU_DEP_3)
	v_fma_f32 v48, 0x3fb8aa3b, v13, -v44
	v_rndne_f32_e32 v50, v44
	v_and_b32_e32 v28, 0xffff, v28
	s_delay_alu instid0(VALU_DEP_3) | instskip(NEXT) | instid1(VALU_DEP_3)
	v_fmac_f32_e32 v48, 0x32a5705f, v13
	v_sub_f32_e32 v44, v44, v50
	s_delay_alu instid0(VALU_DEP_3) | instskip(NEXT) | instid1(VALU_DEP_2)
	v_mul_u32_u24_e32 v28, 0x10001, v28
	v_add_f32_e32 v44, v44, v48
	v_cvt_i32_f32_e32 v48, v50
	v_cmp_ngt_f32_e64 s7, 0xc2ce8ed0, v13
	s_delay_alu instid0(VALU_DEP_4) | instskip(NEXT) | instid1(VALU_DEP_4)
	v_pk_mul_f16 v28, v184, v28
	v_exp_f32_e32 v44, v44
	v_nop
	s_delay_alu instid0(TRANS32_DEP_1) | instskip(NEXT) | instid1(VALU_DEP_1)
	v_ldexp_f32 v44, v44, v48
	v_cndmask_b32_e64 v44, 0, v44, s7
	v_cmp_nlt_f32_e64 s7, 0x42b17218, v13
	s_delay_alu instid0(VALU_DEP_1) | instskip(NEXT) | instid1(VALU_DEP_1)
	v_cndmask_b32_e64 v13, 0x7f800000, v44, s7
	v_cndmask_b32_e64 v44, 0, v13, s6
	v_sub_f32_e32 v13, v29, v77
	s_delay_alu instid0(VALU_DEP_1) | instskip(NEXT) | instid1(VALU_DEP_1)
	v_mul_f32_e32 v29, 0x3fb8aa3b, v13
	v_fma_f32 v48, 0x3fb8aa3b, v13, -v29
	v_rndne_f32_e32 v50, v29
	s_delay_alu instid0(VALU_DEP_1) | instskip(SKIP_1) | instid1(VALU_DEP_2)
	v_dual_sub_f32 v29, v29, v50 :: v_dual_fmac_f32 v48, 0x32a5705f, v13
	v_cmp_ngt_f32_e64 s7, 0xc2ce8ed0, v13
	v_add_f32_e32 v29, v29, v48
	v_cvt_i32_f32_e32 v48, v50
	s_delay_alu instid0(VALU_DEP_2) | instskip(SKIP_1) | instid1(TRANS32_DEP_1)
	v_exp_f32_e32 v29, v29
	v_nop
	v_ldexp_f32 v29, v29, v48
	s_delay_alu instid0(VALU_DEP_1) | instskip(SKIP_1) | instid1(VALU_DEP_1)
	v_cndmask_b32_e64 v29, 0, v29, s7
	v_cmp_nlt_f32_e64 s7, 0x42b17218, v13
	v_cndmask_b32_e64 v13, 0x7f800000, v29, s7
	v_mul_f32_e32 v29, 0x3fb8aa3b, v49
	v_cmp_ngt_f32_e64 s7, 0xc2ce8ed0, v49
	s_delay_alu instid0(VALU_DEP_3) | instskip(NEXT) | instid1(VALU_DEP_3)
	v_cndmask_b32_e32 v48, 0, v13, vcc_lo
	v_fma_f32 v50, 0x3fb8aa3b, v49, -v29
	v_rndne_f32_e32 v51, v29
	s_delay_alu instid0(VALU_DEP_2) | instskip(NEXT) | instid1(VALU_DEP_2)
	v_dual_add_f32 v13, v44, v48 :: v_dual_fmac_f32 v50, 0x32a5705f, v49
	v_sub_f32_e32 v29, v29, v51
	s_delay_alu instid0(VALU_DEP_1) | instskip(SKIP_1) | instid1(VALU_DEP_2)
	v_add_f32_e32 v29, v29, v50
	v_cvt_i32_f32_e32 v50, v51
	v_exp_f32_e32 v29, v29
	v_nop
	s_delay_alu instid0(TRANS32_DEP_1) | instskip(NEXT) | instid1(VALU_DEP_1)
	v_ldexp_f32 v29, v29, v50
	v_dual_sub_f32 v50, v62, v78 :: v_dual_cndmask_b32 v29, 0, v29, s7
	v_cmp_nlt_f32_e64 s7, 0x42b17218, v49
	s_delay_alu instid0(VALU_DEP_1) | instskip(NEXT) | instid1(VALU_DEP_1)
	v_cndmask_b32_e64 v29, 0x7f800000, v29, s7
	v_fmac_f32_e32 v13, v45, v29
	v_mul_f32_e32 v45, 0x3fb8aa3b, v14
	v_cvt_f16_f32_e32 v29, v29
	s_delay_alu instid0(VALU_DEP_2) | instskip(SKIP_1) | instid1(VALU_DEP_3)
	v_fma_f32 v49, 0x3fb8aa3b, v14, -v45
	v_rndne_f32_e32 v51, v45
	v_and_b32_e32 v29, 0xffff, v29
	s_delay_alu instid0(VALU_DEP_3) | instskip(NEXT) | instid1(VALU_DEP_3)
	v_fmac_f32_e32 v49, 0x32a5705f, v14
	v_sub_f32_e32 v45, v45, v51
	s_delay_alu instid0(VALU_DEP_3) | instskip(NEXT) | instid1(VALU_DEP_2)
	v_mul_u32_u24_e32 v29, 0x10001, v29
	v_add_f32_e32 v45, v45, v49
	v_cvt_i32_f32_e32 v49, v51
	v_cmp_ngt_f32_e64 s7, 0xc2ce8ed0, v14
	s_delay_alu instid0(VALU_DEP_4) | instskip(NEXT) | instid1(VALU_DEP_4)
	v_pk_mul_f16 v29, v182, v29
	v_exp_f32_e32 v45, v45
	v_nop
	s_delay_alu instid0(TRANS32_DEP_1) | instskip(NEXT) | instid1(VALU_DEP_1)
	v_ldexp_f32 v45, v45, v49
	v_cndmask_b32_e64 v45, 0, v45, s7
	v_cmp_nlt_f32_e64 s7, 0x42b17218, v14
	s_delay_alu instid0(VALU_DEP_1) | instskip(NEXT) | instid1(VALU_DEP_1)
	v_cndmask_b32_e64 v14, 0x7f800000, v45, s7
	v_cndmask_b32_e64 v45, 0, v14, s6
	v_sub_f32_e32 v14, v30, v78
	s_delay_alu instid0(VALU_DEP_1) | instskip(NEXT) | instid1(VALU_DEP_1)
	v_mul_f32_e32 v30, 0x3fb8aa3b, v14
	v_fma_f32 v49, 0x3fb8aa3b, v14, -v30
	v_rndne_f32_e32 v51, v30
	s_delay_alu instid0(VALU_DEP_1) | instskip(SKIP_1) | instid1(VALU_DEP_2)
	v_dual_sub_f32 v30, v30, v51 :: v_dual_fmac_f32 v49, 0x32a5705f, v14
	v_cmp_ngt_f32_e64 s7, 0xc2ce8ed0, v14
	v_add_f32_e32 v30, v30, v49
	v_cvt_i32_f32_e32 v49, v51
	s_delay_alu instid0(VALU_DEP_2) | instskip(SKIP_1) | instid1(TRANS32_DEP_1)
	v_exp_f32_e32 v30, v30
	v_nop
	v_ldexp_f32 v30, v30, v49
	s_delay_alu instid0(VALU_DEP_1) | instskip(SKIP_1) | instid1(VALU_DEP_1)
	v_cndmask_b32_e64 v30, 0, v30, s7
	v_cmp_nlt_f32_e64 s7, 0x42b17218, v14
	v_cndmask_b32_e64 v14, 0x7f800000, v30, s7
	v_mul_f32_e32 v30, 0x3fb8aa3b, v50
	v_cmp_ngt_f32_e64 s7, 0xc2ce8ed0, v50
	s_delay_alu instid0(VALU_DEP_3) | instskip(NEXT) | instid1(VALU_DEP_3)
	v_cndmask_b32_e32 v49, 0, v14, vcc_lo
	v_fma_f32 v51, 0x3fb8aa3b, v50, -v30
	v_rndne_f32_e32 v52, v30
	s_delay_alu instid0(VALU_DEP_2) | instskip(NEXT) | instid1(VALU_DEP_2)
	v_dual_add_f32 v14, v45, v49 :: v_dual_fmac_f32 v51, 0x32a5705f, v50
	v_sub_f32_e32 v30, v30, v52
	s_delay_alu instid0(VALU_DEP_1) | instskip(SKIP_1) | instid1(VALU_DEP_2)
	v_add_f32_e32 v30, v30, v51
	v_cvt_i32_f32_e32 v51, v52
	v_exp_f32_e32 v30, v30
	v_nop
	s_delay_alu instid0(TRANS32_DEP_1) | instskip(NEXT) | instid1(VALU_DEP_1)
	v_ldexp_f32 v30, v30, v51
	v_cndmask_b32_e64 v30, 0, v30, s7
	v_cmp_nlt_f32_e64 s7, 0x42b17218, v50
	v_mul_f32_e32 v50, 0x3fb8aa3b, v15
	s_delay_alu instid0(VALU_DEP_1) | instskip(SKIP_1) | instid1(VALU_DEP_2)
	v_rndne_f32_e32 v52, v50
	v_fma_f32 v51, 0x3fb8aa3b, v15, -v50
	v_sub_f32_e32 v50, v50, v52
	v_cndmask_b32_e64 v30, 0x7f800000, v30, s7
	s_delay_alu instid0(VALU_DEP_3) | instskip(SKIP_1) | instid1(VALU_DEP_3)
	v_fmac_f32_e32 v51, 0x32a5705f, v15
	v_cmp_ngt_f32_e64 s7, 0xc2ce8ed0, v15
	v_fmac_f32_e32 v14, v46, v30
	s_delay_alu instid0(VALU_DEP_3) | instskip(SKIP_3) | instid1(VALU_DEP_4)
	v_add_f32_e32 v50, v50, v51
	v_cvt_i32_f32_e32 v51, v52
	v_sub_f32_e32 v46, v63, v79
	v_cvt_f16_f32_e32 v30, v30
	v_exp_f32_e32 v50, v50
	s_delay_alu instid0(VALU_DEP_1) | instskip(NEXT) | instid1(TRANS32_DEP_1)
	v_and_b32_e32 v30, 0xffff, v30
	v_ldexp_f32 v50, v50, v51
	s_delay_alu instid0(VALU_DEP_2) | instskip(NEXT) | instid1(VALU_DEP_2)
	v_mul_u32_u24_e32 v30, 0x10001, v30
	v_cndmask_b32_e64 v50, 0, v50, s7
	v_cmp_nlt_f32_e64 s7, 0x42b17218, v15
	s_delay_alu instid0(VALU_DEP_3) | instskip(NEXT) | instid1(VALU_DEP_2)
	v_pk_mul_f16 v30, v179, v30
	v_cndmask_b32_e64 v15, 0x7f800000, v50, s7
	s_delay_alu instid0(VALU_DEP_1) | instskip(SKIP_1) | instid1(VALU_DEP_1)
	v_cndmask_b32_e64 v50, 0, v15, s6
	v_sub_f32_e32 v15, v31, v79
	v_mul_f32_e32 v31, 0x3fb8aa3b, v15
	v_cmp_ngt_f32_e64 s6, 0xc2ce8ed0, v15
	s_delay_alu instid0(VALU_DEP_2) | instskip(SKIP_1) | instid1(VALU_DEP_2)
	v_fma_f32 v51, 0x3fb8aa3b, v15, -v31
	v_rndne_f32_e32 v52, v31
	v_fmac_f32_e32 v51, 0x32a5705f, v15
	s_delay_alu instid0(VALU_DEP_2) | instskip(NEXT) | instid1(VALU_DEP_1)
	v_sub_f32_e32 v31, v31, v52
	v_add_f32_e32 v31, v31, v51
	v_cvt_i32_f32_e32 v51, v52
	s_delay_alu instid0(VALU_DEP_2) | instskip(SKIP_1) | instid1(TRANS32_DEP_1)
	v_exp_f32_e32 v31, v31
	v_nop
	v_ldexp_f32 v31, v31, v51
	s_delay_alu instid0(VALU_DEP_1) | instskip(SKIP_1) | instid1(VALU_DEP_1)
	v_cndmask_b32_e64 v31, 0, v31, s6
	v_cmp_nlt_f32_e64 s6, 0x42b17218, v15
	v_cndmask_b32_e64 v15, 0x7f800000, v31, s6
	v_mul_f32_e32 v31, 0x3fb8aa3b, v46
	s_mul_u64 s[6:7], s[24:25], s[14:15]
	s_delay_alu instid0(SALU_CYCLE_1) | instskip(NEXT) | instid1(VALU_DEP_2)
	s_lshl_b64 s[6:7], s[6:7], 2
	v_cndmask_b32_e32 v51, 0, v15, vcc_lo
	s_delay_alu instid0(VALU_DEP_2) | instskip(SKIP_3) | instid1(VALU_DEP_3)
	v_fma_f32 v52, 0x3fb8aa3b, v46, -v31
	v_rndne_f32_e32 v53, v31
	v_cmp_ngt_f32_e32 vcc_lo, 0xc2ce8ed0, v46
	s_add_nc_u64 s[6:7], s[26:27], s[6:7]
	v_dual_add_f32 v15, v50, v51 :: v_dual_fmac_f32 v52, 0x32a5705f, v46
	s_delay_alu instid0(VALU_DEP_3) | instskip(NEXT) | instid1(VALU_DEP_1)
	v_sub_f32_e32 v31, v31, v53
	v_add_f32_e32 v31, v31, v52
	v_cvt_i32_f32_e32 v52, v53
	s_delay_alu instid0(VALU_DEP_2) | instskip(SKIP_1) | instid1(TRANS32_DEP_1)
	v_exp_f32_e32 v31, v31
	v_nop
	v_ldexp_f32 v31, v31, v52
	s_delay_alu instid0(VALU_DEP_1)
	v_cndmask_b32_e32 v31, 0, v31, vcc_lo
	v_cmp_nlt_f32_e32 vcc_lo, 0x42b17218, v46
	v_cvt_pk_f16_f32 v46, v42, v44
	v_cvt_pk_f16_f32 v44, v18, v20
	v_mul_lo_u32 v18, s14, v140
	v_cvt_pk_f16_f32 v42, v19, v21
	s_delay_alu instid0(VALU_DEP_2) | instskip(NEXT) | instid1(VALU_DEP_1)
	v_ashrrev_i32_e32 v19, 31, v18
	v_lshl_add_u64 v[20:21], v[18:19], 2, s[6:7]
	scratch_load_b32 v19, off, off offset:32 th:TH_LOAD_LU ; 4-byte Folded Reload
	v_add_nc_u32_e32 v18, s9, v18
	v_cndmask_b32_e32 v31, 0x7f800000, v31, vcc_lo
	s_delay_alu instid0(VALU_DEP_1)
	v_fmac_f32_e32 v15, v47, v31
	v_cvt_pk_f16_f32 v47, v45, v50
	v_cvt_pk_f16_f32 v45, v22, v24
	ds_store_b128 v16, v[44:47] offset:1024
	v_cvt_pk_f16_f32 v44, v43, v48
	v_cvt_pk_f16_f32 v43, v23, v25
	v_add_nc_u64_e32 v[22:23], v[20:21], v[170:171]
	v_cvt_pk_f16_f32 v45, v49, v51
	v_mbcnt_lo_u32_b32 v16, -1, 0
	ds_store_b128 v17, v[42:45] offset:1024
	v_dual_mov_b32 v16, 0 :: v_dual_lshlrev_b32 v17, 20, v16
	v_lshl_or_b32 v45, v140, 7, v170
	s_delay_alu instid0(VALU_DEP_2) | instskip(NEXT) | instid1(VALU_DEP_1)
	v_add_nc_u64_e32 v[16:17], src_flat_scratch_base_lo, v[16:17]
	v_dual_cndmask_b32 v23, v17, v23, s5 :: v_dual_cndmask_b32 v22, v16, v22, s5
	s_wait_loadcnt 0x0
	v_lshl_or_b32 v50, v19, 7, v170
	v_ashrrev_i32_e32 v19, 31, v18
	s_delay_alu instid0(VALU_DEP_1)
	v_lshl_add_u64 v[20:21], v[18:19], 2, s[6:7]
	scratch_load_b32 v19, off, off offset:28 th:TH_LOAD_LU ; 4-byte Folded Reload
	v_add_nc_u32_e32 v18, s9, v18
	v_add_nc_u64_e32 v[46:47], v[20:21], v[170:171]
	s_wait_loadcnt 0x0
	v_lshl_or_b32 v51, v19, 7, v170
	s_delay_alu instid0(VALU_DEP_3) | instskip(NEXT) | instid1(VALU_DEP_1)
	v_ashrrev_i32_e32 v19, 31, v18
	v_lshl_add_u64 v[20:21], v[18:19], 2, s[6:7]
	v_add_nc_u32_e32 v18, s9, v18
	s_mov_b32 s9, s8
	s_delay_alu instid0(SALU_CYCLE_1) | instskip(NEXT) | instid1(VALU_DEP_2)
	v_dual_mov_b32 v44, s10 :: v_dual_mov_b32 v43, s9
	v_dual_mov_b32 v42, s8 :: v_dual_ashrrev_i32 v19, 31, v18
	scratch_store_b32 off, v171, off
	v_add_nc_u64_e32 v[48:49], v[20:21], v[170:171]
	s_clause 0x1
	scratch_load_b32 v20, off, off offset:24 th:TH_LOAD_LU
	scratch_store_b96 off, v[42:44], off offset:4
	flat_load_b128 v[22:25], v[22:23]
	v_lshl_add_u64 v[18:19], v[18:19], 2, s[6:7]
	s_delay_alu instid0(VALU_DEP_1)
	v_add_nc_u64_e32 v[18:19], v[18:19], v[170:171]
	s_wait_loadcnt 0x1
	v_lshl_or_b32 v20, v20, 7, v170
	s_wait_loadcnt_dscnt 0x0
	ds_store_b128 v45, v[22:25]
	s_wait_xcnt 0x0
	v_dual_cndmask_b32 v23, v17, v47, s4 :: v_dual_cndmask_b32 v22, v16, v46, s4
	s_clause 0x1
	scratch_store_b32 off, v171, off
	scratch_store_b96 off, v[42:44], off offset:4
	flat_load_b128 v[22:25], v[22:23]
	s_wait_loadcnt_dscnt 0x0
	ds_store_b128 v50, v[22:25]
	s_wait_xcnt 0x0
	v_dual_cndmask_b32 v23, v17, v49, s3 :: v_dual_cndmask_b32 v22, v16, v48, s3
	s_clause 0x1
	scratch_store_b32 off, v171, off
	scratch_store_b96 off, v[42:44], off offset:4
	v_dual_cndmask_b32 v17, v17, v19, s2 :: v_dual_cndmask_b32 v16, v16, v18, s2
	flat_load_b128 v[22:25], v[22:23]
	s_wait_loadcnt_dscnt 0x0
	ds_store_b128 v51, v[22:25]
	s_clause 0x1
	scratch_store_b32 off, v171, off
	scratch_store_b96 off, v[42:44], off offset:4
	flat_load_b128 v[16:19], v[16:17]
	s_wait_loadcnt_dscnt 0x0
	ds_store_b128 v20, v[16:19]
	s_wait_storecnt_dscnt 0x0
	s_barrier_signal -1
	s_barrier_wait -1
	ds_load_2addr_b32 v[24:25], v181 offset1:32
	s_wait_xcnt 0x1
	ds_load_b128 v[42:45], v177 offset:9216
	ds_load_b128 v[46:49], v177 offset:9232
	;; [unrolled: 1-line block ×3, first 2 shown]
	s_wait_xcnt 0x0
	ds_load_b128 v[16:19], v177 offset:9264
	s_wait_dscnt 0x3
	v_lshrrev_b32_e32 v50, 16, v42
	v_and_b32_e32 v42, 0xffff, v42
	v_dual_lshrrev_b32 v51, 16, v43 :: v_dual_lshrrev_b32 v52, 16, v44
	v_lshrrev_b32_e32 v53, 16, v45
	v_cvt_f16_f32_e32 v31, v31
	s_delay_alu instid0(VALU_DEP_4)
	v_mul_u32_u24_e32 v54, 0x10001, v42
	v_and_b32_e32 v42, 0xffff, v43
	v_mul_u32_u24_e32 v50, 0x10001, v50
	v_mul_u32_u24_e32 v51, 0x10001, v51
	v_and_b32_e32 v31, 0xffff, v31
	v_mul_u32_u24_e32 v52, 0x10001, v52
	v_mul_u32_u24_e32 v55, 0x10001, v42
	v_and_b32_e32 v42, 0xffff, v44
	v_pk_fma_f16 v32, v24, v54, v32
	v_mul_u32_u24_e32 v31, 0x10001, v31
	v_pk_fma_f16 v33, v24, v50, v33
	v_pk_fma_f16 v34, v24, v55, v34
	v_mul_u32_u24_e32 v56, 0x10001, v42
	v_and_b32_e32 v42, 0xffff, v45
	v_pk_mul_f16 v31, v178, v31
	v_pk_fma_f16 v35, v24, v51, v35
	v_pk_fma_f16 v37, v24, v52, v37
	;; [unrolled: 1-line block ×3, first 2 shown]
	v_mul_u32_u24_e32 v57, 0x10001, v42
	ds_load_b128 v[42:45], v177 offset:10240
	v_pk_fma_f16 v38, v24, v57, v38
	s_wait_dscnt 0x0
	v_dual_lshrrev_b32 v58, 16, v42 :: v_dual_lshrrev_b32 v59, 16, v43
	v_lshrrev_b32_e32 v60, 16, v44
	v_and_b32_e32 v42, 0xffff, v42
	v_and_b32_e32 v43, 0xffff, v43
	v_lshrrev_b32_e32 v61, 16, v45
	v_and_b32_e32 v45, 0xffff, v45
	v_and_b32_e32 v44, 0xffff, v44
	v_mul_u32_u24_e32 v42, 0x10001, v42
	v_mul_u32_u24_e32 v43, 0x10001, v43
	;; [unrolled: 1-line block ×5, first 2 shown]
	v_pk_fma_f16 v40, v24, v42, v40
	v_pk_fma_f16 v42, v24, v43, v26
	v_lshrrev_b32_e32 v26, 16, v46
	v_mul_u32_u24_e32 v59, 0x10001, v59
	v_mul_u32_u24_e32 v44, 0x10001, v44
	;; [unrolled: 1-line block ×4, first 2 shown]
	v_pk_fma_f16 v30, v24, v45, v30
	v_mul_u32_u24_e32 v45, 0x10001, v26
	v_and_b32_e32 v26, 0xffff, v47
	v_pk_fma_f16 v39, v24, v53, v39
	v_pk_fma_f16 v41, v24, v58, v41
	;; [unrolled: 1-line block ×6, first 2 shown]
	v_and_b32_e32 v31, 0xffff, v46
	v_mul_u32_u24_e32 v46, 0x10001, v26
	v_and_b32_e32 v26, 0xffff, v48
	v_dual_lshrrev_b32 v27, 16, v47 :: v_dual_lshrrev_b32 v28, 16, v48
	v_lshrrev_b32_e32 v29, 16, v49
	v_mul_u32_u24_e32 v31, 0x10001, v31
	s_delay_alu instid0(VALU_DEP_4)
	v_mul_u32_u24_e32 v48, 0x10001, v26
	v_and_b32_e32 v26, 0xffff, v49
	v_mul_u32_u24_e32 v47, 0x10001, v27
	v_mul_u32_u24_e32 v51, 0x10001, v28
	;; [unrolled: 1-line block ×3, first 2 shown]
	v_pk_fma_f16 v31, v25, v31, v32
	v_mul_u32_u24_e32 v49, 0x10001, v26
	ds_load_b128 v[26:29], v177 offset:10256
	v_pk_fma_f16 v32, v25, v45, v33
	v_pk_fma_f16 v33, v25, v46, v34
	v_pk_fma_f16 v34, v25, v47, v35
	v_pk_fma_f16 v35, v25, v48, v36
	v_pk_fma_f16 v36, v25, v51, v37
	v_pk_fma_f16 v37, v25, v49, v38
	v_lshrrev_b32_e32 v45, 16, v23
	v_pk_fma_f16 v38, v25, v52, v39
	s_wait_dscnt 0x0
	v_dual_lshrrev_b32 v54, 16, v27 :: v_dual_lshrrev_b32 v55, 16, v28
	v_and_b32_e32 v27, 0xffff, v27
	v_dual_lshrrev_b32 v56, 16, v29 :: v_dual_lshrrev_b32 v53, 16, v26
	v_and_b32_e32 v26, 0xffff, v26
	v_and_b32_e32 v28, 0xffff, v28
	s_delay_alu instid0(VALU_DEP_4)
	v_mul_u32_u24_e32 v27, 0x10001, v27
	v_mul_u32_u24_e32 v54, 0x10001, v54
	v_and_b32_e32 v29, 0xffff, v29
	v_mul_u32_u24_e32 v26, 0x10001, v26
	v_mul_u32_u24_e32 v28, 0x10001, v28
	v_pk_fma_f16 v27, v25, v27, v42
	v_lshrrev_b32_e32 v42, 16, v20
	v_and_b32_e32 v20, 0xffff, v20
	v_pk_fma_f16 v26, v25, v26, v40
	v_pk_fma_f16 v40, v25, v54, v43
	;; [unrolled: 1-line block ×3, first 2 shown]
	v_dual_lshrrev_b32 v43, 16, v21 :: v_dual_lshrrev_b32 v44, 16, v22
	v_mul_u32_u24_e32 v46, 0x10001, v20
	v_and_b32_e32 v20, 0xffff, v21
	v_mul_u32_u24_e32 v53, 0x10001, v53
	v_mul_u32_u24_e32 v55, 0x10001, v55
	;; [unrolled: 1-line block ×5, first 2 shown]
	v_and_b32_e32 v20, 0xffff, v22
	v_pk_fma_f16 v39, v25, v53, v41
	v_pk_fma_f16 v41, v25, v55, v50
	;; [unrolled: 1-line block ×4, first 2 shown]
	v_mul_u32_u24_e32 v48, 0x10001, v20
	v_and_b32_e32 v20, 0xffff, v23
	ds_load_2addr_b32 v[24:25], v181 offset0:64 offset1:96
	v_mul_u32_u24_e32 v42, 0x10001, v42
	v_mul_u32_u24_e32 v43, 0x10001, v43
	;; [unrolled: 1-line block ×4, first 2 shown]
	ds_load_b128 v[20:23], v177 offset:10272
	s_wait_dscnt 0x1
	v_pk_fma_f16 v32, v24, v42, v32
	v_pk_fma_f16 v34, v24, v43, v34
	;; [unrolled: 1-line block ×5, first 2 shown]
	s_wait_dscnt 0x0
	v_lshrrev_b32_e32 v53, 16, v23
	v_and_b32_e32 v23, 0xffff, v23
	v_dual_lshrrev_b32 v51, 16, v21 :: v_dual_lshrrev_b32 v52, 16, v22
	v_and_b32_e32 v22, 0xffff, v22
	v_lshrrev_b32_e32 v50, 16, v20
	s_delay_alu instid0(VALU_DEP_4)
	v_mul_u32_u24_e32 v23, 0x10001, v23
	v_and_b32_e32 v20, 0xffff, v20
	v_mul_u32_u24_e32 v52, 0x10001, v52
	v_mul_u32_u24_e32 v22, 0x10001, v22
	v_and_b32_e32 v21, 0xffff, v21
	v_pk_fma_f16 v23, v24, v23, v29
	v_lshrrev_b32_e32 v29, 16, v16
	v_and_b32_e32 v16, 0xffff, v16
	v_pk_fma_f16 v22, v24, v22, v28
	v_pk_fma_f16 v28, v24, v52, v41
	v_mul_u32_u24_e32 v45, 0x10001, v45
	v_mul_u32_u24_e32 v20, 0x10001, v20
	;; [unrolled: 1-line block ×3, first 2 shown]
	v_and_b32_e32 v16, 0xffff, v17
	v_mul_u32_u24_e32 v50, 0x10001, v50
	v_mul_u32_u24_e32 v21, 0x10001, v21
	;; [unrolled: 1-line block ×5, first 2 shown]
	v_and_b32_e32 v16, 0xffff, v18
	v_pk_fma_f16 v36, v24, v44, v36
	v_pk_fma_f16 v37, v24, v49, v37
	;; [unrolled: 1-line block ×4, first 2 shown]
	v_mul_u32_u24_e32 v43, 0x10001, v16
	v_and_b32_e32 v16, 0xffff, v19
	v_pk_fma_f16 v26, v24, v50, v39
	v_pk_fma_f16 v21, v24, v21, v27
	;; [unrolled: 1-line block ×4, first 2 shown]
	v_dual_lshrrev_b32 v30, 16, v17 :: v_dual_lshrrev_b32 v39, 16, v18
	v_lshrrev_b32_e32 v40, 16, v19
	v_mul_u32_u24_e32 v44, 0x10001, v16
	ds_load_b128 v[16:19], v177 offset:10288
	v_mul_u32_u24_e32 v29, 0x10001, v29
	v_mul_u32_u24_e32 v30, 0x10001, v30
	;; [unrolled: 1-line block ×3, first 2 shown]
	v_pk_fma_f16 v31, v25, v41, v31
	s_delay_alu instid0(VALU_DEP_4)
	v_pk_fma_f16 v29, v25, v29, v32
	v_pk_fma_f16 v32, v25, v42, v33
	;; [unrolled: 1-line block ×6, first 2 shown]
	s_wait_dscnt 0x0
	v_dual_lshrrev_b32 v45, 16, v16 :: v_dual_lshrrev_b32 v46, 16, v17
	v_dual_lshrrev_b32 v47, 16, v18 :: v_dual_lshrrev_b32 v48, 16, v19
	v_and_b32_e32 v16, 0xffff, v16
	v_and_b32_e32 v17, 0xffff, v17
	;; [unrolled: 1-line block ×4, first 2 shown]
	v_mul_u32_u24_e32 v40, 0x10001, v40
	v_mul_u32_u24_e32 v16, 0x10001, v16
	;; [unrolled: 1-line block ×5, first 2 shown]
	v_pk_fma_f16 v36, v25, v40, v38
	v_pk_fma_f16 v37, v25, v16, v20
	;; [unrolled: 1-line block ×5, first 2 shown]
	ds_load_2addr_b32 v[16:17], v181 offset0:128 offset1:160
	ds_load_b128 v[18:21], v177 offset:9280
	v_mul_u32_u24_e32 v45, 0x10001, v45
	v_mul_u32_u24_e32 v46, 0x10001, v46
	;; [unrolled: 1-line block ×4, first 2 shown]
	s_delay_alu instid0(VALU_DEP_4) | instskip(NEXT) | instid1(VALU_DEP_4)
	v_pk_fma_f16 v26, v25, v45, v26
	v_pk_fma_f16 v27, v25, v46, v27
	s_delay_alu instid0(VALU_DEP_4) | instskip(NEXT) | instid1(VALU_DEP_4)
	v_pk_fma_f16 v28, v25, v47, v28
	v_pk_fma_f16 v24, v25, v48, v24
	s_wait_dscnt 0x0
	v_lshrrev_b32_e32 v25, 16, v18
	v_and_b32_e32 v18, 0xffff, v18
	v_dual_lshrrev_b32 v39, 16, v19 :: v_dual_lshrrev_b32 v40, 16, v20
	v_lshrrev_b32_e32 v41, 16, v21
	s_delay_alu instid0(VALU_DEP_4) | instskip(NEXT) | instid1(VALU_DEP_4)
	v_mul_u32_u24_e32 v25, 0x10001, v25
	v_mul_u32_u24_e32 v42, 0x10001, v18
	v_and_b32_e32 v18, 0xffff, v19
	v_mul_u32_u24_e32 v40, 0x10001, v40
	v_mul_u32_u24_e32 v39, 0x10001, v39
	v_pk_fma_f16 v25, v16, v25, v29
	v_pk_fma_f16 v31, v16, v42, v31
	v_mul_u32_u24_e32 v43, 0x10001, v18
	v_and_b32_e32 v18, 0xffff, v20
	v_pk_fma_f16 v30, v16, v39, v30
	s_delay_alu instid0(VALU_DEP_3) | instskip(NEXT) | instid1(VALU_DEP_3)
	v_pk_fma_f16 v29, v16, v43, v32
	v_mul_u32_u24_e32 v44, 0x10001, v18
	v_and_b32_e32 v18, 0xffff, v21
	s_delay_alu instid0(VALU_DEP_2) | instskip(NEXT) | instid1(VALU_DEP_2)
	v_pk_fma_f16 v32, v16, v44, v33
	v_mul_u32_u24_e32 v45, 0x10001, v18
	ds_load_b128 v[18:21], v177 offset:10304
	v_pk_fma_f16 v33, v16, v40, v34
	v_pk_fma_f16 v34, v16, v45, v35
	s_wait_dscnt 0x0
	v_dual_lshrrev_b32 v46, 16, v18 :: v_dual_lshrrev_b32 v47, 16, v19
	v_dual_lshrrev_b32 v48, 16, v20 :: v_dual_lshrrev_b32 v49, 16, v21
	v_and_b32_e32 v18, 0xffff, v18
	v_and_b32_e32 v19, 0xffff, v19
	;; [unrolled: 1-line block ×4, first 2 shown]
	v_mul_u32_u24_e32 v41, 0x10001, v41
	v_mul_u32_u24_e32 v18, 0x10001, v18
	;; [unrolled: 1-line block ×5, first 2 shown]
	v_pk_fma_f16 v35, v16, v41, v36
	v_pk_fma_f16 v36, v16, v18, v37
	;; [unrolled: 1-line block ×5, first 2 shown]
	ds_load_b128 v[18:21], v177 offset:9296
	v_mul_u32_u24_e32 v46, 0x10001, v46
	v_mul_u32_u24_e32 v47, 0x10001, v47
	;; [unrolled: 1-line block ×4, first 2 shown]
	s_delay_alu instid0(VALU_DEP_4) | instskip(NEXT) | instid1(VALU_DEP_4)
	v_pk_fma_f16 v26, v16, v46, v26
	v_pk_fma_f16 v27, v16, v47, v27
	s_delay_alu instid0(VALU_DEP_4) | instskip(NEXT) | instid1(VALU_DEP_4)
	v_pk_fma_f16 v28, v16, v48, v28
	v_pk_fma_f16 v16, v16, v49, v24
	s_wait_dscnt 0x0
	v_lshrrev_b32_e32 v24, 16, v18
	v_and_b32_e32 v18, 0xffff, v18
	v_dual_lshrrev_b32 v38, 16, v19 :: v_dual_lshrrev_b32 v39, 16, v20
	v_lshrrev_b32_e32 v40, 16, v21
	s_delay_alu instid0(VALU_DEP_4) | instskip(NEXT) | instid1(VALU_DEP_4)
	v_mul_u32_u24_e32 v24, 0x10001, v24
	v_mul_u32_u24_e32 v41, 0x10001, v18
	v_and_b32_e32 v18, 0xffff, v19
	v_mul_u32_u24_e32 v38, 0x10001, v38
	v_mul_u32_u24_e32 v39, 0x10001, v39
	v_pk_fma_f16 v24, v17, v24, v25
	v_pk_fma_f16 v31, v17, v41, v31
	v_mul_u32_u24_e32 v42, 0x10001, v18
	v_and_b32_e32 v18, 0xffff, v20
	s_delay_alu instid0(VALU_DEP_2) | instskip(NEXT) | instid1(VALU_DEP_2)
	v_pk_fma_f16 v25, v17, v42, v29
	v_mul_u32_u24_e32 v43, 0x10001, v18
	v_and_b32_e32 v18, 0xffff, v21
	v_pk_fma_f16 v29, v17, v38, v30
	s_delay_alu instid0(VALU_DEP_3) | instskip(NEXT) | instid1(VALU_DEP_3)
	v_pk_fma_f16 v30, v17, v43, v32
	v_mul_u32_u24_e32 v44, 0x10001, v18
	ds_load_b128 v[18:21], v177 offset:10320
	v_pk_fma_f16 v32, v17, v39, v33
	v_pk_fma_f16 v33, v17, v44, v34
	s_wait_dscnt 0x0
	v_dual_lshrrev_b32 v45, 16, v18 :: v_dual_lshrrev_b32 v46, 16, v19
	v_dual_lshrrev_b32 v47, 16, v20 :: v_dual_lshrrev_b32 v48, 16, v21
	v_and_b32_e32 v18, 0xffff, v18
	v_and_b32_e32 v19, 0xffff, v19
	;; [unrolled: 1-line block ×4, first 2 shown]
	v_mul_u32_u24_e32 v40, 0x10001, v40
	v_mul_u32_u24_e32 v18, 0x10001, v18
	;; [unrolled: 1-line block ×9, first 2 shown]
	v_pk_fma_f16 v34, v17, v40, v35
	v_pk_fma_f16 v35, v17, v18, v36
	;; [unrolled: 1-line block ×9, first 2 shown]
	ds_load_2addr_b32 v[20:21], v181 offset0:192 offset1:224
	ds_load_b128 v[16:19], v177 offset:9312
	s_wait_dscnt 0x0
	v_lshrrev_b32_e32 v22, 16, v16
	v_and_b32_e32 v16, 0xffff, v16
	v_dual_lshrrev_b32 v23, 16, v17 :: v_dual_lshrrev_b32 v26, 16, v18
	v_lshrrev_b32_e32 v27, 16, v19
	s_delay_alu instid0(VALU_DEP_4) | instskip(NEXT) | instid1(VALU_DEP_4)
	v_mul_u32_u24_e32 v43, 0x10001, v22
	v_mul_u32_u24_e32 v28, 0x10001, v16
	v_and_b32_e32 v16, 0xffff, v17
	v_mul_u32_u24_e32 v45, 0x10001, v23
	v_mul_u32_u24_e32 v47, 0x10001, v26
	s_delay_alu instid0(VALU_DEP_3) | instskip(SKIP_1) | instid1(VALU_DEP_1)
	v_mul_u32_u24_e32 v44, 0x10001, v16
	v_and_b32_e32 v16, 0xffff, v18
	v_mul_u32_u24_e32 v46, 0x10001, v16
	v_and_b32_e32 v16, 0xffff, v19
	s_delay_alu instid0(VALU_DEP_1)
	v_mul_u32_u24_e32 v48, 0x10001, v16
	ds_load_b128 v[16:19], v177 offset:10336
	s_wait_dscnt 0x0
	v_lshrrev_b32_e32 v22, 16, v16
	v_mul_u32_u24_e32 v49, 0x10001, v27
	v_dual_lshrrev_b32 v23, 16, v17 :: v_dual_lshrrev_b32 v26, 16, v18
	v_lshrrev_b32_e32 v27, 16, v19
	v_and_b32_e32 v16, 0xffff, v16
	v_and_b32_e32 v17, 0xffff, v17
	;; [unrolled: 1-line block ×4, first 2 shown]
	v_mul_u32_u24_e32 v50, 0x10001, v22
	v_mul_u32_u24_e32 v16, 0x10001, v16
	v_mul_u32_u24_e32 v17, 0x10001, v17
	v_mul_u32_u24_e32 v18, 0x10001, v18
	v_mul_u32_u24_e32 v19, 0x10001, v19
	v_mul_u32_u24_e32 v51, 0x10001, v23
	v_mul_u32_u24_e32 v52, 0x10001, v26
	v_mul_u32_u24_e32 v53, 0x10001, v27
	v_pk_fma_f16 v22, v20, v28, v31
	v_pk_fma_f16 v23, v20, v43, v24
	;; [unrolled: 1-line block ×12, first 2 shown]
	ds_load_b128 v[16:19], v177 offset:9328
	v_pk_fma_f16 v28, v20, v48, v33
	v_pk_fma_f16 v33, v20, v51, v38
	;; [unrolled: 1-line block ×4, first 2 shown]
	s_wait_dscnt 0x0
	v_lshrrev_b32_e32 v37, 16, v16
	v_and_b32_e32 v16, 0xffff, v16
	v_dual_lshrrev_b32 v38, 16, v17 :: v_dual_lshrrev_b32 v39, 16, v18
	v_lshrrev_b32_e32 v40, 16, v19
	s_delay_alu instid0(VALU_DEP_4) | instskip(NEXT) | instid1(VALU_DEP_4)
	v_mul_u32_u24_e32 v37, 0x10001, v37
	v_mul_u32_u24_e32 v41, 0x10001, v16
	v_and_b32_e32 v16, 0xffff, v17
	v_mul_u32_u24_e32 v38, 0x10001, v38
	v_mul_u32_u24_e32 v39, 0x10001, v39
	v_pk_fma_f16 v37, v21, v37, v23
	v_pk_fma_f16 v41, v21, v41, v22
	v_mul_u32_u24_e32 v42, 0x10001, v16
	v_and_b32_e32 v16, 0xffff, v18
	v_pk_fma_f16 v25, v21, v38, v25
	v_pk_fma_f16 v27, v21, v39, v27
	s_delay_alu instid0(VALU_DEP_4) | instskip(NEXT) | instid1(VALU_DEP_4)
	v_pk_fma_f16 v24, v21, v42, v24
	v_mul_u32_u24_e32 v43, 0x10001, v16
	v_and_b32_e32 v16, 0xffff, v19
	s_delay_alu instid0(VALU_DEP_2) | instskip(NEXT) | instid1(VALU_DEP_2)
	v_pk_fma_f16 v26, v21, v43, v26
	v_mul_u32_u24_e32 v44, 0x10001, v16
	ds_load_b128 v[16:19], v177 offset:10352
	v_pk_fma_f16 v28, v21, v44, v28
	s_wait_dscnt 0x0
	v_dual_lshrrev_b32 v46, 16, v17 :: v_dual_lshrrev_b32 v47, 16, v18
	v_and_b32_e32 v18, 0xffff, v18
	v_dual_lshrrev_b32 v45, 16, v16 :: v_dual_lshrrev_b32 v48, 16, v19
	v_and_b32_e32 v16, 0xffff, v16
	v_and_b32_e32 v17, 0xffff, v17
	s_delay_alu instid0(VALU_DEP_4)
	v_mul_u32_u24_e32 v18, 0x10001, v18
	v_and_b32_e32 v19, 0xffff, v19
	v_mul_u32_u24_e32 v40, 0x10001, v40
	v_mul_u32_u24_e32 v16, 0x10001, v16
	;; [unrolled: 1-line block ×8, first 2 shown]
	v_pk_fma_f16 v34, v21, v18, v34
	v_add_nc_u32_e32 v18, 0x400, v181
	v_pk_fma_f16 v29, v21, v40, v29
	v_pk_fma_f16 v30, v21, v16, v30
	;; [unrolled: 1-line block ×8, first 2 shown]
	ds_load_2addr_b32 v[16:17], v18 offset1:32
	ds_load_b128 v[20:23], v177 offset:9344
	s_wait_dscnt 0x0
	v_lshrrev_b32_e32 v38, 16, v20
	v_and_b32_e32 v20, 0xffff, v20
	v_dual_lshrrev_b32 v39, 16, v21 :: v_dual_lshrrev_b32 v40, 16, v22
	v_lshrrev_b32_e32 v42, 16, v23
	s_delay_alu instid0(VALU_DEP_4) | instskip(NEXT) | instid1(VALU_DEP_4)
	v_mul_u32_u24_e32 v38, 0x10001, v38
	v_mul_u32_u24_e32 v43, 0x10001, v20
	v_and_b32_e32 v20, 0xffff, v21
	v_mul_u32_u24_e32 v39, 0x10001, v39
	v_mul_u32_u24_e32 v40, 0x10001, v40
	v_pk_fma_f16 v37, v16, v38, v37
	v_pk_fma_f16 v41, v16, v43, v41
	v_mul_u32_u24_e32 v44, 0x10001, v20
	v_and_b32_e32 v20, 0xffff, v22
	v_pk_fma_f16 v25, v16, v39, v25
	v_pk_fma_f16 v27, v16, v40, v27
	s_delay_alu instid0(VALU_DEP_4) | instskip(NEXT) | instid1(VALU_DEP_4)
	v_pk_fma_f16 v24, v16, v44, v24
	v_mul_u32_u24_e32 v45, 0x10001, v20
	v_and_b32_e32 v20, 0xffff, v23
	s_delay_alu instid0(VALU_DEP_2) | instskip(NEXT) | instid1(VALU_DEP_2)
	v_pk_fma_f16 v26, v16, v45, v26
	v_mul_u32_u24_e32 v46, 0x10001, v20
	ds_load_b128 v[20:23], v177 offset:10368
	v_pk_fma_f16 v28, v16, v46, v28
	s_wait_dscnt 0x0
	v_dual_lshrrev_b32 v47, 16, v20 :: v_dual_lshrrev_b32 v48, 16, v21
	v_dual_lshrrev_b32 v49, 16, v22 :: v_dual_lshrrev_b32 v50, 16, v23
	v_and_b32_e32 v20, 0xffff, v20
	v_and_b32_e32 v21, 0xffff, v21
	;; [unrolled: 1-line block ×4, first 2 shown]
	v_mul_u32_u24_e32 v42, 0x10001, v42
	v_mul_u32_u24_e32 v20, 0x10001, v20
	;; [unrolled: 1-line block ×6, first 2 shown]
	v_pk_fma_f16 v30, v16, v20, v30
	v_pk_fma_f16 v32, v16, v21, v32
	;; [unrolled: 1-line block ×4, first 2 shown]
	ds_load_b128 v[20:23], v177 offset:9360
	v_mul_u32_u24_e32 v48, 0x10001, v48
	v_mul_u32_u24_e32 v49, 0x10001, v49
	v_mul_u32_u24_e32 v50, 0x10001, v50
	v_pk_fma_f16 v29, v16, v42, v29
	v_pk_fma_f16 v31, v16, v47, v31
	;; [unrolled: 1-line block ×5, first 2 shown]
	s_wait_dscnt 0x0
	v_lshrrev_b32_e32 v36, 16, v20
	v_and_b32_e32 v20, 0xffff, v20
	v_dual_lshrrev_b32 v38, 16, v21 :: v_dual_lshrrev_b32 v39, 16, v22
	v_lshrrev_b32_e32 v40, 16, v23
	s_delay_alu instid0(VALU_DEP_4) | instskip(NEXT) | instid1(VALU_DEP_4)
	v_mul_u32_u24_e32 v36, 0x10001, v36
	v_mul_u32_u24_e32 v42, 0x10001, v20
	v_and_b32_e32 v20, 0xffff, v21
	v_mul_u32_u24_e32 v38, 0x10001, v38
	v_mul_u32_u24_e32 v39, 0x10001, v39
	v_pk_fma_f16 v36, v17, v36, v37
	v_pk_fma_f16 v41, v17, v42, v41
	v_mul_u32_u24_e32 v43, 0x10001, v20
	v_and_b32_e32 v20, 0xffff, v22
	v_pk_fma_f16 v25, v17, v38, v25
	v_pk_fma_f16 v27, v17, v39, v27
	s_delay_alu instid0(VALU_DEP_4) | instskip(NEXT) | instid1(VALU_DEP_4)
	v_pk_fma_f16 v24, v17, v43, v24
	v_mul_u32_u24_e32 v44, 0x10001, v20
	v_and_b32_e32 v20, 0xffff, v23
	s_delay_alu instid0(VALU_DEP_2) | instskip(NEXT) | instid1(VALU_DEP_2)
	v_pk_fma_f16 v26, v17, v44, v26
	v_mul_u32_u24_e32 v45, 0x10001, v20
	ds_load_b128 v[20:23], v177 offset:10384
	v_pk_fma_f16 v28, v17, v45, v28
	s_wait_dscnt 0x0
	v_dual_lshrrev_b32 v46, 16, v20 :: v_dual_lshrrev_b32 v47, 16, v21
	v_dual_lshrrev_b32 v48, 16, v22 :: v_dual_lshrrev_b32 v49, 16, v23
	v_and_b32_e32 v20, 0xffff, v20
	v_and_b32_e32 v21, 0xffff, v21
	;; [unrolled: 1-line block ×4, first 2 shown]
	v_mul_u32_u24_e32 v40, 0x10001, v40
	v_mul_u32_u24_e32 v20, 0x10001, v20
	;; [unrolled: 1-line block ×9, first 2 shown]
	v_pk_fma_f16 v29, v17, v40, v29
	v_pk_fma_f16 v30, v17, v20, v30
	v_pk_fma_f16 v31, v17, v46, v31
	v_pk_fma_f16 v32, v17, v21, v32
	v_pk_fma_f16 v33, v17, v47, v33
	v_pk_fma_f16 v34, v17, v22, v34
	v_pk_fma_f16 v35, v17, v48, v35
	v_pk_fma_f16 v19, v17, v23, v19
	v_pk_fma_f16 v37, v17, v49, v16
	ds_load_2addr_b32 v[16:17], v18 offset0:64 offset1:96
	ds_load_b128 v[20:23], v177 offset:9376
	s_wait_dscnt 0x0
	v_lshrrev_b32_e32 v38, 16, v20
	v_and_b32_e32 v20, 0xffff, v20
	v_dual_lshrrev_b32 v39, 16, v21 :: v_dual_lshrrev_b32 v40, 16, v22
	v_lshrrev_b32_e32 v42, 16, v23
	s_delay_alu instid0(VALU_DEP_4) | instskip(NEXT) | instid1(VALU_DEP_4)
	v_mul_u32_u24_e32 v38, 0x10001, v38
	v_mul_u32_u24_e32 v43, 0x10001, v20
	v_and_b32_e32 v20, 0xffff, v21
	v_mul_u32_u24_e32 v39, 0x10001, v39
	v_mul_u32_u24_e32 v40, 0x10001, v40
	v_pk_fma_f16 v36, v16, v38, v36
	v_pk_fma_f16 v41, v16, v43, v41
	v_mul_u32_u24_e32 v44, 0x10001, v20
	v_and_b32_e32 v20, 0xffff, v22
	v_pk_fma_f16 v25, v16, v39, v25
	v_pk_fma_f16 v27, v16, v40, v27
	s_delay_alu instid0(VALU_DEP_4) | instskip(NEXT) | instid1(VALU_DEP_4)
	v_pk_fma_f16 v24, v16, v44, v24
	v_mul_u32_u24_e32 v45, 0x10001, v20
	v_and_b32_e32 v20, 0xffff, v23
	s_delay_alu instid0(VALU_DEP_2) | instskip(NEXT) | instid1(VALU_DEP_2)
	v_pk_fma_f16 v26, v16, v45, v26
	v_mul_u32_u24_e32 v46, 0x10001, v20
	ds_load_b128 v[20:23], v177 offset:10400
	v_pk_fma_f16 v28, v16, v46, v28
	s_wait_dscnt 0x0
	v_dual_lshrrev_b32 v47, 16, v20 :: v_dual_lshrrev_b32 v48, 16, v21
	v_dual_lshrrev_b32 v49, 16, v22 :: v_dual_lshrrev_b32 v50, 16, v23
	v_and_b32_e32 v20, 0xffff, v20
	v_and_b32_e32 v21, 0xffff, v21
	;; [unrolled: 1-line block ×4, first 2 shown]
	v_mul_u32_u24_e32 v42, 0x10001, v42
	v_mul_u32_u24_e32 v20, 0x10001, v20
	;; [unrolled: 1-line block ×6, first 2 shown]
	v_pk_fma_f16 v30, v16, v20, v30
	v_pk_fma_f16 v32, v16, v21, v32
	;; [unrolled: 1-line block ×4, first 2 shown]
	ds_load_b128 v[20:23], v177 offset:9392
	v_mul_u32_u24_e32 v48, 0x10001, v48
	v_mul_u32_u24_e32 v49, 0x10001, v49
	;; [unrolled: 1-line block ×3, first 2 shown]
	v_pk_fma_f16 v29, v16, v42, v29
	v_pk_fma_f16 v31, v16, v47, v31
	;; [unrolled: 1-line block ×5, first 2 shown]
	s_wait_dscnt 0x0
	v_lshrrev_b32_e32 v37, 16, v20
	v_and_b32_e32 v20, 0xffff, v20
	v_dual_lshrrev_b32 v38, 16, v21 :: v_dual_lshrrev_b32 v39, 16, v22
	v_lshrrev_b32_e32 v40, 16, v23
	s_delay_alu instid0(VALU_DEP_4) | instskip(NEXT) | instid1(VALU_DEP_4)
	v_mul_u32_u24_e32 v37, 0x10001, v37
	v_mul_u32_u24_e32 v42, 0x10001, v20
	v_and_b32_e32 v20, 0xffff, v21
	v_mul_u32_u24_e32 v38, 0x10001, v38
	v_mul_u32_u24_e32 v39, 0x10001, v39
	v_pk_fma_f16 v36, v17, v37, v36
	v_pk_fma_f16 v41, v17, v42, v41
	v_mul_u32_u24_e32 v43, 0x10001, v20
	v_and_b32_e32 v20, 0xffff, v22
	v_pk_fma_f16 v25, v17, v38, v25
	v_pk_fma_f16 v27, v17, v39, v27
	s_delay_alu instid0(VALU_DEP_4) | instskip(NEXT) | instid1(VALU_DEP_4)
	v_pk_fma_f16 v24, v17, v43, v24
	v_mul_u32_u24_e32 v44, 0x10001, v20
	v_and_b32_e32 v20, 0xffff, v23
	s_delay_alu instid0(VALU_DEP_2) | instskip(NEXT) | instid1(VALU_DEP_2)
	v_pk_fma_f16 v26, v17, v44, v26
	v_mul_u32_u24_e32 v45, 0x10001, v20
	ds_load_b128 v[20:23], v177 offset:10416
	v_pk_fma_f16 v28, v17, v45, v28
	s_wait_dscnt 0x0
	v_dual_lshrrev_b32 v46, 16, v20 :: v_dual_lshrrev_b32 v47, 16, v21
	v_dual_lshrrev_b32 v48, 16, v22 :: v_dual_lshrrev_b32 v49, 16, v23
	v_and_b32_e32 v20, 0xffff, v20
	v_and_b32_e32 v21, 0xffff, v21
	;; [unrolled: 1-line block ×4, first 2 shown]
	v_mul_u32_u24_e32 v40, 0x10001, v40
	v_mul_u32_u24_e32 v20, 0x10001, v20
	;; [unrolled: 1-line block ×9, first 2 shown]
	v_pk_fma_f16 v29, v17, v40, v29
	v_pk_fma_f16 v30, v17, v20, v30
	;; [unrolled: 1-line block ×9, first 2 shown]
	ds_load_2addr_b32 v[16:17], v18 offset0:128 offset1:160
	ds_load_b128 v[20:23], v177 offset:9408
	s_wait_dscnt 0x0
	v_lshrrev_b32_e32 v19, 16, v20
	v_and_b32_e32 v20, 0xffff, v20
	v_dual_lshrrev_b32 v39, 16, v21 :: v_dual_lshrrev_b32 v40, 16, v22
	v_lshrrev_b32_e32 v42, 16, v23
	s_delay_alu instid0(VALU_DEP_4) | instskip(SKIP_4) | instid1(VALU_DEP_4)
	v_mul_u32_u24_e32 v44, 0x10001, v19
	v_and_b32_e32 v19, 0xffff, v21
	v_mul_u32_u24_e32 v43, 0x10001, v20
	v_mul_u32_u24_e32 v39, 0x10001, v39
	;; [unrolled: 1-line block ×4, first 2 shown]
	v_and_b32_e32 v19, 0xffff, v22
	s_delay_alu instid0(VALU_DEP_1)
	v_mul_u32_u24_e32 v46, 0x10001, v19
	v_and_b32_e32 v19, 0xffff, v23
	ds_load_b128 v[20:23], v177 offset:10432
	v_mul_u32_u24_e32 v47, 0x10001, v19
	s_wait_dscnt 0x0
	v_dual_lshrrev_b32 v19, 16, v20 :: v_dual_lshrrev_b32 v48, 16, v21
	v_dual_lshrrev_b32 v49, 16, v22 :: v_dual_lshrrev_b32 v50, 16, v23
	v_and_b32_e32 v20, 0xffff, v20
	s_delay_alu instid0(VALU_DEP_3)
	v_mul_u32_u24_e32 v52, 0x10001, v19
	v_and_b32_e32 v19, 0xffff, v21
	v_mul_u32_u24_e32 v42, 0x10001, v42
	v_mul_u32_u24_e32 v48, 0x10001, v48
	;; [unrolled: 1-line block ×5, first 2 shown]
	v_and_b32_e32 v19, 0xffff, v22
	v_mul_u32_u24_e32 v50, 0x10001, v50
	v_pk_fma_f16 v20, v16, v44, v36
	v_pk_fma_f16 v21, v16, v45, v24
	;; [unrolled: 1-line block ×3, first 2 shown]
	v_mul_u32_u24_e32 v54, 0x10001, v19
	v_and_b32_e32 v19, 0xffff, v23
	v_pk_fma_f16 v23, v16, v46, v26
	v_pk_fma_f16 v24, v16, v40, v27
	;; [unrolled: 1-line block ×4, first 2 shown]
	v_mul_u32_u24_e32 v55, 0x10001, v19
	v_pk_fma_f16 v19, v16, v43, v41
	v_pk_fma_f16 v27, v16, v51, v30
	;; [unrolled: 1-line block ×9, first 2 shown]
	ds_load_b128 v[38:41], v177 offset:9424
	s_wait_dscnt 0x0
	v_dual_lshrrev_b32 v37, 16, v39 :: v_dual_lshrrev_b32 v42, 16, v40
	v_dual_lshrrev_b32 v43, 16, v41 :: v_dual_lshrrev_b32 v35, 16, v38
	v_and_b32_e32 v34, 0xffff, v38
	v_and_b32_e32 v36, 0xffff, v39
	;; [unrolled: 1-line block ×3, first 2 shown]
	v_mul_u32_u24_e32 v39, 0x10001, v42
	v_and_b32_e32 v40, 0xffff, v41
	v_mul_u32_u24_e32 v41, 0x10001, v43
	ds_load_b128 v[42:45], v177 offset:10448
	v_mul_u32_u24_e32 v34, 0x10001, v34
	v_mul_u32_u24_e32 v35, 0x10001, v35
	;; [unrolled: 1-line block ×6, first 2 shown]
	v_pk_fma_f16 v34, v17, v34, v19
	v_pk_fma_f16 v35, v17, v35, v20
	;; [unrolled: 1-line block ×8, first 2 shown]
	s_wait_dscnt 0x0
	v_dual_lshrrev_b32 v46, 16, v42 :: v_dual_lshrrev_b32 v47, 16, v43
	v_dual_lshrrev_b32 v48, 16, v44 :: v_dual_lshrrev_b32 v49, 16, v45
	v_and_b32_e32 v42, 0xffff, v42
	v_and_b32_e32 v43, 0xffff, v43
	;; [unrolled: 1-line block ×4, first 2 shown]
	v_mul_u32_u24_e32 v46, 0x10001, v46
	v_mul_u32_u24_e32 v42, 0x10001, v42
	v_mul_u32_u24_e32 v43, 0x10001, v43
	v_mul_u32_u24_e32 v47, 0x10001, v47
	v_mul_u32_u24_e32 v44, 0x10001, v44
	v_mul_u32_u24_e32 v48, 0x10001, v48
	v_mul_u32_u24_e32 v45, 0x10001, v45
	v_mul_u32_u24_e32 v49, 0x10001, v49
	v_pk_fma_f16 v27, v17, v42, v27
	v_pk_fma_f16 v28, v17, v46, v28
	;; [unrolled: 1-line block ×8, first 2 shown]
	ds_load_2addr_b32 v[16:17], v18 offset0:192 offset1:224
	ds_load_b128 v[18:21], v177 offset:9440
	s_wait_dscnt 0x0
	v_lshrrev_b32_e32 v38, 16, v18
	v_and_b32_e32 v18, 0xffff, v18
	v_dual_lshrrev_b32 v39, 16, v19 :: v_dual_lshrrev_b32 v40, 16, v20
	v_lshrrev_b32_e32 v41, 16, v21
	s_delay_alu instid0(VALU_DEP_4) | instskip(NEXT) | instid1(VALU_DEP_4)
	v_mul_u32_u24_e32 v38, 0x10001, v38
	v_mul_u32_u24_e32 v42, 0x10001, v18
	v_and_b32_e32 v18, 0xffff, v19
	v_mul_u32_u24_e32 v39, 0x10001, v39
	v_mul_u32_u24_e32 v40, 0x10001, v40
	s_delay_alu instid0(VALU_DEP_3) | instskip(SKIP_1) | instid1(VALU_DEP_1)
	v_mul_u32_u24_e32 v43, 0x10001, v18
	v_and_b32_e32 v18, 0xffff, v20
	v_mul_u32_u24_e32 v44, 0x10001, v18
	v_and_b32_e32 v18, 0xffff, v21
	s_delay_alu instid0(VALU_DEP_1)
	v_mul_u32_u24_e32 v45, 0x10001, v18
	ds_load_b128 v[18:21], v177 offset:10464
	s_wait_dscnt 0x0
	v_lshrrev_b32_e32 v46, 16, v18
	v_and_b32_e32 v18, 0xffff, v18
	v_dual_lshrrev_b32 v47, 16, v19 :: v_dual_lshrrev_b32 v48, 16, v20
	v_lshrrev_b32_e32 v49, 16, v21
	v_mul_u32_u24_e32 v41, 0x10001, v41
	s_delay_alu instid0(VALU_DEP_4)
	v_mul_u32_u24_e32 v50, 0x10001, v18
	v_and_b32_e32 v18, 0xffff, v19
	v_mul_u32_u24_e32 v46, 0x10001, v46
	v_mul_u32_u24_e32 v47, 0x10001, v47
	;; [unrolled: 1-line block ×5, first 2 shown]
	v_and_b32_e32 v18, 0xffff, v20
	v_pk_fma_f16 v19, v16, v38, v35
	v_pk_fma_f16 v20, v16, v43, v36
	s_delay_alu instid0(VALU_DEP_3)
	v_mul_u32_u24_e32 v52, 0x10001, v18
	v_and_b32_e32 v18, 0xffff, v21
	v_pk_fma_f16 v21, v16, v39, v22
	v_pk_fma_f16 v22, v16, v44, v23
	;; [unrolled: 1-line block ×4, first 2 shown]
	v_mul_u32_u24_e32 v53, 0x10001, v18
	v_pk_fma_f16 v18, v16, v42, v34
	v_pk_fma_f16 v25, v16, v41, v26
	;; [unrolled: 1-line block ×10, first 2 shown]
	ds_load_b128 v[34:37], v177 offset:9456
	s_wait_dscnt 0x0
	v_lshrrev_b32_e32 v33, 16, v34
	v_and_b32_e32 v34, 0xffff, v34
	v_dual_lshrrev_b32 v38, 16, v35 :: v_dual_lshrrev_b32 v39, 16, v36
	v_lshrrev_b32_e32 v40, 16, v37
	s_delay_alu instid0(VALU_DEP_4) | instskip(NEXT) | instid1(VALU_DEP_4)
	v_mul_u32_u24_e32 v33, 0x10001, v33
	v_mul_u32_u24_e32 v41, 0x10001, v34
	v_and_b32_e32 v34, 0xffff, v35
	v_mul_u32_u24_e32 v38, 0x10001, v38
	v_mul_u32_u24_e32 v39, 0x10001, v39
	v_pk_fma_f16 v33, v17, v33, v19
	v_pk_fma_f16 v41, v17, v41, v18
	v_mul_u32_u24_e32 v42, 0x10001, v34
	v_and_b32_e32 v34, 0xffff, v36
	v_add_nc_u32_e32 v18, 0x800, v181
	v_pk_fma_f16 v38, v17, v38, v21
	v_pk_fma_f16 v39, v17, v39, v23
	;; [unrolled: 1-line block ×3, first 2 shown]
	v_mul_u32_u24_e32 v43, 0x10001, v34
	v_and_b32_e32 v34, 0xffff, v37
	s_delay_alu instid0(VALU_DEP_2) | instskip(NEXT) | instid1(VALU_DEP_2)
	v_pk_fma_f16 v43, v17, v43, v22
	v_mul_u32_u24_e32 v44, 0x10001, v34
	ds_load_b128 v[34:37], v177 offset:10480
	v_pk_fma_f16 v44, v17, v44, v24
	s_wait_dscnt 0x0
	v_dual_lshrrev_b32 v45, 16, v34 :: v_dual_lshrrev_b32 v46, 16, v35
	v_dual_lshrrev_b32 v47, 16, v36 :: v_dual_lshrrev_b32 v48, 16, v37
	v_and_b32_e32 v34, 0xffff, v34
	v_and_b32_e32 v35, 0xffff, v35
	;; [unrolled: 1-line block ×4, first 2 shown]
	v_mul_u32_u24_e32 v40, 0x10001, v40
	v_mul_u32_u24_e32 v34, 0x10001, v34
	;; [unrolled: 1-line block ×9, first 2 shown]
	v_pk_fma_f16 v40, v17, v40, v25
	v_pk_fma_f16 v34, v17, v34, v26
	;; [unrolled: 1-line block ×9, first 2 shown]
	ds_load_2addr_b32 v[16:17], v18 offset1:32
	ds_load_b128 v[20:23], v177 offset:9472
	s_wait_dscnt 0x0
	v_lshrrev_b32_e32 v19, 16, v20
	v_and_b32_e32 v20, 0xffff, v20
	v_dual_lshrrev_b32 v24, 16, v21 :: v_dual_lshrrev_b32 v25, 16, v22
	v_lshrrev_b32_e32 v26, 16, v23
	s_delay_alu instid0(VALU_DEP_4) | instskip(SKIP_4) | instid1(VALU_DEP_4)
	v_mul_u32_u24_e32 v28, 0x10001, v19
	v_and_b32_e32 v19, 0xffff, v21
	v_mul_u32_u24_e32 v27, 0x10001, v20
	v_mul_u32_u24_e32 v24, 0x10001, v24
	;; [unrolled: 1-line block ×4, first 2 shown]
	v_and_b32_e32 v19, 0xffff, v22
	s_delay_alu instid0(VALU_DEP_1)
	v_mul_u32_u24_e32 v30, 0x10001, v19
	v_and_b32_e32 v19, 0xffff, v23
	ds_load_b128 v[20:23], v177 offset:10496
	v_mul_u32_u24_e32 v31, 0x10001, v19
	s_wait_dscnt 0x0
	v_lshrrev_b32_e32 v19, 16, v20
	v_and_b32_e32 v20, 0xffff, v20
	v_dual_lshrrev_b32 v32, 16, v21 :: v_dual_lshrrev_b32 v49, 16, v22
	v_mul_u32_u24_e32 v26, 0x10001, v26
	s_delay_alu instid0(VALU_DEP_4)
	v_mul_u32_u24_e32 v52, 0x10001, v19
	v_and_b32_e32 v19, 0xffff, v21
	v_mul_u32_u24_e32 v51, 0x10001, v20
	v_pk_fma_f16 v20, v16, v28, v33
	v_pk_fma_f16 v21, v16, v29, v42
	;; [unrolled: 1-line block ×3, first 2 shown]
	v_mul_u32_u24_e32 v53, 0x10001, v19
	v_and_b32_e32 v19, 0xffff, v22
	v_pk_fma_f16 v22, v16, v24, v38
	v_pk_fma_f16 v24, v16, v25, v39
	;; [unrolled: 1-line block ×4, first 2 shown]
	v_mul_u32_u24_e32 v54, 0x10001, v19
	v_and_b32_e32 v19, 0xffff, v23
	v_pk_fma_f16 v28, v16, v52, v45
	v_mul_u32_u24_e32 v32, 0x10001, v32
	v_mul_u32_u24_e32 v49, 0x10001, v49
	v_pk_fma_f16 v31, v16, v54, v36
	v_mul_u32_u24_e32 v55, 0x10001, v19
	v_pk_fma_f16 v19, v16, v27, v41
	v_pk_fma_f16 v27, v16, v51, v34
	s_delay_alu instid0(VALU_DEP_3)
	v_pk_fma_f16 v33, v16, v55, v37
	ds_load_b128 v[34:37], v177 offset:9488
	v_lshrrev_b32_e32 v50, 16, v23
	v_pk_fma_f16 v23, v16, v30, v43
	v_pk_fma_f16 v30, v16, v32, v46
	;; [unrolled: 1-line block ×3, first 2 shown]
	s_wait_dscnt 0x0
	v_lshrrev_b32_e32 v38, 16, v34
	v_and_b32_e32 v34, 0xffff, v34
	v_dual_lshrrev_b32 v39, 16, v35 :: v_dual_lshrrev_b32 v40, 16, v36
	v_lshrrev_b32_e32 v41, 16, v37
	v_mul_u32_u24_e32 v50, 0x10001, v50
	s_delay_alu instid0(VALU_DEP_4)
	v_mul_u32_u24_e32 v42, 0x10001, v34
	v_and_b32_e32 v34, 0xffff, v35
	v_mul_u32_u24_e32 v38, 0x10001, v38
	v_mul_u32_u24_e32 v39, 0x10001, v39
	v_pk_fma_f16 v16, v16, v50, v48
	v_mul_u32_u24_e32 v40, 0x10001, v40
	v_mul_u32_u24_e32 v43, 0x10001, v34
	v_and_b32_e32 v34, 0xffff, v36
	v_pk_fma_f16 v19, v17, v42, v19
	v_pk_fma_f16 v38, v17, v38, v20
	;; [unrolled: 1-line block ×4, first 2 shown]
	v_mul_u32_u24_e32 v44, 0x10001, v34
	v_and_b32_e32 v34, 0xffff, v37
	v_pk_fma_f16 v24, v17, v40, v24
	s_delay_alu instid0(VALU_DEP_3) | instskip(NEXT) | instid1(VALU_DEP_3)
	v_pk_fma_f16 v43, v17, v44, v23
	v_mul_u32_u24_e32 v45, 0x10001, v34
	ds_load_b128 v[34:37], v177 offset:10512
	v_pk_fma_f16 v25, v17, v45, v25
	s_wait_dscnt 0x0
	v_dual_lshrrev_b32 v46, 16, v34 :: v_dual_lshrrev_b32 v47, 16, v35
	v_dual_lshrrev_b32 v48, 16, v36 :: v_dual_lshrrev_b32 v49, 16, v37
	v_and_b32_e32 v34, 0xffff, v34
	v_and_b32_e32 v35, 0xffff, v35
	;; [unrolled: 1-line block ×4, first 2 shown]
	v_mul_u32_u24_e32 v41, 0x10001, v41
	v_mul_u32_u24_e32 v34, 0x10001, v34
	;; [unrolled: 1-line block ×9, first 2 shown]
	v_pk_fma_f16 v26, v17, v41, v26
	v_pk_fma_f16 v27, v17, v34, v27
	;; [unrolled: 1-line block ×9, first 2 shown]
	ds_load_2addr_b32 v[16:17], v18 offset0:64 offset1:96
	ds_load_b128 v[20:23], v177 offset:9504
	s_wait_dscnt 0x0
	v_lshrrev_b32_e32 v35, 16, v20
	v_and_b32_e32 v20, 0xffff, v20
	v_dual_lshrrev_b32 v36, 16, v21 :: v_dual_lshrrev_b32 v37, 16, v22
	v_lshrrev_b32_e32 v40, 16, v23
	s_delay_alu instid0(VALU_DEP_4) | instskip(NEXT) | instid1(VALU_DEP_4)
	v_mul_u32_u24_e32 v35, 0x10001, v35
	v_mul_u32_u24_e32 v41, 0x10001, v20
	v_and_b32_e32 v20, 0xffff, v21
	v_mul_u32_u24_e32 v36, 0x10001, v36
	v_mul_u32_u24_e32 v37, 0x10001, v37
	s_delay_alu instid0(VALU_DEP_4) | instskip(NEXT) | instid1(VALU_DEP_4)
	v_pk_fma_f16 v19, v16, v41, v19
	v_mul_u32_u24_e32 v44, 0x10001, v20
	v_and_b32_e32 v20, 0xffff, v22
	s_delay_alu instid0(VALU_DEP_4) | instskip(NEXT) | instid1(VALU_DEP_2)
	v_pk_fma_f16 v24, v16, v37, v24
	v_mul_u32_u24_e32 v45, 0x10001, v20
	v_and_b32_e32 v20, 0xffff, v23
	s_delay_alu instid0(VALU_DEP_1)
	v_mul_u32_u24_e32 v46, 0x10001, v20
	ds_load_b128 v[20:23], v177 offset:10528
	v_pk_fma_f16 v25, v16, v46, v25
	s_wait_dscnt 0x0
	v_lshrrev_b32_e32 v47, 16, v20
	v_and_b32_e32 v20, 0xffff, v20
	v_dual_lshrrev_b32 v48, 16, v21 :: v_dual_lshrrev_b32 v49, 16, v22
	v_lshrrev_b32_e32 v50, 16, v23
	v_mul_u32_u24_e32 v40, 0x10001, v40
	s_delay_alu instid0(VALU_DEP_4)
	v_mul_u32_u24_e32 v51, 0x10001, v20
	v_and_b32_e32 v20, 0xffff, v21
	v_mul_u32_u24_e32 v47, 0x10001, v47
	v_mul_u32_u24_e32 v48, 0x10001, v48
	;; [unrolled: 1-line block ×5, first 2 shown]
	v_and_b32_e32 v20, 0xffff, v22
	v_pk_fma_f16 v21, v16, v44, v42
	v_pk_fma_f16 v22, v16, v36, v39
	;; [unrolled: 1-line block ×4, first 2 shown]
	v_mul_u32_u24_e32 v53, 0x10001, v20
	v_and_b32_e32 v20, 0xffff, v23
	v_pk_fma_f16 v23, v16, v45, v43
	v_pk_fma_f16 v28, v16, v47, v28
	;; [unrolled: 1-line block ×4, first 2 shown]
	v_mul_u32_u24_e32 v54, 0x10001, v20
	v_pk_fma_f16 v20, v16, v35, v38
	v_pk_fma_f16 v31, v16, v53, v31
	;; [unrolled: 1-line block ×3, first 2 shown]
	s_delay_alu instid0(VALU_DEP_4)
	v_pk_fma_f16 v33, v16, v54, v33
	v_pk_fma_f16 v16, v16, v50, v34
	ds_load_b128 v[34:37], v177 offset:9520
	s_wait_dscnt 0x0
	v_lshrrev_b32_e32 v38, 16, v34
	v_and_b32_e32 v34, 0xffff, v34
	v_dual_lshrrev_b32 v39, 16, v35 :: v_dual_lshrrev_b32 v40, 16, v36
	v_lshrrev_b32_e32 v41, 16, v37
	s_delay_alu instid0(VALU_DEP_4) | instskip(NEXT) | instid1(VALU_DEP_4)
	v_mul_u32_u24_e32 v38, 0x10001, v38
	v_mul_u32_u24_e32 v42, 0x10001, v34
	v_and_b32_e32 v34, 0xffff, v35
	v_mul_u32_u24_e32 v39, 0x10001, v39
	v_mul_u32_u24_e32 v40, 0x10001, v40
	v_pk_fma_f16 v38, v17, v38, v20
	v_pk_fma_f16 v19, v17, v42, v19
	v_mul_u32_u24_e32 v43, 0x10001, v34
	v_and_b32_e32 v34, 0xffff, v36
	v_pk_fma_f16 v39, v17, v39, v22
	v_pk_fma_f16 v24, v17, v40, v24
	s_delay_alu instid0(VALU_DEP_4) | instskip(NEXT) | instid1(VALU_DEP_4)
	v_pk_fma_f16 v42, v17, v43, v21
	v_mul_u32_u24_e32 v44, 0x10001, v34
	v_and_b32_e32 v34, 0xffff, v37
	s_delay_alu instid0(VALU_DEP_2) | instskip(NEXT) | instid1(VALU_DEP_2)
	v_pk_fma_f16 v43, v17, v44, v23
	v_mul_u32_u24_e32 v45, 0x10001, v34
	ds_load_b128 v[34:37], v177 offset:10544
	v_pk_fma_f16 v25, v17, v45, v25
	s_wait_dscnt 0x0
	v_dual_lshrrev_b32 v46, 16, v34 :: v_dual_lshrrev_b32 v47, 16, v35
	v_dual_lshrrev_b32 v48, 16, v36 :: v_dual_lshrrev_b32 v49, 16, v37
	v_and_b32_e32 v34, 0xffff, v34
	v_and_b32_e32 v35, 0xffff, v35
	;; [unrolled: 1-line block ×4, first 2 shown]
	v_mul_u32_u24_e32 v41, 0x10001, v41
	v_mul_u32_u24_e32 v34, 0x10001, v34
	;; [unrolled: 1-line block ×9, first 2 shown]
	v_pk_fma_f16 v26, v17, v41, v26
	v_pk_fma_f16 v27, v17, v34, v27
	;; [unrolled: 1-line block ×9, first 2 shown]
	ds_load_2addr_b32 v[16:17], v18 offset0:128 offset1:160
	ds_load_b128 v[20:23], v177 offset:9536
	s_wait_dscnt 0x0
	v_lshrrev_b32_e32 v35, 16, v20
	v_and_b32_e32 v20, 0xffff, v20
	v_dual_lshrrev_b32 v36, 16, v21 :: v_dual_lshrrev_b32 v37, 16, v22
	v_lshrrev_b32_e32 v40, 16, v23
	s_delay_alu instid0(VALU_DEP_4) | instskip(NEXT) | instid1(VALU_DEP_4)
	v_mul_u32_u24_e32 v35, 0x10001, v35
	v_mul_u32_u24_e32 v41, 0x10001, v20
	v_and_b32_e32 v20, 0xffff, v21
	v_mul_u32_u24_e32 v36, 0x10001, v36
	v_mul_u32_u24_e32 v37, 0x10001, v37
	s_delay_alu instid0(VALU_DEP_4) | instskip(NEXT) | instid1(VALU_DEP_4)
	v_pk_fma_f16 v19, v16, v41, v19
	v_mul_u32_u24_e32 v44, 0x10001, v20
	v_and_b32_e32 v20, 0xffff, v22
	s_delay_alu instid0(VALU_DEP_4) | instskip(NEXT) | instid1(VALU_DEP_2)
	v_pk_fma_f16 v24, v16, v37, v24
	v_mul_u32_u24_e32 v45, 0x10001, v20
	v_and_b32_e32 v20, 0xffff, v23
	s_delay_alu instid0(VALU_DEP_1)
	v_mul_u32_u24_e32 v46, 0x10001, v20
	ds_load_b128 v[20:23], v177 offset:10560
	v_pk_fma_f16 v25, v16, v46, v25
	s_wait_dscnt 0x0
	v_lshrrev_b32_e32 v47, 16, v20
	v_and_b32_e32 v20, 0xffff, v20
	v_dual_lshrrev_b32 v48, 16, v21 :: v_dual_lshrrev_b32 v49, 16, v22
	v_lshrrev_b32_e32 v50, 16, v23
	v_mul_u32_u24_e32 v40, 0x10001, v40
	s_delay_alu instid0(VALU_DEP_4)
	v_mul_u32_u24_e32 v51, 0x10001, v20
	v_and_b32_e32 v20, 0xffff, v21
	v_mul_u32_u24_e32 v47, 0x10001, v47
	v_mul_u32_u24_e32 v48, 0x10001, v48
	;; [unrolled: 1-line block ×5, first 2 shown]
	v_and_b32_e32 v20, 0xffff, v22
	v_pk_fma_f16 v21, v16, v44, v42
	v_pk_fma_f16 v22, v16, v36, v39
	;; [unrolled: 1-line block ×4, first 2 shown]
	v_mul_u32_u24_e32 v53, 0x10001, v20
	v_and_b32_e32 v20, 0xffff, v23
	v_pk_fma_f16 v23, v16, v45, v43
	v_pk_fma_f16 v28, v16, v47, v28
	;; [unrolled: 1-line block ×4, first 2 shown]
	v_mul_u32_u24_e32 v54, 0x10001, v20
	v_pk_fma_f16 v20, v16, v35, v38
	v_pk_fma_f16 v31, v16, v53, v31
	;; [unrolled: 1-line block ×3, first 2 shown]
	s_delay_alu instid0(VALU_DEP_4)
	v_pk_fma_f16 v33, v16, v54, v33
	v_pk_fma_f16 v16, v16, v50, v34
	ds_load_b128 v[34:37], v177 offset:9552
	s_wait_dscnt 0x0
	v_lshrrev_b32_e32 v38, 16, v34
	v_and_b32_e32 v34, 0xffff, v34
	v_dual_lshrrev_b32 v39, 16, v35 :: v_dual_lshrrev_b32 v40, 16, v36
	v_lshrrev_b32_e32 v41, 16, v37
	s_delay_alu instid0(VALU_DEP_4) | instskip(NEXT) | instid1(VALU_DEP_4)
	v_mul_u32_u24_e32 v38, 0x10001, v38
	v_mul_u32_u24_e32 v42, 0x10001, v34
	v_and_b32_e32 v34, 0xffff, v35
	v_mul_u32_u24_e32 v39, 0x10001, v39
	v_mul_u32_u24_e32 v40, 0x10001, v40
	v_pk_fma_f16 v38, v17, v38, v20
	v_pk_fma_f16 v42, v17, v42, v19
	v_mul_u32_u24_e32 v43, 0x10001, v34
	v_and_b32_e32 v34, 0xffff, v36
	v_pk_fma_f16 v22, v17, v39, v22
	v_pk_fma_f16 v24, v17, v40, v24
	s_delay_alu instid0(VALU_DEP_4) | instskip(NEXT) | instid1(VALU_DEP_4)
	v_pk_fma_f16 v43, v17, v43, v21
	v_mul_u32_u24_e32 v44, 0x10001, v34
	v_and_b32_e32 v34, 0xffff, v37
	s_delay_alu instid0(VALU_DEP_2) | instskip(NEXT) | instid1(VALU_DEP_2)
	v_pk_fma_f16 v23, v17, v44, v23
	v_mul_u32_u24_e32 v45, 0x10001, v34
	ds_load_b128 v[34:37], v177 offset:10576
	v_pk_fma_f16 v25, v17, v45, v25
	s_wait_dscnt 0x0
	v_dual_lshrrev_b32 v46, 16, v34 :: v_dual_lshrrev_b32 v47, 16, v35
	v_dual_lshrrev_b32 v48, 16, v36 :: v_dual_lshrrev_b32 v49, 16, v37
	v_and_b32_e32 v34, 0xffff, v34
	v_and_b32_e32 v35, 0xffff, v35
	;; [unrolled: 1-line block ×4, first 2 shown]
	v_mul_u32_u24_e32 v41, 0x10001, v41
	v_mul_u32_u24_e32 v34, 0x10001, v34
	;; [unrolled: 1-line block ×9, first 2 shown]
	v_pk_fma_f16 v26, v17, v41, v26
	v_pk_fma_f16 v27, v17, v34, v27
	;; [unrolled: 1-line block ×9, first 2 shown]
	ds_load_2addr_b32 v[16:17], v18 offset0:192 offset1:224
	ds_load_b128 v[18:21], v177 offset:9568
	s_wait_dscnt 0x0
	v_lshrrev_b32_e32 v35, 16, v18
	v_and_b32_e32 v18, 0xffff, v18
	v_dual_lshrrev_b32 v36, 16, v19 :: v_dual_lshrrev_b32 v37, 16, v20
	v_lshrrev_b32_e32 v39, 16, v21
	s_delay_alu instid0(VALU_DEP_4) | instskip(NEXT) | instid1(VALU_DEP_4)
	v_mul_u32_u24_e32 v35, 0x10001, v35
	v_mul_u32_u24_e32 v40, 0x10001, v18
	v_and_b32_e32 v18, 0xffff, v19
	v_mul_u32_u24_e32 v36, 0x10001, v36
	v_mul_u32_u24_e32 v37, 0x10001, v37
	s_delay_alu instid0(VALU_DEP_3) | instskip(SKIP_1) | instid1(VALU_DEP_1)
	v_mul_u32_u24_e32 v41, 0x10001, v18
	v_and_b32_e32 v18, 0xffff, v20
	v_mul_u32_u24_e32 v44, 0x10001, v18
	v_and_b32_e32 v18, 0xffff, v21
	s_delay_alu instid0(VALU_DEP_1)
	v_mul_u32_u24_e32 v45, 0x10001, v18
	ds_load_b128 v[18:21], v177 offset:10592
	s_wait_dscnt 0x0
	v_lshrrev_b32_e32 v46, 16, v18
	v_and_b32_e32 v18, 0xffff, v18
	v_dual_lshrrev_b32 v47, 16, v19 :: v_dual_lshrrev_b32 v48, 16, v20
	v_lshrrev_b32_e32 v49, 16, v21
	v_mul_u32_u24_e32 v39, 0x10001, v39
	s_delay_alu instid0(VALU_DEP_4)
	v_mul_u32_u24_e32 v50, 0x10001, v18
	v_and_b32_e32 v18, 0xffff, v19
	v_mul_u32_u24_e32 v46, 0x10001, v46
	v_mul_u32_u24_e32 v47, 0x10001, v47
	;; [unrolled: 1-line block ×5, first 2 shown]
	v_and_b32_e32 v18, 0xffff, v20
	v_pk_fma_f16 v19, v16, v35, v38
	v_pk_fma_f16 v20, v16, v41, v43
	s_delay_alu instid0(VALU_DEP_3)
	v_mul_u32_u24_e32 v52, 0x10001, v18
	v_and_b32_e32 v18, 0xffff, v21
	v_pk_fma_f16 v21, v16, v36, v22
	v_pk_fma_f16 v22, v16, v44, v23
	;; [unrolled: 1-line block ×4, first 2 shown]
	v_mul_u32_u24_e32 v53, 0x10001, v18
	v_pk_fma_f16 v18, v16, v40, v42
	v_pk_fma_f16 v25, v16, v39, v26
	;; [unrolled: 1-line block ×10, first 2 shown]
	ds_load_b128 v[34:37], v177 offset:9584
	s_wait_dscnt 0x0
	v_lshrrev_b32_e32 v33, 16, v34
	v_and_b32_e32 v34, 0xffff, v34
	v_dual_lshrrev_b32 v38, 16, v35 :: v_dual_lshrrev_b32 v39, 16, v36
	v_lshrrev_b32_e32 v40, 16, v37
	s_delay_alu instid0(VALU_DEP_4) | instskip(NEXT) | instid1(VALU_DEP_4)
	v_mul_u32_u24_e32 v33, 0x10001, v33
	v_mul_u32_u24_e32 v41, 0x10001, v34
	v_and_b32_e32 v34, 0xffff, v35
	v_mul_u32_u24_e32 v38, 0x10001, v38
	v_mul_u32_u24_e32 v39, 0x10001, v39
	v_pk_fma_f16 v33, v17, v33, v19
	v_pk_fma_f16 v41, v17, v41, v18
	v_mul_u32_u24_e32 v42, 0x10001, v34
	v_and_b32_e32 v34, 0xffff, v36
	v_add_nc_u32_e32 v18, 0xc00, v181
	v_pk_fma_f16 v38, v17, v38, v21
	v_pk_fma_f16 v39, v17, v39, v23
	;; [unrolled: 1-line block ×3, first 2 shown]
	v_mul_u32_u24_e32 v43, 0x10001, v34
	v_and_b32_e32 v34, 0xffff, v37
	s_delay_alu instid0(VALU_DEP_2) | instskip(NEXT) | instid1(VALU_DEP_2)
	v_pk_fma_f16 v43, v17, v43, v22
	v_mul_u32_u24_e32 v44, 0x10001, v34
	ds_load_b128 v[34:37], v177 offset:10608
	v_pk_fma_f16 v44, v17, v44, v24
	s_wait_dscnt 0x0
	v_dual_lshrrev_b32 v45, 16, v34 :: v_dual_lshrrev_b32 v46, 16, v35
	v_dual_lshrrev_b32 v47, 16, v36 :: v_dual_lshrrev_b32 v48, 16, v37
	v_and_b32_e32 v34, 0xffff, v34
	v_and_b32_e32 v35, 0xffff, v35
	;; [unrolled: 1-line block ×4, first 2 shown]
	v_mul_u32_u24_e32 v40, 0x10001, v40
	v_mul_u32_u24_e32 v34, 0x10001, v34
	;; [unrolled: 1-line block ×9, first 2 shown]
	v_pk_fma_f16 v40, v17, v40, v25
	v_pk_fma_f16 v34, v17, v34, v26
	;; [unrolled: 1-line block ×9, first 2 shown]
	ds_load_2addr_b32 v[16:17], v18 offset1:32
	ds_load_b128 v[20:23], v177 offset:9600
	s_wait_dscnt 0x0
	v_lshrrev_b32_e32 v19, 16, v20
	v_and_b32_e32 v20, 0xffff, v20
	v_dual_lshrrev_b32 v24, 16, v21 :: v_dual_lshrrev_b32 v25, 16, v22
	v_lshrrev_b32_e32 v26, 16, v23
	s_delay_alu instid0(VALU_DEP_4) | instskip(SKIP_4) | instid1(VALU_DEP_4)
	v_mul_u32_u24_e32 v28, 0x10001, v19
	v_and_b32_e32 v19, 0xffff, v21
	v_mul_u32_u24_e32 v27, 0x10001, v20
	v_mul_u32_u24_e32 v24, 0x10001, v24
	;; [unrolled: 1-line block ×4, first 2 shown]
	v_and_b32_e32 v19, 0xffff, v22
	s_delay_alu instid0(VALU_DEP_1)
	v_mul_u32_u24_e32 v30, 0x10001, v19
	v_and_b32_e32 v19, 0xffff, v23
	ds_load_b128 v[20:23], v177 offset:10624
	v_mul_u32_u24_e32 v31, 0x10001, v19
	s_wait_dscnt 0x0
	v_lshrrev_b32_e32 v19, 16, v20
	v_and_b32_e32 v20, 0xffff, v20
	v_dual_lshrrev_b32 v32, 16, v21 :: v_dual_lshrrev_b32 v49, 16, v22
	v_mul_u32_u24_e32 v26, 0x10001, v26
	s_delay_alu instid0(VALU_DEP_4)
	v_mul_u32_u24_e32 v52, 0x10001, v19
	v_and_b32_e32 v19, 0xffff, v21
	v_mul_u32_u24_e32 v51, 0x10001, v20
	v_pk_fma_f16 v20, v16, v28, v33
	v_pk_fma_f16 v21, v16, v29, v42
	;; [unrolled: 1-line block ×3, first 2 shown]
	v_mul_u32_u24_e32 v53, 0x10001, v19
	v_and_b32_e32 v19, 0xffff, v22
	v_pk_fma_f16 v22, v16, v24, v38
	v_pk_fma_f16 v24, v16, v25, v39
	;; [unrolled: 1-line block ×4, first 2 shown]
	v_mul_u32_u24_e32 v54, 0x10001, v19
	v_and_b32_e32 v19, 0xffff, v23
	v_pk_fma_f16 v28, v16, v52, v45
	v_mul_u32_u24_e32 v32, 0x10001, v32
	v_mul_u32_u24_e32 v49, 0x10001, v49
	v_pk_fma_f16 v31, v16, v54, v36
	v_mul_u32_u24_e32 v55, 0x10001, v19
	v_pk_fma_f16 v19, v16, v27, v41
	v_pk_fma_f16 v27, v16, v51, v34
	s_delay_alu instid0(VALU_DEP_3)
	v_pk_fma_f16 v33, v16, v55, v37
	ds_load_b128 v[34:37], v177 offset:9616
	v_lshrrev_b32_e32 v50, 16, v23
	v_pk_fma_f16 v23, v16, v30, v43
	v_pk_fma_f16 v30, v16, v32, v46
	;; [unrolled: 1-line block ×3, first 2 shown]
	s_wait_dscnt 0x0
	v_lshrrev_b32_e32 v38, 16, v34
	v_and_b32_e32 v34, 0xffff, v34
	v_dual_lshrrev_b32 v39, 16, v35 :: v_dual_lshrrev_b32 v40, 16, v36
	v_lshrrev_b32_e32 v41, 16, v37
	v_mul_u32_u24_e32 v50, 0x10001, v50
	s_delay_alu instid0(VALU_DEP_4)
	v_mul_u32_u24_e32 v42, 0x10001, v34
	v_and_b32_e32 v34, 0xffff, v35
	v_mul_u32_u24_e32 v38, 0x10001, v38
	v_mul_u32_u24_e32 v39, 0x10001, v39
	v_pk_fma_f16 v16, v16, v50, v48
	v_mul_u32_u24_e32 v40, 0x10001, v40
	v_mul_u32_u24_e32 v43, 0x10001, v34
	v_and_b32_e32 v34, 0xffff, v36
	v_pk_fma_f16 v19, v17, v42, v19
	v_pk_fma_f16 v38, v17, v38, v20
	v_pk_fma_f16 v39, v17, v39, v22
	v_pk_fma_f16 v42, v17, v43, v21
	v_mul_u32_u24_e32 v44, 0x10001, v34
	v_and_b32_e32 v34, 0xffff, v37
	v_pk_fma_f16 v24, v17, v40, v24
	s_delay_alu instid0(VALU_DEP_3) | instskip(NEXT) | instid1(VALU_DEP_3)
	v_pk_fma_f16 v43, v17, v44, v23
	v_mul_u32_u24_e32 v45, 0x10001, v34
	ds_load_b128 v[34:37], v177 offset:10640
	v_pk_fma_f16 v25, v17, v45, v25
	s_wait_dscnt 0x0
	v_dual_lshrrev_b32 v46, 16, v34 :: v_dual_lshrrev_b32 v47, 16, v35
	v_dual_lshrrev_b32 v48, 16, v36 :: v_dual_lshrrev_b32 v49, 16, v37
	v_and_b32_e32 v34, 0xffff, v34
	v_and_b32_e32 v35, 0xffff, v35
	;; [unrolled: 1-line block ×4, first 2 shown]
	v_mul_u32_u24_e32 v41, 0x10001, v41
	v_mul_u32_u24_e32 v34, 0x10001, v34
	;; [unrolled: 1-line block ×9, first 2 shown]
	v_pk_fma_f16 v26, v17, v41, v26
	v_pk_fma_f16 v27, v17, v34, v27
	;; [unrolled: 1-line block ×9, first 2 shown]
	ds_load_2addr_b32 v[16:17], v18 offset0:64 offset1:96
	ds_load_b128 v[20:23], v177 offset:9632
	s_wait_dscnt 0x0
	v_lshrrev_b32_e32 v35, 16, v20
	v_and_b32_e32 v20, 0xffff, v20
	v_dual_lshrrev_b32 v36, 16, v21 :: v_dual_lshrrev_b32 v37, 16, v22
	v_lshrrev_b32_e32 v40, 16, v23
	s_delay_alu instid0(VALU_DEP_4) | instskip(NEXT) | instid1(VALU_DEP_4)
	v_mul_u32_u24_e32 v35, 0x10001, v35
	v_mul_u32_u24_e32 v41, 0x10001, v20
	v_and_b32_e32 v20, 0xffff, v21
	v_mul_u32_u24_e32 v36, 0x10001, v36
	v_mul_u32_u24_e32 v37, 0x10001, v37
	s_delay_alu instid0(VALU_DEP_4) | instskip(NEXT) | instid1(VALU_DEP_4)
	v_pk_fma_f16 v19, v16, v41, v19
	v_mul_u32_u24_e32 v44, 0x10001, v20
	v_and_b32_e32 v20, 0xffff, v22
	s_delay_alu instid0(VALU_DEP_4) | instskip(NEXT) | instid1(VALU_DEP_2)
	v_pk_fma_f16 v24, v16, v37, v24
	v_mul_u32_u24_e32 v45, 0x10001, v20
	v_and_b32_e32 v20, 0xffff, v23
	s_delay_alu instid0(VALU_DEP_1)
	v_mul_u32_u24_e32 v46, 0x10001, v20
	ds_load_b128 v[20:23], v177 offset:10656
	v_pk_fma_f16 v25, v16, v46, v25
	s_wait_dscnt 0x0
	v_lshrrev_b32_e32 v47, 16, v20
	v_and_b32_e32 v20, 0xffff, v20
	v_dual_lshrrev_b32 v48, 16, v21 :: v_dual_lshrrev_b32 v49, 16, v22
	v_lshrrev_b32_e32 v50, 16, v23
	v_mul_u32_u24_e32 v40, 0x10001, v40
	s_delay_alu instid0(VALU_DEP_4)
	v_mul_u32_u24_e32 v51, 0x10001, v20
	v_and_b32_e32 v20, 0xffff, v21
	v_mul_u32_u24_e32 v47, 0x10001, v47
	v_mul_u32_u24_e32 v48, 0x10001, v48
	;; [unrolled: 1-line block ×5, first 2 shown]
	v_and_b32_e32 v20, 0xffff, v22
	v_pk_fma_f16 v21, v16, v44, v42
	v_pk_fma_f16 v22, v16, v36, v39
	;; [unrolled: 1-line block ×4, first 2 shown]
	v_mul_u32_u24_e32 v53, 0x10001, v20
	v_and_b32_e32 v20, 0xffff, v23
	v_pk_fma_f16 v23, v16, v45, v43
	v_pk_fma_f16 v28, v16, v47, v28
	;; [unrolled: 1-line block ×4, first 2 shown]
	v_mul_u32_u24_e32 v54, 0x10001, v20
	v_pk_fma_f16 v20, v16, v35, v38
	v_pk_fma_f16 v31, v16, v53, v31
	;; [unrolled: 1-line block ×3, first 2 shown]
	s_delay_alu instid0(VALU_DEP_4)
	v_pk_fma_f16 v33, v16, v54, v33
	v_pk_fma_f16 v16, v16, v50, v34
	ds_load_b128 v[34:37], v177 offset:9648
	s_wait_dscnt 0x0
	v_lshrrev_b32_e32 v38, 16, v34
	v_and_b32_e32 v34, 0xffff, v34
	v_dual_lshrrev_b32 v39, 16, v35 :: v_dual_lshrrev_b32 v40, 16, v36
	v_lshrrev_b32_e32 v41, 16, v37
	s_delay_alu instid0(VALU_DEP_4) | instskip(NEXT) | instid1(VALU_DEP_4)
	v_mul_u32_u24_e32 v38, 0x10001, v38
	v_mul_u32_u24_e32 v42, 0x10001, v34
	v_and_b32_e32 v34, 0xffff, v35
	v_mul_u32_u24_e32 v39, 0x10001, v39
	v_mul_u32_u24_e32 v40, 0x10001, v40
	v_pk_fma_f16 v38, v17, v38, v20
	v_pk_fma_f16 v19, v17, v42, v19
	v_mul_u32_u24_e32 v43, 0x10001, v34
	v_and_b32_e32 v34, 0xffff, v36
	v_pk_fma_f16 v39, v17, v39, v22
	v_pk_fma_f16 v24, v17, v40, v24
	s_delay_alu instid0(VALU_DEP_4) | instskip(NEXT) | instid1(VALU_DEP_4)
	v_pk_fma_f16 v42, v17, v43, v21
	v_mul_u32_u24_e32 v44, 0x10001, v34
	v_and_b32_e32 v34, 0xffff, v37
	s_delay_alu instid0(VALU_DEP_2) | instskip(NEXT) | instid1(VALU_DEP_2)
	v_pk_fma_f16 v43, v17, v44, v23
	v_mul_u32_u24_e32 v45, 0x10001, v34
	ds_load_b128 v[34:37], v177 offset:10672
	v_pk_fma_f16 v25, v17, v45, v25
	s_wait_dscnt 0x0
	v_dual_lshrrev_b32 v46, 16, v34 :: v_dual_lshrrev_b32 v47, 16, v35
	v_dual_lshrrev_b32 v48, 16, v36 :: v_dual_lshrrev_b32 v49, 16, v37
	v_and_b32_e32 v34, 0xffff, v34
	v_and_b32_e32 v35, 0xffff, v35
	;; [unrolled: 1-line block ×4, first 2 shown]
	v_mul_u32_u24_e32 v41, 0x10001, v41
	v_mul_u32_u24_e32 v34, 0x10001, v34
	;; [unrolled: 1-line block ×9, first 2 shown]
	v_pk_fma_f16 v26, v17, v41, v26
	v_pk_fma_f16 v27, v17, v34, v27
	;; [unrolled: 1-line block ×9, first 2 shown]
	ds_load_2addr_b32 v[16:17], v18 offset0:128 offset1:160
	ds_load_b128 v[20:23], v177 offset:9664
	s_wait_dscnt 0x0
	v_lshrrev_b32_e32 v35, 16, v20
	v_and_b32_e32 v20, 0xffff, v20
	v_dual_lshrrev_b32 v36, 16, v21 :: v_dual_lshrrev_b32 v37, 16, v22
	v_lshrrev_b32_e32 v40, 16, v23
	s_delay_alu instid0(VALU_DEP_4) | instskip(NEXT) | instid1(VALU_DEP_4)
	v_mul_u32_u24_e32 v35, 0x10001, v35
	v_mul_u32_u24_e32 v41, 0x10001, v20
	v_and_b32_e32 v20, 0xffff, v21
	v_mul_u32_u24_e32 v36, 0x10001, v36
	v_mul_u32_u24_e32 v37, 0x10001, v37
	s_delay_alu instid0(VALU_DEP_4) | instskip(NEXT) | instid1(VALU_DEP_4)
	v_pk_fma_f16 v19, v16, v41, v19
	v_mul_u32_u24_e32 v44, 0x10001, v20
	v_and_b32_e32 v20, 0xffff, v22
	s_delay_alu instid0(VALU_DEP_4) | instskip(NEXT) | instid1(VALU_DEP_2)
	v_pk_fma_f16 v24, v16, v37, v24
	v_mul_u32_u24_e32 v45, 0x10001, v20
	v_and_b32_e32 v20, 0xffff, v23
	s_delay_alu instid0(VALU_DEP_1)
	v_mul_u32_u24_e32 v46, 0x10001, v20
	ds_load_b128 v[20:23], v177 offset:10688
	v_pk_fma_f16 v25, v16, v46, v25
	s_wait_dscnt 0x0
	v_lshrrev_b32_e32 v47, 16, v20
	v_and_b32_e32 v20, 0xffff, v20
	v_dual_lshrrev_b32 v48, 16, v21 :: v_dual_lshrrev_b32 v49, 16, v22
	v_lshrrev_b32_e32 v50, 16, v23
	v_mul_u32_u24_e32 v40, 0x10001, v40
	s_delay_alu instid0(VALU_DEP_4)
	v_mul_u32_u24_e32 v51, 0x10001, v20
	v_and_b32_e32 v20, 0xffff, v21
	v_mul_u32_u24_e32 v47, 0x10001, v47
	v_mul_u32_u24_e32 v48, 0x10001, v48
	v_mul_u32_u24_e32 v49, 0x10001, v49
	v_mul_u32_u24_e32 v50, 0x10001, v50
	v_mul_u32_u24_e32 v52, 0x10001, v20
	v_and_b32_e32 v20, 0xffff, v22
	v_pk_fma_f16 v21, v16, v44, v42
	v_pk_fma_f16 v22, v16, v36, v39
	;; [unrolled: 1-line block ×4, first 2 shown]
	v_mul_u32_u24_e32 v53, 0x10001, v20
	v_and_b32_e32 v20, 0xffff, v23
	v_pk_fma_f16 v23, v16, v45, v43
	v_pk_fma_f16 v28, v16, v47, v28
	;; [unrolled: 1-line block ×4, first 2 shown]
	v_mul_u32_u24_e32 v54, 0x10001, v20
	v_pk_fma_f16 v20, v16, v35, v38
	v_pk_fma_f16 v31, v16, v53, v31
	;; [unrolled: 1-line block ×3, first 2 shown]
	s_delay_alu instid0(VALU_DEP_4)
	v_pk_fma_f16 v33, v16, v54, v33
	v_pk_fma_f16 v16, v16, v50, v34
	ds_load_b128 v[34:37], v177 offset:9680
	s_wait_dscnt 0x0
	v_lshrrev_b32_e32 v38, 16, v34
	v_and_b32_e32 v34, 0xffff, v34
	v_dual_lshrrev_b32 v39, 16, v35 :: v_dual_lshrrev_b32 v40, 16, v36
	v_lshrrev_b32_e32 v41, 16, v37
	s_delay_alu instid0(VALU_DEP_4) | instskip(NEXT) | instid1(VALU_DEP_4)
	v_mul_u32_u24_e32 v38, 0x10001, v38
	v_mul_u32_u24_e32 v42, 0x10001, v34
	v_and_b32_e32 v34, 0xffff, v35
	v_mul_u32_u24_e32 v39, 0x10001, v39
	v_mul_u32_u24_e32 v40, 0x10001, v40
	v_pk_fma_f16 v38, v17, v38, v20
	v_pk_fma_f16 v42, v17, v42, v19
	v_mul_u32_u24_e32 v43, 0x10001, v34
	v_and_b32_e32 v34, 0xffff, v36
	v_pk_fma_f16 v22, v17, v39, v22
	v_pk_fma_f16 v24, v17, v40, v24
	s_delay_alu instid0(VALU_DEP_4) | instskip(NEXT) | instid1(VALU_DEP_4)
	v_pk_fma_f16 v43, v17, v43, v21
	v_mul_u32_u24_e32 v44, 0x10001, v34
	v_and_b32_e32 v34, 0xffff, v37
	s_delay_alu instid0(VALU_DEP_2) | instskip(NEXT) | instid1(VALU_DEP_2)
	v_pk_fma_f16 v23, v17, v44, v23
	v_mul_u32_u24_e32 v45, 0x10001, v34
	ds_load_b128 v[34:37], v177 offset:10704
	v_pk_fma_f16 v25, v17, v45, v25
	s_wait_dscnt 0x0
	v_dual_lshrrev_b32 v46, 16, v34 :: v_dual_lshrrev_b32 v47, 16, v35
	v_dual_lshrrev_b32 v48, 16, v36 :: v_dual_lshrrev_b32 v49, 16, v37
	v_and_b32_e32 v34, 0xffff, v34
	v_and_b32_e32 v35, 0xffff, v35
	v_and_b32_e32 v36, 0xffff, v36
	v_and_b32_e32 v37, 0xffff, v37
	v_mul_u32_u24_e32 v41, 0x10001, v41
	v_mul_u32_u24_e32 v34, 0x10001, v34
	;; [unrolled: 1-line block ×9, first 2 shown]
	v_pk_fma_f16 v26, v17, v41, v26
	v_pk_fma_f16 v27, v17, v34, v27
	v_pk_fma_f16 v28, v17, v46, v28
	v_pk_fma_f16 v29, v17, v35, v29
	v_pk_fma_f16 v30, v17, v47, v30
	v_pk_fma_f16 v31, v17, v36, v31
	v_pk_fma_f16 v32, v17, v48, v32
	v_pk_fma_f16 v33, v17, v37, v33
	v_pk_fma_f16 v34, v17, v49, v16
	ds_load_2addr_b32 v[16:17], v18 offset0:192 offset1:224
	ds_load_b128 v[18:21], v177 offset:9696
	s_wait_dscnt 0x0
	v_lshrrev_b32_e32 v35, 16, v18
	v_and_b32_e32 v18, 0xffff, v18
	v_dual_lshrrev_b32 v36, 16, v19 :: v_dual_lshrrev_b32 v37, 16, v20
	v_lshrrev_b32_e32 v39, 16, v21
	s_delay_alu instid0(VALU_DEP_4) | instskip(NEXT) | instid1(VALU_DEP_4)
	v_mul_u32_u24_e32 v35, 0x10001, v35
	v_mul_u32_u24_e32 v40, 0x10001, v18
	v_and_b32_e32 v18, 0xffff, v19
	v_mul_u32_u24_e32 v36, 0x10001, v36
	v_mul_u32_u24_e32 v37, 0x10001, v37
	s_delay_alu instid0(VALU_DEP_3) | instskip(SKIP_1) | instid1(VALU_DEP_1)
	v_mul_u32_u24_e32 v41, 0x10001, v18
	v_and_b32_e32 v18, 0xffff, v20
	v_mul_u32_u24_e32 v44, 0x10001, v18
	v_and_b32_e32 v18, 0xffff, v21
	s_delay_alu instid0(VALU_DEP_1)
	v_mul_u32_u24_e32 v45, 0x10001, v18
	ds_load_b128 v[18:21], v177 offset:10720
	s_wait_dscnt 0x0
	v_lshrrev_b32_e32 v46, 16, v18
	v_and_b32_e32 v18, 0xffff, v18
	v_dual_lshrrev_b32 v47, 16, v19 :: v_dual_lshrrev_b32 v48, 16, v20
	v_lshrrev_b32_e32 v49, 16, v21
	v_mul_u32_u24_e32 v39, 0x10001, v39
	s_delay_alu instid0(VALU_DEP_4)
	v_mul_u32_u24_e32 v50, 0x10001, v18
	v_and_b32_e32 v18, 0xffff, v19
	v_mul_u32_u24_e32 v46, 0x10001, v46
	v_mul_u32_u24_e32 v47, 0x10001, v47
	;; [unrolled: 1-line block ×5, first 2 shown]
	v_and_b32_e32 v18, 0xffff, v20
	v_pk_fma_f16 v19, v16, v35, v38
	v_pk_fma_f16 v20, v16, v41, v43
	s_delay_alu instid0(VALU_DEP_3)
	v_mul_u32_u24_e32 v52, 0x10001, v18
	v_and_b32_e32 v18, 0xffff, v21
	v_pk_fma_f16 v21, v16, v36, v22
	v_pk_fma_f16 v22, v16, v44, v23
	;; [unrolled: 1-line block ×4, first 2 shown]
	v_mul_u32_u24_e32 v53, 0x10001, v18
	v_pk_fma_f16 v18, v16, v40, v42
	v_pk_fma_f16 v25, v16, v39, v26
	;; [unrolled: 1-line block ×10, first 2 shown]
	ds_load_b128 v[34:37], v177 offset:9712
	s_wait_dscnt 0x0
	v_lshrrev_b32_e32 v33, 16, v34
	v_and_b32_e32 v34, 0xffff, v34
	v_dual_lshrrev_b32 v38, 16, v35 :: v_dual_lshrrev_b32 v39, 16, v36
	v_lshrrev_b32_e32 v40, 16, v37
	s_delay_alu instid0(VALU_DEP_4) | instskip(NEXT) | instid1(VALU_DEP_4)
	v_mul_u32_u24_e32 v33, 0x10001, v33
	v_mul_u32_u24_e32 v41, 0x10001, v34
	v_and_b32_e32 v34, 0xffff, v35
	v_mul_u32_u24_e32 v38, 0x10001, v38
	v_mul_u32_u24_e32 v39, 0x10001, v39
	v_pk_fma_f16 v33, v17, v33, v19
	v_pk_fma_f16 v41, v17, v41, v18
	v_mul_u32_u24_e32 v42, 0x10001, v34
	v_and_b32_e32 v34, 0xffff, v36
	v_add_nc_u32_e32 v18, 0x1000, v181
	v_pk_fma_f16 v38, v17, v38, v21
	v_pk_fma_f16 v39, v17, v39, v23
	;; [unrolled: 1-line block ×3, first 2 shown]
	v_mul_u32_u24_e32 v43, 0x10001, v34
	v_and_b32_e32 v34, 0xffff, v37
	s_delay_alu instid0(VALU_DEP_2) | instskip(NEXT) | instid1(VALU_DEP_2)
	v_pk_fma_f16 v43, v17, v43, v22
	v_mul_u32_u24_e32 v44, 0x10001, v34
	ds_load_b128 v[34:37], v177 offset:10736
	v_pk_fma_f16 v44, v17, v44, v24
	s_wait_dscnt 0x0
	v_dual_lshrrev_b32 v45, 16, v34 :: v_dual_lshrrev_b32 v46, 16, v35
	v_dual_lshrrev_b32 v47, 16, v36 :: v_dual_lshrrev_b32 v48, 16, v37
	v_and_b32_e32 v34, 0xffff, v34
	v_and_b32_e32 v35, 0xffff, v35
	;; [unrolled: 1-line block ×4, first 2 shown]
	v_mul_u32_u24_e32 v40, 0x10001, v40
	v_mul_u32_u24_e32 v34, 0x10001, v34
	;; [unrolled: 1-line block ×9, first 2 shown]
	v_pk_fma_f16 v40, v17, v40, v25
	v_pk_fma_f16 v34, v17, v34, v26
	;; [unrolled: 1-line block ×9, first 2 shown]
	ds_load_2addr_b32 v[16:17], v18 offset1:32
	ds_load_b128 v[20:23], v177 offset:9728
	s_wait_dscnt 0x0
	v_lshrrev_b32_e32 v19, 16, v20
	v_and_b32_e32 v20, 0xffff, v20
	v_dual_lshrrev_b32 v24, 16, v21 :: v_dual_lshrrev_b32 v25, 16, v22
	v_lshrrev_b32_e32 v26, 16, v23
	s_delay_alu instid0(VALU_DEP_4) | instskip(SKIP_4) | instid1(VALU_DEP_4)
	v_mul_u32_u24_e32 v28, 0x10001, v19
	v_and_b32_e32 v19, 0xffff, v21
	v_mul_u32_u24_e32 v27, 0x10001, v20
	v_mul_u32_u24_e32 v24, 0x10001, v24
	;; [unrolled: 1-line block ×4, first 2 shown]
	v_and_b32_e32 v19, 0xffff, v22
	s_delay_alu instid0(VALU_DEP_1)
	v_mul_u32_u24_e32 v30, 0x10001, v19
	v_and_b32_e32 v19, 0xffff, v23
	ds_load_b128 v[20:23], v177 offset:10752
	v_mul_u32_u24_e32 v31, 0x10001, v19
	s_wait_dscnt 0x0
	v_lshrrev_b32_e32 v19, 16, v20
	v_and_b32_e32 v20, 0xffff, v20
	v_dual_lshrrev_b32 v32, 16, v21 :: v_dual_lshrrev_b32 v49, 16, v22
	v_mul_u32_u24_e32 v26, 0x10001, v26
	s_delay_alu instid0(VALU_DEP_4)
	v_mul_u32_u24_e32 v52, 0x10001, v19
	v_and_b32_e32 v19, 0xffff, v21
	v_mul_u32_u24_e32 v51, 0x10001, v20
	v_pk_fma_f16 v20, v16, v28, v33
	v_pk_fma_f16 v21, v16, v29, v42
	;; [unrolled: 1-line block ×3, first 2 shown]
	v_mul_u32_u24_e32 v53, 0x10001, v19
	v_and_b32_e32 v19, 0xffff, v22
	v_pk_fma_f16 v22, v16, v24, v38
	v_pk_fma_f16 v24, v16, v25, v39
	;; [unrolled: 1-line block ×4, first 2 shown]
	v_mul_u32_u24_e32 v54, 0x10001, v19
	v_and_b32_e32 v19, 0xffff, v23
	v_pk_fma_f16 v28, v16, v52, v45
	v_mul_u32_u24_e32 v32, 0x10001, v32
	v_mul_u32_u24_e32 v49, 0x10001, v49
	v_pk_fma_f16 v31, v16, v54, v36
	v_mul_u32_u24_e32 v55, 0x10001, v19
	v_pk_fma_f16 v19, v16, v27, v41
	v_pk_fma_f16 v27, v16, v51, v34
	s_delay_alu instid0(VALU_DEP_3)
	v_pk_fma_f16 v33, v16, v55, v37
	ds_load_b128 v[34:37], v177 offset:9744
	v_lshrrev_b32_e32 v50, 16, v23
	v_pk_fma_f16 v23, v16, v30, v43
	v_pk_fma_f16 v30, v16, v32, v46
	;; [unrolled: 1-line block ×3, first 2 shown]
	s_wait_dscnt 0x0
	v_lshrrev_b32_e32 v38, 16, v34
	v_and_b32_e32 v34, 0xffff, v34
	v_dual_lshrrev_b32 v39, 16, v35 :: v_dual_lshrrev_b32 v40, 16, v36
	v_lshrrev_b32_e32 v41, 16, v37
	v_mul_u32_u24_e32 v50, 0x10001, v50
	s_delay_alu instid0(VALU_DEP_4)
	v_mul_u32_u24_e32 v42, 0x10001, v34
	v_and_b32_e32 v34, 0xffff, v35
	v_mul_u32_u24_e32 v38, 0x10001, v38
	v_mul_u32_u24_e32 v39, 0x10001, v39
	v_pk_fma_f16 v16, v16, v50, v48
	v_mul_u32_u24_e32 v40, 0x10001, v40
	v_mul_u32_u24_e32 v43, 0x10001, v34
	v_and_b32_e32 v34, 0xffff, v36
	v_pk_fma_f16 v19, v17, v42, v19
	v_pk_fma_f16 v38, v17, v38, v20
	;; [unrolled: 1-line block ×4, first 2 shown]
	v_mul_u32_u24_e32 v44, 0x10001, v34
	v_and_b32_e32 v34, 0xffff, v37
	v_pk_fma_f16 v24, v17, v40, v24
	s_delay_alu instid0(VALU_DEP_3) | instskip(NEXT) | instid1(VALU_DEP_3)
	v_pk_fma_f16 v43, v17, v44, v23
	v_mul_u32_u24_e32 v45, 0x10001, v34
	ds_load_b128 v[34:37], v177 offset:10768
	v_pk_fma_f16 v25, v17, v45, v25
	s_wait_dscnt 0x0
	v_dual_lshrrev_b32 v46, 16, v34 :: v_dual_lshrrev_b32 v47, 16, v35
	v_dual_lshrrev_b32 v48, 16, v36 :: v_dual_lshrrev_b32 v49, 16, v37
	v_and_b32_e32 v34, 0xffff, v34
	v_and_b32_e32 v35, 0xffff, v35
	;; [unrolled: 1-line block ×4, first 2 shown]
	v_mul_u32_u24_e32 v41, 0x10001, v41
	v_mul_u32_u24_e32 v34, 0x10001, v34
	;; [unrolled: 1-line block ×9, first 2 shown]
	v_pk_fma_f16 v26, v17, v41, v26
	v_pk_fma_f16 v27, v17, v34, v27
	;; [unrolled: 1-line block ×9, first 2 shown]
	ds_load_2addr_b32 v[16:17], v18 offset0:64 offset1:96
	ds_load_b128 v[20:23], v177 offset:9760
	s_wait_dscnt 0x0
	v_lshrrev_b32_e32 v35, 16, v20
	v_and_b32_e32 v20, 0xffff, v20
	v_dual_lshrrev_b32 v36, 16, v21 :: v_dual_lshrrev_b32 v37, 16, v22
	v_lshrrev_b32_e32 v40, 16, v23
	s_delay_alu instid0(VALU_DEP_4) | instskip(NEXT) | instid1(VALU_DEP_4)
	v_mul_u32_u24_e32 v35, 0x10001, v35
	v_mul_u32_u24_e32 v41, 0x10001, v20
	v_and_b32_e32 v20, 0xffff, v21
	v_mul_u32_u24_e32 v36, 0x10001, v36
	v_mul_u32_u24_e32 v37, 0x10001, v37
	s_delay_alu instid0(VALU_DEP_4) | instskip(NEXT) | instid1(VALU_DEP_4)
	v_pk_fma_f16 v19, v16, v41, v19
	v_mul_u32_u24_e32 v44, 0x10001, v20
	v_and_b32_e32 v20, 0xffff, v22
	s_delay_alu instid0(VALU_DEP_4) | instskip(NEXT) | instid1(VALU_DEP_2)
	v_pk_fma_f16 v24, v16, v37, v24
	v_mul_u32_u24_e32 v45, 0x10001, v20
	v_and_b32_e32 v20, 0xffff, v23
	s_delay_alu instid0(VALU_DEP_1)
	v_mul_u32_u24_e32 v46, 0x10001, v20
	ds_load_b128 v[20:23], v177 offset:10784
	v_pk_fma_f16 v25, v16, v46, v25
	s_wait_dscnt 0x0
	v_lshrrev_b32_e32 v47, 16, v20
	v_and_b32_e32 v20, 0xffff, v20
	v_dual_lshrrev_b32 v48, 16, v21 :: v_dual_lshrrev_b32 v49, 16, v22
	v_lshrrev_b32_e32 v50, 16, v23
	v_mul_u32_u24_e32 v40, 0x10001, v40
	s_delay_alu instid0(VALU_DEP_4)
	v_mul_u32_u24_e32 v51, 0x10001, v20
	v_and_b32_e32 v20, 0xffff, v21
	v_mul_u32_u24_e32 v47, 0x10001, v47
	v_mul_u32_u24_e32 v48, 0x10001, v48
	;; [unrolled: 1-line block ×5, first 2 shown]
	v_and_b32_e32 v20, 0xffff, v22
	v_pk_fma_f16 v21, v16, v44, v42
	v_pk_fma_f16 v22, v16, v36, v39
	;; [unrolled: 1-line block ×4, first 2 shown]
	v_mul_u32_u24_e32 v53, 0x10001, v20
	v_and_b32_e32 v20, 0xffff, v23
	v_pk_fma_f16 v23, v16, v45, v43
	v_pk_fma_f16 v28, v16, v47, v28
	v_pk_fma_f16 v29, v16, v52, v29
	v_pk_fma_f16 v30, v16, v48, v30
	v_mul_u32_u24_e32 v54, 0x10001, v20
	v_pk_fma_f16 v20, v16, v35, v38
	v_pk_fma_f16 v31, v16, v53, v31
	;; [unrolled: 1-line block ×3, first 2 shown]
	s_delay_alu instid0(VALU_DEP_4)
	v_pk_fma_f16 v33, v16, v54, v33
	v_pk_fma_f16 v16, v16, v50, v34
	ds_load_b128 v[34:37], v177 offset:9776
	s_wait_dscnt 0x0
	v_lshrrev_b32_e32 v38, 16, v34
	v_and_b32_e32 v34, 0xffff, v34
	v_dual_lshrrev_b32 v39, 16, v35 :: v_dual_lshrrev_b32 v40, 16, v36
	v_lshrrev_b32_e32 v41, 16, v37
	s_delay_alu instid0(VALU_DEP_4) | instskip(NEXT) | instid1(VALU_DEP_4)
	v_mul_u32_u24_e32 v38, 0x10001, v38
	v_mul_u32_u24_e32 v42, 0x10001, v34
	v_and_b32_e32 v34, 0xffff, v35
	v_mul_u32_u24_e32 v39, 0x10001, v39
	v_mul_u32_u24_e32 v40, 0x10001, v40
	v_pk_fma_f16 v38, v17, v38, v20
	v_pk_fma_f16 v19, v17, v42, v19
	v_mul_u32_u24_e32 v43, 0x10001, v34
	v_and_b32_e32 v34, 0xffff, v36
	v_pk_fma_f16 v39, v17, v39, v22
	v_pk_fma_f16 v24, v17, v40, v24
	s_delay_alu instid0(VALU_DEP_4) | instskip(NEXT) | instid1(VALU_DEP_4)
	v_pk_fma_f16 v42, v17, v43, v21
	v_mul_u32_u24_e32 v44, 0x10001, v34
	v_and_b32_e32 v34, 0xffff, v37
	s_delay_alu instid0(VALU_DEP_2) | instskip(NEXT) | instid1(VALU_DEP_2)
	v_pk_fma_f16 v43, v17, v44, v23
	v_mul_u32_u24_e32 v45, 0x10001, v34
	ds_load_b128 v[34:37], v177 offset:10800
	v_pk_fma_f16 v25, v17, v45, v25
	s_wait_dscnt 0x0
	v_dual_lshrrev_b32 v46, 16, v34 :: v_dual_lshrrev_b32 v47, 16, v35
	v_dual_lshrrev_b32 v48, 16, v36 :: v_dual_lshrrev_b32 v49, 16, v37
	v_and_b32_e32 v34, 0xffff, v34
	v_and_b32_e32 v35, 0xffff, v35
	v_and_b32_e32 v36, 0xffff, v36
	v_and_b32_e32 v37, 0xffff, v37
	v_mul_u32_u24_e32 v41, 0x10001, v41
	v_mul_u32_u24_e32 v34, 0x10001, v34
	;; [unrolled: 1-line block ×9, first 2 shown]
	v_pk_fma_f16 v26, v17, v41, v26
	v_pk_fma_f16 v27, v17, v34, v27
	;; [unrolled: 1-line block ×9, first 2 shown]
	ds_load_2addr_b32 v[16:17], v18 offset0:128 offset1:160
	ds_load_b128 v[20:23], v177 offset:9792
	s_wait_dscnt 0x0
	v_lshrrev_b32_e32 v35, 16, v20
	v_and_b32_e32 v20, 0xffff, v20
	v_dual_lshrrev_b32 v36, 16, v21 :: v_dual_lshrrev_b32 v37, 16, v22
	v_lshrrev_b32_e32 v40, 16, v23
	s_delay_alu instid0(VALU_DEP_4) | instskip(NEXT) | instid1(VALU_DEP_4)
	v_mul_u32_u24_e32 v35, 0x10001, v35
	v_mul_u32_u24_e32 v41, 0x10001, v20
	v_and_b32_e32 v20, 0xffff, v21
	v_mul_u32_u24_e32 v36, 0x10001, v36
	v_mul_u32_u24_e32 v37, 0x10001, v37
	s_delay_alu instid0(VALU_DEP_4) | instskip(NEXT) | instid1(VALU_DEP_4)
	v_pk_fma_f16 v19, v16, v41, v19
	v_mul_u32_u24_e32 v44, 0x10001, v20
	v_and_b32_e32 v20, 0xffff, v22
	s_delay_alu instid0(VALU_DEP_4) | instskip(NEXT) | instid1(VALU_DEP_2)
	v_pk_fma_f16 v24, v16, v37, v24
	v_mul_u32_u24_e32 v45, 0x10001, v20
	v_and_b32_e32 v20, 0xffff, v23
	s_delay_alu instid0(VALU_DEP_1)
	v_mul_u32_u24_e32 v46, 0x10001, v20
	ds_load_b128 v[20:23], v177 offset:10816
	v_pk_fma_f16 v25, v16, v46, v25
	s_wait_dscnt 0x0
	v_lshrrev_b32_e32 v47, 16, v20
	v_and_b32_e32 v20, 0xffff, v20
	v_dual_lshrrev_b32 v48, 16, v21 :: v_dual_lshrrev_b32 v49, 16, v22
	v_lshrrev_b32_e32 v50, 16, v23
	v_mul_u32_u24_e32 v40, 0x10001, v40
	s_delay_alu instid0(VALU_DEP_4)
	v_mul_u32_u24_e32 v51, 0x10001, v20
	v_and_b32_e32 v20, 0xffff, v21
	v_mul_u32_u24_e32 v47, 0x10001, v47
	v_mul_u32_u24_e32 v48, 0x10001, v48
	;; [unrolled: 1-line block ×5, first 2 shown]
	v_and_b32_e32 v20, 0xffff, v22
	v_pk_fma_f16 v21, v16, v44, v42
	v_pk_fma_f16 v22, v16, v36, v39
	v_pk_fma_f16 v26, v16, v40, v26
	v_pk_fma_f16 v27, v16, v51, v27
	v_mul_u32_u24_e32 v53, 0x10001, v20
	v_and_b32_e32 v20, 0xffff, v23
	v_pk_fma_f16 v23, v16, v45, v43
	v_pk_fma_f16 v28, v16, v47, v28
	;; [unrolled: 1-line block ×4, first 2 shown]
	v_mul_u32_u24_e32 v54, 0x10001, v20
	v_pk_fma_f16 v20, v16, v35, v38
	v_pk_fma_f16 v31, v16, v53, v31
	;; [unrolled: 1-line block ×3, first 2 shown]
	s_delay_alu instid0(VALU_DEP_4)
	v_pk_fma_f16 v33, v16, v54, v33
	v_pk_fma_f16 v16, v16, v50, v34
	ds_load_b128 v[34:37], v177 offset:9808
	s_wait_dscnt 0x0
	v_lshrrev_b32_e32 v38, 16, v34
	v_and_b32_e32 v34, 0xffff, v34
	v_dual_lshrrev_b32 v39, 16, v35 :: v_dual_lshrrev_b32 v40, 16, v36
	v_lshrrev_b32_e32 v41, 16, v37
	s_delay_alu instid0(VALU_DEP_4) | instskip(NEXT) | instid1(VALU_DEP_4)
	v_mul_u32_u24_e32 v38, 0x10001, v38
	v_mul_u32_u24_e32 v42, 0x10001, v34
	v_and_b32_e32 v34, 0xffff, v35
	v_mul_u32_u24_e32 v39, 0x10001, v39
	v_mul_u32_u24_e32 v40, 0x10001, v40
	v_pk_fma_f16 v38, v17, v38, v20
	v_pk_fma_f16 v42, v17, v42, v19
	v_mul_u32_u24_e32 v43, 0x10001, v34
	v_and_b32_e32 v34, 0xffff, v36
	v_pk_fma_f16 v22, v17, v39, v22
	v_pk_fma_f16 v24, v17, v40, v24
	s_delay_alu instid0(VALU_DEP_4) | instskip(NEXT) | instid1(VALU_DEP_4)
	v_pk_fma_f16 v43, v17, v43, v21
	v_mul_u32_u24_e32 v44, 0x10001, v34
	v_and_b32_e32 v34, 0xffff, v37
	s_delay_alu instid0(VALU_DEP_2) | instskip(NEXT) | instid1(VALU_DEP_2)
	v_pk_fma_f16 v23, v17, v44, v23
	v_mul_u32_u24_e32 v45, 0x10001, v34
	ds_load_b128 v[34:37], v177 offset:10832
	v_pk_fma_f16 v25, v17, v45, v25
	s_wait_dscnt 0x0
	v_dual_lshrrev_b32 v46, 16, v34 :: v_dual_lshrrev_b32 v47, 16, v35
	v_dual_lshrrev_b32 v48, 16, v36 :: v_dual_lshrrev_b32 v49, 16, v37
	v_and_b32_e32 v34, 0xffff, v34
	v_and_b32_e32 v35, 0xffff, v35
	;; [unrolled: 1-line block ×4, first 2 shown]
	v_mul_u32_u24_e32 v41, 0x10001, v41
	v_mul_u32_u24_e32 v34, 0x10001, v34
	;; [unrolled: 1-line block ×9, first 2 shown]
	v_pk_fma_f16 v26, v17, v41, v26
	v_pk_fma_f16 v27, v17, v34, v27
	;; [unrolled: 1-line block ×9, first 2 shown]
	ds_load_2addr_b32 v[16:17], v18 offset0:192 offset1:224
	ds_load_b128 v[18:21], v177 offset:9824
	s_wait_dscnt 0x0
	v_lshrrev_b32_e32 v35, 16, v18
	v_and_b32_e32 v18, 0xffff, v18
	v_dual_lshrrev_b32 v36, 16, v19 :: v_dual_lshrrev_b32 v37, 16, v20
	v_lshrrev_b32_e32 v39, 16, v21
	s_delay_alu instid0(VALU_DEP_4) | instskip(NEXT) | instid1(VALU_DEP_4)
	v_mul_u32_u24_e32 v35, 0x10001, v35
	v_mul_u32_u24_e32 v40, 0x10001, v18
	v_and_b32_e32 v18, 0xffff, v19
	v_mul_u32_u24_e32 v36, 0x10001, v36
	v_mul_u32_u24_e32 v37, 0x10001, v37
	s_delay_alu instid0(VALU_DEP_3) | instskip(SKIP_1) | instid1(VALU_DEP_1)
	v_mul_u32_u24_e32 v41, 0x10001, v18
	v_and_b32_e32 v18, 0xffff, v20
	v_mul_u32_u24_e32 v44, 0x10001, v18
	v_and_b32_e32 v18, 0xffff, v21
	s_delay_alu instid0(VALU_DEP_1)
	v_mul_u32_u24_e32 v45, 0x10001, v18
	ds_load_b128 v[18:21], v177 offset:10848
	s_wait_dscnt 0x0
	v_lshrrev_b32_e32 v46, 16, v18
	v_and_b32_e32 v18, 0xffff, v18
	v_dual_lshrrev_b32 v47, 16, v19 :: v_dual_lshrrev_b32 v48, 16, v20
	v_lshrrev_b32_e32 v49, 16, v21
	v_mul_u32_u24_e32 v39, 0x10001, v39
	s_delay_alu instid0(VALU_DEP_4)
	v_mul_u32_u24_e32 v50, 0x10001, v18
	v_and_b32_e32 v18, 0xffff, v19
	v_mul_u32_u24_e32 v46, 0x10001, v46
	v_mul_u32_u24_e32 v47, 0x10001, v47
	;; [unrolled: 1-line block ×5, first 2 shown]
	v_and_b32_e32 v18, 0xffff, v20
	v_pk_fma_f16 v19, v16, v35, v38
	v_pk_fma_f16 v20, v16, v41, v43
	s_delay_alu instid0(VALU_DEP_3)
	v_mul_u32_u24_e32 v52, 0x10001, v18
	v_and_b32_e32 v18, 0xffff, v21
	v_pk_fma_f16 v21, v16, v36, v22
	v_pk_fma_f16 v22, v16, v44, v23
	;; [unrolled: 1-line block ×4, first 2 shown]
	v_mul_u32_u24_e32 v53, 0x10001, v18
	v_pk_fma_f16 v18, v16, v40, v42
	v_pk_fma_f16 v25, v16, v39, v26
	;; [unrolled: 1-line block ×10, first 2 shown]
	ds_load_b128 v[34:37], v177 offset:9840
	s_wait_dscnt 0x0
	v_lshrrev_b32_e32 v33, 16, v34
	v_and_b32_e32 v34, 0xffff, v34
	v_dual_lshrrev_b32 v38, 16, v35 :: v_dual_lshrrev_b32 v39, 16, v36
	v_lshrrev_b32_e32 v40, 16, v37
	s_delay_alu instid0(VALU_DEP_4) | instskip(NEXT) | instid1(VALU_DEP_4)
	v_mul_u32_u24_e32 v33, 0x10001, v33
	v_mul_u32_u24_e32 v41, 0x10001, v34
	v_and_b32_e32 v34, 0xffff, v35
	v_mul_u32_u24_e32 v38, 0x10001, v38
	v_mul_u32_u24_e32 v39, 0x10001, v39
	v_pk_fma_f16 v33, v17, v33, v19
	v_pk_fma_f16 v41, v17, v41, v18
	v_mul_u32_u24_e32 v42, 0x10001, v34
	v_and_b32_e32 v34, 0xffff, v36
	v_add_nc_u32_e32 v18, 0x1400, v181
	v_pk_fma_f16 v38, v17, v38, v21
	v_pk_fma_f16 v39, v17, v39, v23
	;; [unrolled: 1-line block ×3, first 2 shown]
	v_mul_u32_u24_e32 v43, 0x10001, v34
	v_and_b32_e32 v34, 0xffff, v37
	s_delay_alu instid0(VALU_DEP_2) | instskip(NEXT) | instid1(VALU_DEP_2)
	v_pk_fma_f16 v43, v17, v43, v22
	v_mul_u32_u24_e32 v44, 0x10001, v34
	ds_load_b128 v[34:37], v177 offset:10864
	v_pk_fma_f16 v44, v17, v44, v24
	s_wait_dscnt 0x0
	v_dual_lshrrev_b32 v45, 16, v34 :: v_dual_lshrrev_b32 v46, 16, v35
	v_dual_lshrrev_b32 v47, 16, v36 :: v_dual_lshrrev_b32 v48, 16, v37
	v_and_b32_e32 v34, 0xffff, v34
	v_and_b32_e32 v35, 0xffff, v35
	;; [unrolled: 1-line block ×4, first 2 shown]
	v_mul_u32_u24_e32 v40, 0x10001, v40
	v_mul_u32_u24_e32 v34, 0x10001, v34
	;; [unrolled: 1-line block ×9, first 2 shown]
	v_pk_fma_f16 v40, v17, v40, v25
	v_pk_fma_f16 v34, v17, v34, v26
	;; [unrolled: 1-line block ×9, first 2 shown]
	ds_load_2addr_b32 v[16:17], v18 offset1:32
	ds_load_b128 v[20:23], v177 offset:9856
	s_wait_dscnt 0x0
	v_lshrrev_b32_e32 v19, 16, v20
	v_and_b32_e32 v20, 0xffff, v20
	v_dual_lshrrev_b32 v24, 16, v21 :: v_dual_lshrrev_b32 v25, 16, v22
	v_lshrrev_b32_e32 v26, 16, v23
	s_delay_alu instid0(VALU_DEP_4) | instskip(SKIP_4) | instid1(VALU_DEP_4)
	v_mul_u32_u24_e32 v28, 0x10001, v19
	v_and_b32_e32 v19, 0xffff, v21
	v_mul_u32_u24_e32 v27, 0x10001, v20
	v_mul_u32_u24_e32 v24, 0x10001, v24
	;; [unrolled: 1-line block ×4, first 2 shown]
	v_and_b32_e32 v19, 0xffff, v22
	s_delay_alu instid0(VALU_DEP_1)
	v_mul_u32_u24_e32 v30, 0x10001, v19
	v_and_b32_e32 v19, 0xffff, v23
	ds_load_b128 v[20:23], v177 offset:10880
	v_mul_u32_u24_e32 v31, 0x10001, v19
	s_wait_dscnt 0x0
	v_lshrrev_b32_e32 v19, 16, v20
	v_and_b32_e32 v20, 0xffff, v20
	v_dual_lshrrev_b32 v32, 16, v21 :: v_dual_lshrrev_b32 v49, 16, v22
	v_mul_u32_u24_e32 v26, 0x10001, v26
	s_delay_alu instid0(VALU_DEP_4)
	v_mul_u32_u24_e32 v52, 0x10001, v19
	v_and_b32_e32 v19, 0xffff, v21
	v_mul_u32_u24_e32 v51, 0x10001, v20
	v_pk_fma_f16 v20, v16, v28, v33
	v_pk_fma_f16 v21, v16, v29, v42
	;; [unrolled: 1-line block ×3, first 2 shown]
	v_mul_u32_u24_e32 v53, 0x10001, v19
	v_and_b32_e32 v19, 0xffff, v22
	v_pk_fma_f16 v22, v16, v24, v38
	v_pk_fma_f16 v24, v16, v25, v39
	;; [unrolled: 1-line block ×4, first 2 shown]
	v_mul_u32_u24_e32 v54, 0x10001, v19
	v_and_b32_e32 v19, 0xffff, v23
	v_pk_fma_f16 v28, v16, v52, v45
	v_mul_u32_u24_e32 v32, 0x10001, v32
	v_mul_u32_u24_e32 v49, 0x10001, v49
	v_pk_fma_f16 v31, v16, v54, v36
	v_mul_u32_u24_e32 v55, 0x10001, v19
	v_pk_fma_f16 v19, v16, v27, v41
	v_pk_fma_f16 v27, v16, v51, v34
	s_delay_alu instid0(VALU_DEP_3)
	v_pk_fma_f16 v33, v16, v55, v37
	ds_load_b128 v[34:37], v177 offset:9872
	v_lshrrev_b32_e32 v50, 16, v23
	v_pk_fma_f16 v23, v16, v30, v43
	v_pk_fma_f16 v30, v16, v32, v46
	;; [unrolled: 1-line block ×3, first 2 shown]
	s_wait_dscnt 0x0
	v_lshrrev_b32_e32 v38, 16, v34
	v_and_b32_e32 v34, 0xffff, v34
	v_dual_lshrrev_b32 v39, 16, v35 :: v_dual_lshrrev_b32 v40, 16, v36
	v_lshrrev_b32_e32 v41, 16, v37
	v_mul_u32_u24_e32 v50, 0x10001, v50
	s_delay_alu instid0(VALU_DEP_4)
	v_mul_u32_u24_e32 v42, 0x10001, v34
	v_and_b32_e32 v34, 0xffff, v35
	v_mul_u32_u24_e32 v38, 0x10001, v38
	v_mul_u32_u24_e32 v39, 0x10001, v39
	v_pk_fma_f16 v16, v16, v50, v48
	v_mul_u32_u24_e32 v40, 0x10001, v40
	v_mul_u32_u24_e32 v43, 0x10001, v34
	v_and_b32_e32 v34, 0xffff, v36
	v_pk_fma_f16 v19, v17, v42, v19
	v_pk_fma_f16 v38, v17, v38, v20
	v_pk_fma_f16 v39, v17, v39, v22
	v_pk_fma_f16 v42, v17, v43, v21
	v_mul_u32_u24_e32 v44, 0x10001, v34
	v_and_b32_e32 v34, 0xffff, v37
	v_pk_fma_f16 v24, v17, v40, v24
	s_delay_alu instid0(VALU_DEP_3) | instskip(NEXT) | instid1(VALU_DEP_3)
	v_pk_fma_f16 v43, v17, v44, v23
	v_mul_u32_u24_e32 v45, 0x10001, v34
	ds_load_b128 v[34:37], v177 offset:10896
	v_pk_fma_f16 v25, v17, v45, v25
	s_wait_dscnt 0x0
	v_dual_lshrrev_b32 v46, 16, v34 :: v_dual_lshrrev_b32 v47, 16, v35
	v_dual_lshrrev_b32 v48, 16, v36 :: v_dual_lshrrev_b32 v49, 16, v37
	v_and_b32_e32 v34, 0xffff, v34
	v_and_b32_e32 v35, 0xffff, v35
	;; [unrolled: 1-line block ×4, first 2 shown]
	v_mul_u32_u24_e32 v41, 0x10001, v41
	v_mul_u32_u24_e32 v34, 0x10001, v34
	;; [unrolled: 1-line block ×9, first 2 shown]
	v_pk_fma_f16 v26, v17, v41, v26
	v_pk_fma_f16 v27, v17, v34, v27
	;; [unrolled: 1-line block ×9, first 2 shown]
	ds_load_2addr_b32 v[16:17], v18 offset0:64 offset1:96
	ds_load_b128 v[20:23], v177 offset:9888
	s_wait_dscnt 0x0
	v_lshrrev_b32_e32 v35, 16, v20
	v_and_b32_e32 v20, 0xffff, v20
	v_dual_lshrrev_b32 v36, 16, v21 :: v_dual_lshrrev_b32 v37, 16, v22
	v_lshrrev_b32_e32 v40, 16, v23
	s_delay_alu instid0(VALU_DEP_4) | instskip(NEXT) | instid1(VALU_DEP_4)
	v_mul_u32_u24_e32 v35, 0x10001, v35
	v_mul_u32_u24_e32 v41, 0x10001, v20
	v_and_b32_e32 v20, 0xffff, v21
	v_mul_u32_u24_e32 v36, 0x10001, v36
	v_mul_u32_u24_e32 v37, 0x10001, v37
	s_delay_alu instid0(VALU_DEP_4) | instskip(NEXT) | instid1(VALU_DEP_4)
	v_pk_fma_f16 v19, v16, v41, v19
	v_mul_u32_u24_e32 v44, 0x10001, v20
	v_and_b32_e32 v20, 0xffff, v22
	s_delay_alu instid0(VALU_DEP_4) | instskip(NEXT) | instid1(VALU_DEP_2)
	v_pk_fma_f16 v24, v16, v37, v24
	v_mul_u32_u24_e32 v45, 0x10001, v20
	v_and_b32_e32 v20, 0xffff, v23
	s_delay_alu instid0(VALU_DEP_1)
	v_mul_u32_u24_e32 v46, 0x10001, v20
	ds_load_b128 v[20:23], v177 offset:10912
	v_pk_fma_f16 v25, v16, v46, v25
	s_wait_dscnt 0x0
	v_lshrrev_b32_e32 v47, 16, v20
	v_and_b32_e32 v20, 0xffff, v20
	v_dual_lshrrev_b32 v48, 16, v21 :: v_dual_lshrrev_b32 v49, 16, v22
	v_lshrrev_b32_e32 v50, 16, v23
	v_mul_u32_u24_e32 v40, 0x10001, v40
	s_delay_alu instid0(VALU_DEP_4)
	v_mul_u32_u24_e32 v51, 0x10001, v20
	v_and_b32_e32 v20, 0xffff, v21
	v_mul_u32_u24_e32 v47, 0x10001, v47
	v_mul_u32_u24_e32 v48, 0x10001, v48
	;; [unrolled: 1-line block ×5, first 2 shown]
	v_and_b32_e32 v20, 0xffff, v22
	v_pk_fma_f16 v21, v16, v44, v42
	v_pk_fma_f16 v22, v16, v36, v39
	;; [unrolled: 1-line block ×4, first 2 shown]
	v_mul_u32_u24_e32 v53, 0x10001, v20
	v_and_b32_e32 v20, 0xffff, v23
	v_pk_fma_f16 v23, v16, v45, v43
	v_pk_fma_f16 v28, v16, v47, v28
	;; [unrolled: 1-line block ×4, first 2 shown]
	v_mul_u32_u24_e32 v54, 0x10001, v20
	v_pk_fma_f16 v20, v16, v35, v38
	v_pk_fma_f16 v31, v16, v53, v31
	;; [unrolled: 1-line block ×3, first 2 shown]
	s_delay_alu instid0(VALU_DEP_4)
	v_pk_fma_f16 v33, v16, v54, v33
	v_pk_fma_f16 v16, v16, v50, v34
	ds_load_b128 v[34:37], v177 offset:9904
	s_wait_dscnt 0x0
	v_lshrrev_b32_e32 v38, 16, v34
	v_and_b32_e32 v34, 0xffff, v34
	v_dual_lshrrev_b32 v39, 16, v35 :: v_dual_lshrrev_b32 v40, 16, v36
	v_lshrrev_b32_e32 v41, 16, v37
	s_delay_alu instid0(VALU_DEP_4) | instskip(NEXT) | instid1(VALU_DEP_4)
	v_mul_u32_u24_e32 v38, 0x10001, v38
	v_mul_u32_u24_e32 v42, 0x10001, v34
	v_and_b32_e32 v34, 0xffff, v35
	v_mul_u32_u24_e32 v39, 0x10001, v39
	v_mul_u32_u24_e32 v40, 0x10001, v40
	v_pk_fma_f16 v38, v17, v38, v20
	v_pk_fma_f16 v19, v17, v42, v19
	v_mul_u32_u24_e32 v43, 0x10001, v34
	v_and_b32_e32 v34, 0xffff, v36
	v_pk_fma_f16 v39, v17, v39, v22
	v_pk_fma_f16 v24, v17, v40, v24
	s_delay_alu instid0(VALU_DEP_4) | instskip(NEXT) | instid1(VALU_DEP_4)
	v_pk_fma_f16 v42, v17, v43, v21
	v_mul_u32_u24_e32 v44, 0x10001, v34
	v_and_b32_e32 v34, 0xffff, v37
	s_delay_alu instid0(VALU_DEP_2) | instskip(NEXT) | instid1(VALU_DEP_2)
	v_pk_fma_f16 v43, v17, v44, v23
	v_mul_u32_u24_e32 v45, 0x10001, v34
	ds_load_b128 v[34:37], v177 offset:10928
	v_pk_fma_f16 v25, v17, v45, v25
	s_wait_dscnt 0x0
	v_dual_lshrrev_b32 v46, 16, v34 :: v_dual_lshrrev_b32 v47, 16, v35
	v_dual_lshrrev_b32 v48, 16, v36 :: v_dual_lshrrev_b32 v49, 16, v37
	v_and_b32_e32 v34, 0xffff, v34
	v_and_b32_e32 v35, 0xffff, v35
	;; [unrolled: 1-line block ×4, first 2 shown]
	v_mul_u32_u24_e32 v41, 0x10001, v41
	v_mul_u32_u24_e32 v34, 0x10001, v34
	v_mul_u32_u24_e32 v46, 0x10001, v46
	v_mul_u32_u24_e32 v35, 0x10001, v35
	v_mul_u32_u24_e32 v47, 0x10001, v47
	v_mul_u32_u24_e32 v36, 0x10001, v36
	v_mul_u32_u24_e32 v48, 0x10001, v48
	v_mul_u32_u24_e32 v37, 0x10001, v37
	v_mul_u32_u24_e32 v49, 0x10001, v49
	v_pk_fma_f16 v26, v17, v41, v26
	v_pk_fma_f16 v27, v17, v34, v27
	;; [unrolled: 1-line block ×9, first 2 shown]
	ds_load_2addr_b32 v[16:17], v18 offset0:128 offset1:160
	ds_load_b128 v[20:23], v177 offset:9920
	s_wait_dscnt 0x0
	v_lshrrev_b32_e32 v35, 16, v20
	v_and_b32_e32 v20, 0xffff, v20
	v_dual_lshrrev_b32 v36, 16, v21 :: v_dual_lshrrev_b32 v37, 16, v22
	v_lshrrev_b32_e32 v40, 16, v23
	s_delay_alu instid0(VALU_DEP_4) | instskip(NEXT) | instid1(VALU_DEP_4)
	v_mul_u32_u24_e32 v35, 0x10001, v35
	v_mul_u32_u24_e32 v41, 0x10001, v20
	v_and_b32_e32 v20, 0xffff, v21
	v_mul_u32_u24_e32 v36, 0x10001, v36
	v_mul_u32_u24_e32 v37, 0x10001, v37
	s_delay_alu instid0(VALU_DEP_4) | instskip(NEXT) | instid1(VALU_DEP_4)
	v_pk_fma_f16 v19, v16, v41, v19
	v_mul_u32_u24_e32 v44, 0x10001, v20
	v_and_b32_e32 v20, 0xffff, v22
	s_delay_alu instid0(VALU_DEP_4) | instskip(NEXT) | instid1(VALU_DEP_2)
	v_pk_fma_f16 v24, v16, v37, v24
	v_mul_u32_u24_e32 v45, 0x10001, v20
	v_and_b32_e32 v20, 0xffff, v23
	s_delay_alu instid0(VALU_DEP_1)
	v_mul_u32_u24_e32 v46, 0x10001, v20
	ds_load_b128 v[20:23], v177 offset:10944
	v_pk_fma_f16 v25, v16, v46, v25
	s_wait_dscnt 0x0
	v_lshrrev_b32_e32 v47, 16, v20
	v_and_b32_e32 v20, 0xffff, v20
	v_dual_lshrrev_b32 v48, 16, v21 :: v_dual_lshrrev_b32 v49, 16, v22
	v_lshrrev_b32_e32 v50, 16, v23
	v_mul_u32_u24_e32 v40, 0x10001, v40
	s_delay_alu instid0(VALU_DEP_4)
	v_mul_u32_u24_e32 v51, 0x10001, v20
	v_and_b32_e32 v20, 0xffff, v21
	v_mul_u32_u24_e32 v47, 0x10001, v47
	v_mul_u32_u24_e32 v48, 0x10001, v48
	;; [unrolled: 1-line block ×5, first 2 shown]
	v_and_b32_e32 v20, 0xffff, v22
	v_pk_fma_f16 v21, v16, v44, v42
	v_pk_fma_f16 v22, v16, v36, v39
	;; [unrolled: 1-line block ×4, first 2 shown]
	v_mul_u32_u24_e32 v53, 0x10001, v20
	v_and_b32_e32 v20, 0xffff, v23
	v_pk_fma_f16 v23, v16, v45, v43
	v_pk_fma_f16 v28, v16, v47, v28
	v_pk_fma_f16 v29, v16, v52, v29
	v_pk_fma_f16 v30, v16, v48, v30
	v_mul_u32_u24_e32 v54, 0x10001, v20
	v_pk_fma_f16 v20, v16, v35, v38
	v_pk_fma_f16 v31, v16, v53, v31
	v_pk_fma_f16 v32, v16, v49, v32
	s_delay_alu instid0(VALU_DEP_4)
	v_pk_fma_f16 v33, v16, v54, v33
	v_pk_fma_f16 v16, v16, v50, v34
	ds_load_b128 v[34:37], v177 offset:9936
	s_wait_dscnt 0x0
	v_lshrrev_b32_e32 v38, 16, v34
	v_and_b32_e32 v34, 0xffff, v34
	v_dual_lshrrev_b32 v39, 16, v35 :: v_dual_lshrrev_b32 v40, 16, v36
	v_lshrrev_b32_e32 v41, 16, v37
	s_delay_alu instid0(VALU_DEP_4) | instskip(NEXT) | instid1(VALU_DEP_4)
	v_mul_u32_u24_e32 v38, 0x10001, v38
	v_mul_u32_u24_e32 v42, 0x10001, v34
	v_and_b32_e32 v34, 0xffff, v35
	v_mul_u32_u24_e32 v39, 0x10001, v39
	v_mul_u32_u24_e32 v40, 0x10001, v40
	v_pk_fma_f16 v38, v17, v38, v20
	v_pk_fma_f16 v42, v17, v42, v19
	v_mul_u32_u24_e32 v43, 0x10001, v34
	v_and_b32_e32 v34, 0xffff, v36
	v_pk_fma_f16 v22, v17, v39, v22
	v_pk_fma_f16 v24, v17, v40, v24
	s_delay_alu instid0(VALU_DEP_4) | instskip(NEXT) | instid1(VALU_DEP_4)
	v_pk_fma_f16 v43, v17, v43, v21
	v_mul_u32_u24_e32 v44, 0x10001, v34
	v_and_b32_e32 v34, 0xffff, v37
	s_delay_alu instid0(VALU_DEP_2) | instskip(NEXT) | instid1(VALU_DEP_2)
	v_pk_fma_f16 v23, v17, v44, v23
	v_mul_u32_u24_e32 v45, 0x10001, v34
	ds_load_b128 v[34:37], v177 offset:10960
	v_pk_fma_f16 v25, v17, v45, v25
	s_wait_dscnt 0x0
	v_dual_lshrrev_b32 v46, 16, v34 :: v_dual_lshrrev_b32 v47, 16, v35
	v_dual_lshrrev_b32 v48, 16, v36 :: v_dual_lshrrev_b32 v49, 16, v37
	v_and_b32_e32 v34, 0xffff, v34
	v_and_b32_e32 v35, 0xffff, v35
	;; [unrolled: 1-line block ×4, first 2 shown]
	v_mul_u32_u24_e32 v41, 0x10001, v41
	v_mul_u32_u24_e32 v34, 0x10001, v34
	;; [unrolled: 1-line block ×9, first 2 shown]
	v_pk_fma_f16 v26, v17, v41, v26
	v_pk_fma_f16 v27, v17, v34, v27
	;; [unrolled: 1-line block ×9, first 2 shown]
	ds_load_2addr_b32 v[16:17], v18 offset0:192 offset1:224
	ds_load_b128 v[18:21], v177 offset:9952
	s_wait_dscnt 0x0
	v_lshrrev_b32_e32 v35, 16, v18
	v_and_b32_e32 v18, 0xffff, v18
	v_dual_lshrrev_b32 v36, 16, v19 :: v_dual_lshrrev_b32 v37, 16, v20
	v_lshrrev_b32_e32 v39, 16, v21
	s_delay_alu instid0(VALU_DEP_4) | instskip(NEXT) | instid1(VALU_DEP_4)
	v_mul_u32_u24_e32 v35, 0x10001, v35
	v_mul_u32_u24_e32 v40, 0x10001, v18
	v_and_b32_e32 v18, 0xffff, v19
	v_mul_u32_u24_e32 v36, 0x10001, v36
	v_mul_u32_u24_e32 v37, 0x10001, v37
	s_delay_alu instid0(VALU_DEP_3) | instskip(SKIP_1) | instid1(VALU_DEP_1)
	v_mul_u32_u24_e32 v41, 0x10001, v18
	v_and_b32_e32 v18, 0xffff, v20
	v_mul_u32_u24_e32 v44, 0x10001, v18
	v_and_b32_e32 v18, 0xffff, v21
	s_delay_alu instid0(VALU_DEP_1)
	v_mul_u32_u24_e32 v45, 0x10001, v18
	ds_load_b128 v[18:21], v177 offset:10976
	s_wait_dscnt 0x0
	v_lshrrev_b32_e32 v46, 16, v18
	v_and_b32_e32 v18, 0xffff, v18
	v_dual_lshrrev_b32 v47, 16, v19 :: v_dual_lshrrev_b32 v48, 16, v20
	v_lshrrev_b32_e32 v49, 16, v21
	v_mul_u32_u24_e32 v39, 0x10001, v39
	s_delay_alu instid0(VALU_DEP_4)
	v_mul_u32_u24_e32 v50, 0x10001, v18
	v_and_b32_e32 v18, 0xffff, v19
	v_mul_u32_u24_e32 v46, 0x10001, v46
	v_mul_u32_u24_e32 v47, 0x10001, v47
	;; [unrolled: 1-line block ×5, first 2 shown]
	v_and_b32_e32 v18, 0xffff, v20
	v_pk_fma_f16 v19, v16, v35, v38
	v_pk_fma_f16 v20, v16, v41, v43
	s_delay_alu instid0(VALU_DEP_3)
	v_mul_u32_u24_e32 v52, 0x10001, v18
	v_and_b32_e32 v18, 0xffff, v21
	v_pk_fma_f16 v21, v16, v36, v22
	v_pk_fma_f16 v22, v16, v44, v23
	;; [unrolled: 1-line block ×4, first 2 shown]
	v_mul_u32_u24_e32 v53, 0x10001, v18
	v_pk_fma_f16 v18, v16, v40, v42
	v_pk_fma_f16 v25, v16, v39, v26
	;; [unrolled: 1-line block ×10, first 2 shown]
	ds_load_b128 v[34:37], v177 offset:9968
	s_wait_dscnt 0x0
	v_lshrrev_b32_e32 v33, 16, v34
	v_and_b32_e32 v34, 0xffff, v34
	v_dual_lshrrev_b32 v38, 16, v35 :: v_dual_lshrrev_b32 v39, 16, v36
	v_lshrrev_b32_e32 v40, 16, v37
	s_delay_alu instid0(VALU_DEP_4) | instskip(NEXT) | instid1(VALU_DEP_4)
	v_mul_u32_u24_e32 v33, 0x10001, v33
	v_mul_u32_u24_e32 v41, 0x10001, v34
	v_and_b32_e32 v34, 0xffff, v35
	v_mul_u32_u24_e32 v38, 0x10001, v38
	v_mul_u32_u24_e32 v39, 0x10001, v39
	v_pk_fma_f16 v33, v17, v33, v19
	v_pk_fma_f16 v41, v17, v41, v18
	v_mul_u32_u24_e32 v42, 0x10001, v34
	v_and_b32_e32 v34, 0xffff, v36
	v_add_nc_u32_e32 v18, 0x1800, v181
	v_pk_fma_f16 v38, v17, v38, v21
	v_pk_fma_f16 v39, v17, v39, v23
	;; [unrolled: 1-line block ×3, first 2 shown]
	v_mul_u32_u24_e32 v43, 0x10001, v34
	v_and_b32_e32 v34, 0xffff, v37
	s_delay_alu instid0(VALU_DEP_2) | instskip(NEXT) | instid1(VALU_DEP_2)
	v_pk_fma_f16 v43, v17, v43, v22
	v_mul_u32_u24_e32 v44, 0x10001, v34
	ds_load_b128 v[34:37], v177 offset:10992
	v_pk_fma_f16 v44, v17, v44, v24
	s_wait_dscnt 0x0
	v_dual_lshrrev_b32 v45, 16, v34 :: v_dual_lshrrev_b32 v46, 16, v35
	v_dual_lshrrev_b32 v47, 16, v36 :: v_dual_lshrrev_b32 v48, 16, v37
	v_and_b32_e32 v34, 0xffff, v34
	v_and_b32_e32 v35, 0xffff, v35
	v_and_b32_e32 v36, 0xffff, v36
	v_and_b32_e32 v37, 0xffff, v37
	v_mul_u32_u24_e32 v40, 0x10001, v40
	v_mul_u32_u24_e32 v34, 0x10001, v34
	;; [unrolled: 1-line block ×9, first 2 shown]
	v_pk_fma_f16 v40, v17, v40, v25
	v_pk_fma_f16 v34, v17, v34, v26
	;; [unrolled: 1-line block ×9, first 2 shown]
	ds_load_2addr_b32 v[16:17], v18 offset1:32
	ds_load_b128 v[20:23], v177 offset:9984
	s_wait_dscnt 0x0
	v_lshrrev_b32_e32 v19, 16, v20
	v_and_b32_e32 v20, 0xffff, v20
	v_dual_lshrrev_b32 v24, 16, v21 :: v_dual_lshrrev_b32 v25, 16, v22
	v_lshrrev_b32_e32 v26, 16, v23
	s_delay_alu instid0(VALU_DEP_4) | instskip(SKIP_4) | instid1(VALU_DEP_4)
	v_mul_u32_u24_e32 v28, 0x10001, v19
	v_and_b32_e32 v19, 0xffff, v21
	v_mul_u32_u24_e32 v27, 0x10001, v20
	v_mul_u32_u24_e32 v24, 0x10001, v24
	v_mul_u32_u24_e32 v25, 0x10001, v25
	v_mul_u32_u24_e32 v29, 0x10001, v19
	v_and_b32_e32 v19, 0xffff, v22
	s_delay_alu instid0(VALU_DEP_1)
	v_mul_u32_u24_e32 v30, 0x10001, v19
	v_and_b32_e32 v19, 0xffff, v23
	ds_load_b128 v[20:23], v177 offset:11008
	v_mul_u32_u24_e32 v31, 0x10001, v19
	s_wait_dscnt 0x0
	v_lshrrev_b32_e32 v19, 16, v20
	v_and_b32_e32 v20, 0xffff, v20
	v_dual_lshrrev_b32 v32, 16, v21 :: v_dual_lshrrev_b32 v49, 16, v22
	v_mul_u32_u24_e32 v26, 0x10001, v26
	s_delay_alu instid0(VALU_DEP_4)
	v_mul_u32_u24_e32 v52, 0x10001, v19
	v_and_b32_e32 v19, 0xffff, v21
	v_mul_u32_u24_e32 v51, 0x10001, v20
	v_pk_fma_f16 v20, v16, v28, v33
	v_pk_fma_f16 v21, v16, v29, v42
	v_pk_fma_f16 v26, v16, v26, v40
	v_mul_u32_u24_e32 v53, 0x10001, v19
	v_and_b32_e32 v19, 0xffff, v22
	v_pk_fma_f16 v22, v16, v24, v38
	v_pk_fma_f16 v24, v16, v25, v39
	;; [unrolled: 1-line block ×4, first 2 shown]
	v_mul_u32_u24_e32 v54, 0x10001, v19
	v_and_b32_e32 v19, 0xffff, v23
	v_pk_fma_f16 v28, v16, v52, v45
	v_mul_u32_u24_e32 v32, 0x10001, v32
	v_mul_u32_u24_e32 v49, 0x10001, v49
	v_pk_fma_f16 v31, v16, v54, v36
	v_mul_u32_u24_e32 v55, 0x10001, v19
	v_pk_fma_f16 v19, v16, v27, v41
	v_pk_fma_f16 v27, v16, v51, v34
	s_delay_alu instid0(VALU_DEP_3)
	v_pk_fma_f16 v33, v16, v55, v37
	ds_load_b128 v[34:37], v177 offset:10000
	v_lshrrev_b32_e32 v50, 16, v23
	v_pk_fma_f16 v23, v16, v30, v43
	v_pk_fma_f16 v30, v16, v32, v46
	;; [unrolled: 1-line block ×3, first 2 shown]
	s_wait_dscnt 0x0
	v_lshrrev_b32_e32 v38, 16, v34
	v_and_b32_e32 v34, 0xffff, v34
	v_dual_lshrrev_b32 v39, 16, v35 :: v_dual_lshrrev_b32 v40, 16, v36
	v_lshrrev_b32_e32 v41, 16, v37
	v_mul_u32_u24_e32 v50, 0x10001, v50
	s_delay_alu instid0(VALU_DEP_4)
	v_mul_u32_u24_e32 v42, 0x10001, v34
	v_and_b32_e32 v34, 0xffff, v35
	v_mul_u32_u24_e32 v38, 0x10001, v38
	v_mul_u32_u24_e32 v39, 0x10001, v39
	v_pk_fma_f16 v16, v16, v50, v48
	v_mul_u32_u24_e32 v40, 0x10001, v40
	v_mul_u32_u24_e32 v43, 0x10001, v34
	v_and_b32_e32 v34, 0xffff, v36
	v_pk_fma_f16 v19, v17, v42, v19
	v_pk_fma_f16 v38, v17, v38, v20
	;; [unrolled: 1-line block ×4, first 2 shown]
	v_mul_u32_u24_e32 v44, 0x10001, v34
	v_and_b32_e32 v34, 0xffff, v37
	v_pk_fma_f16 v24, v17, v40, v24
	s_delay_alu instid0(VALU_DEP_3) | instskip(NEXT) | instid1(VALU_DEP_3)
	v_pk_fma_f16 v43, v17, v44, v23
	v_mul_u32_u24_e32 v45, 0x10001, v34
	ds_load_b128 v[34:37], v177 offset:11024
	v_pk_fma_f16 v25, v17, v45, v25
	s_wait_dscnt 0x0
	v_dual_lshrrev_b32 v46, 16, v34 :: v_dual_lshrrev_b32 v47, 16, v35
	v_dual_lshrrev_b32 v48, 16, v36 :: v_dual_lshrrev_b32 v49, 16, v37
	v_and_b32_e32 v34, 0xffff, v34
	v_and_b32_e32 v35, 0xffff, v35
	;; [unrolled: 1-line block ×4, first 2 shown]
	v_mul_u32_u24_e32 v41, 0x10001, v41
	v_mul_u32_u24_e32 v34, 0x10001, v34
	v_mul_u32_u24_e32 v46, 0x10001, v46
	v_mul_u32_u24_e32 v35, 0x10001, v35
	v_mul_u32_u24_e32 v47, 0x10001, v47
	v_mul_u32_u24_e32 v36, 0x10001, v36
	v_mul_u32_u24_e32 v48, 0x10001, v48
	v_mul_u32_u24_e32 v37, 0x10001, v37
	v_mul_u32_u24_e32 v49, 0x10001, v49
	v_pk_fma_f16 v26, v17, v41, v26
	v_pk_fma_f16 v27, v17, v34, v27
	;; [unrolled: 1-line block ×9, first 2 shown]
	ds_load_2addr_b32 v[16:17], v18 offset0:64 offset1:96
	ds_load_b128 v[20:23], v177 offset:10016
	s_wait_dscnt 0x0
	v_lshrrev_b32_e32 v35, 16, v20
	v_and_b32_e32 v20, 0xffff, v20
	v_dual_lshrrev_b32 v36, 16, v21 :: v_dual_lshrrev_b32 v37, 16, v22
	v_lshrrev_b32_e32 v40, 16, v23
	s_delay_alu instid0(VALU_DEP_4) | instskip(NEXT) | instid1(VALU_DEP_4)
	v_mul_u32_u24_e32 v35, 0x10001, v35
	v_mul_u32_u24_e32 v41, 0x10001, v20
	v_and_b32_e32 v20, 0xffff, v21
	v_mul_u32_u24_e32 v36, 0x10001, v36
	v_mul_u32_u24_e32 v37, 0x10001, v37
	s_delay_alu instid0(VALU_DEP_4) | instskip(NEXT) | instid1(VALU_DEP_4)
	v_pk_fma_f16 v19, v16, v41, v19
	v_mul_u32_u24_e32 v44, 0x10001, v20
	v_and_b32_e32 v20, 0xffff, v22
	s_delay_alu instid0(VALU_DEP_4) | instskip(NEXT) | instid1(VALU_DEP_2)
	v_pk_fma_f16 v24, v16, v37, v24
	v_mul_u32_u24_e32 v45, 0x10001, v20
	v_and_b32_e32 v20, 0xffff, v23
	s_delay_alu instid0(VALU_DEP_1)
	v_mul_u32_u24_e32 v46, 0x10001, v20
	ds_load_b128 v[20:23], v177 offset:11040
	v_pk_fma_f16 v25, v16, v46, v25
	s_wait_dscnt 0x0
	v_lshrrev_b32_e32 v47, 16, v20
	v_and_b32_e32 v20, 0xffff, v20
	v_dual_lshrrev_b32 v48, 16, v21 :: v_dual_lshrrev_b32 v49, 16, v22
	v_lshrrev_b32_e32 v50, 16, v23
	v_mul_u32_u24_e32 v40, 0x10001, v40
	s_delay_alu instid0(VALU_DEP_4)
	v_mul_u32_u24_e32 v51, 0x10001, v20
	v_and_b32_e32 v20, 0xffff, v21
	v_mul_u32_u24_e32 v47, 0x10001, v47
	v_mul_u32_u24_e32 v48, 0x10001, v48
	;; [unrolled: 1-line block ×5, first 2 shown]
	v_and_b32_e32 v20, 0xffff, v22
	v_pk_fma_f16 v21, v16, v44, v42
	v_pk_fma_f16 v22, v16, v36, v39
	v_pk_fma_f16 v26, v16, v40, v26
	v_pk_fma_f16 v27, v16, v51, v27
	v_mul_u32_u24_e32 v53, 0x10001, v20
	v_and_b32_e32 v20, 0xffff, v23
	v_pk_fma_f16 v23, v16, v45, v43
	v_pk_fma_f16 v28, v16, v47, v28
	;; [unrolled: 1-line block ×4, first 2 shown]
	v_mul_u32_u24_e32 v54, 0x10001, v20
	v_pk_fma_f16 v20, v16, v35, v38
	v_pk_fma_f16 v31, v16, v53, v31
	;; [unrolled: 1-line block ×3, first 2 shown]
	s_delay_alu instid0(VALU_DEP_4)
	v_pk_fma_f16 v33, v16, v54, v33
	v_pk_fma_f16 v16, v16, v50, v34
	ds_load_b128 v[34:37], v177 offset:10032
	s_wait_dscnt 0x0
	v_lshrrev_b32_e32 v38, 16, v34
	v_and_b32_e32 v34, 0xffff, v34
	v_dual_lshrrev_b32 v39, 16, v35 :: v_dual_lshrrev_b32 v40, 16, v36
	v_lshrrev_b32_e32 v41, 16, v37
	s_delay_alu instid0(VALU_DEP_4) | instskip(NEXT) | instid1(VALU_DEP_4)
	v_mul_u32_u24_e32 v38, 0x10001, v38
	v_mul_u32_u24_e32 v42, 0x10001, v34
	v_and_b32_e32 v34, 0xffff, v35
	v_mul_u32_u24_e32 v39, 0x10001, v39
	v_mul_u32_u24_e32 v40, 0x10001, v40
	v_pk_fma_f16 v38, v17, v38, v20
	v_pk_fma_f16 v19, v17, v42, v19
	v_mul_u32_u24_e32 v43, 0x10001, v34
	v_and_b32_e32 v34, 0xffff, v36
	v_pk_fma_f16 v39, v17, v39, v22
	v_pk_fma_f16 v24, v17, v40, v24
	s_delay_alu instid0(VALU_DEP_4) | instskip(NEXT) | instid1(VALU_DEP_4)
	v_pk_fma_f16 v42, v17, v43, v21
	v_mul_u32_u24_e32 v44, 0x10001, v34
	v_and_b32_e32 v34, 0xffff, v37
	s_delay_alu instid0(VALU_DEP_2) | instskip(NEXT) | instid1(VALU_DEP_2)
	v_pk_fma_f16 v43, v17, v44, v23
	v_mul_u32_u24_e32 v45, 0x10001, v34
	ds_load_b128 v[34:37], v177 offset:11056
	v_pk_fma_f16 v25, v17, v45, v25
	s_wait_dscnt 0x0
	v_dual_lshrrev_b32 v46, 16, v34 :: v_dual_lshrrev_b32 v47, 16, v35
	v_dual_lshrrev_b32 v48, 16, v36 :: v_dual_lshrrev_b32 v49, 16, v37
	v_and_b32_e32 v34, 0xffff, v34
	v_and_b32_e32 v35, 0xffff, v35
	;; [unrolled: 1-line block ×4, first 2 shown]
	v_mul_u32_u24_e32 v41, 0x10001, v41
	v_mul_u32_u24_e32 v34, 0x10001, v34
	;; [unrolled: 1-line block ×9, first 2 shown]
	v_pk_fma_f16 v26, v17, v41, v26
	v_pk_fma_f16 v27, v17, v34, v27
	v_pk_fma_f16 v28, v17, v46, v28
	v_pk_fma_f16 v29, v17, v35, v29
	v_pk_fma_f16 v30, v17, v47, v30
	v_pk_fma_f16 v31, v17, v36, v31
	v_pk_fma_f16 v32, v17, v48, v32
	v_pk_fma_f16 v33, v17, v37, v33
	v_pk_fma_f16 v34, v17, v49, v16
	ds_load_2addr_b32 v[16:17], v18 offset0:128 offset1:160
	ds_load_b128 v[20:23], v177 offset:10048
	s_wait_dscnt 0x0
	v_lshrrev_b32_e32 v35, 16, v20
	v_and_b32_e32 v20, 0xffff, v20
	v_dual_lshrrev_b32 v36, 16, v21 :: v_dual_lshrrev_b32 v37, 16, v22
	v_lshrrev_b32_e32 v40, 16, v23
	s_delay_alu instid0(VALU_DEP_4) | instskip(NEXT) | instid1(VALU_DEP_4)
	v_mul_u32_u24_e32 v35, 0x10001, v35
	v_mul_u32_u24_e32 v41, 0x10001, v20
	v_and_b32_e32 v20, 0xffff, v21
	v_mul_u32_u24_e32 v36, 0x10001, v36
	v_mul_u32_u24_e32 v37, 0x10001, v37
	s_delay_alu instid0(VALU_DEP_4) | instskip(NEXT) | instid1(VALU_DEP_4)
	v_pk_fma_f16 v19, v16, v41, v19
	v_mul_u32_u24_e32 v44, 0x10001, v20
	v_and_b32_e32 v20, 0xffff, v22
	s_delay_alu instid0(VALU_DEP_4) | instskip(NEXT) | instid1(VALU_DEP_2)
	v_pk_fma_f16 v24, v16, v37, v24
	v_mul_u32_u24_e32 v45, 0x10001, v20
	v_and_b32_e32 v20, 0xffff, v23
	s_delay_alu instid0(VALU_DEP_1)
	v_mul_u32_u24_e32 v46, 0x10001, v20
	ds_load_b128 v[20:23], v177 offset:11072
	v_pk_fma_f16 v25, v16, v46, v25
	s_wait_dscnt 0x0
	v_lshrrev_b32_e32 v47, 16, v20
	v_and_b32_e32 v20, 0xffff, v20
	v_dual_lshrrev_b32 v48, 16, v21 :: v_dual_lshrrev_b32 v49, 16, v22
	v_lshrrev_b32_e32 v50, 16, v23
	v_mul_u32_u24_e32 v40, 0x10001, v40
	s_delay_alu instid0(VALU_DEP_4)
	v_mul_u32_u24_e32 v51, 0x10001, v20
	v_and_b32_e32 v20, 0xffff, v21
	v_mul_u32_u24_e32 v47, 0x10001, v47
	v_mul_u32_u24_e32 v48, 0x10001, v48
	;; [unrolled: 1-line block ×5, first 2 shown]
	v_and_b32_e32 v20, 0xffff, v22
	v_pk_fma_f16 v21, v16, v44, v42
	v_pk_fma_f16 v22, v16, v36, v39
	;; [unrolled: 1-line block ×4, first 2 shown]
	v_mul_u32_u24_e32 v53, 0x10001, v20
	v_and_b32_e32 v20, 0xffff, v23
	v_pk_fma_f16 v23, v16, v45, v43
	v_pk_fma_f16 v28, v16, v47, v28
	;; [unrolled: 1-line block ×4, first 2 shown]
	v_mul_u32_u24_e32 v54, 0x10001, v20
	v_pk_fma_f16 v20, v16, v35, v38
	v_pk_fma_f16 v31, v16, v53, v31
	;; [unrolled: 1-line block ×3, first 2 shown]
	s_delay_alu instid0(VALU_DEP_4)
	v_pk_fma_f16 v33, v16, v54, v33
	v_pk_fma_f16 v16, v16, v50, v34
	ds_load_b128 v[34:37], v177 offset:10064
	s_wait_dscnt 0x0
	v_lshrrev_b32_e32 v38, 16, v34
	v_and_b32_e32 v34, 0xffff, v34
	v_dual_lshrrev_b32 v39, 16, v35 :: v_dual_lshrrev_b32 v40, 16, v36
	v_lshrrev_b32_e32 v41, 16, v37
	s_delay_alu instid0(VALU_DEP_4) | instskip(NEXT) | instid1(VALU_DEP_4)
	v_mul_u32_u24_e32 v38, 0x10001, v38
	v_mul_u32_u24_e32 v42, 0x10001, v34
	v_and_b32_e32 v34, 0xffff, v35
	v_mul_u32_u24_e32 v39, 0x10001, v39
	v_mul_u32_u24_e32 v40, 0x10001, v40
	v_pk_fma_f16 v38, v17, v38, v20
	v_pk_fma_f16 v42, v17, v42, v19
	v_mul_u32_u24_e32 v43, 0x10001, v34
	v_and_b32_e32 v34, 0xffff, v36
	v_pk_fma_f16 v22, v17, v39, v22
	v_pk_fma_f16 v24, v17, v40, v24
	s_delay_alu instid0(VALU_DEP_4) | instskip(NEXT) | instid1(VALU_DEP_4)
	v_pk_fma_f16 v43, v17, v43, v21
	v_mul_u32_u24_e32 v44, 0x10001, v34
	v_and_b32_e32 v34, 0xffff, v37
	s_delay_alu instid0(VALU_DEP_2) | instskip(NEXT) | instid1(VALU_DEP_2)
	v_pk_fma_f16 v23, v17, v44, v23
	v_mul_u32_u24_e32 v45, 0x10001, v34
	ds_load_b128 v[34:37], v177 offset:11088
	v_pk_fma_f16 v25, v17, v45, v25
	s_wait_dscnt 0x0
	v_dual_lshrrev_b32 v46, 16, v34 :: v_dual_lshrrev_b32 v47, 16, v35
	v_dual_lshrrev_b32 v48, 16, v36 :: v_dual_lshrrev_b32 v49, 16, v37
	v_and_b32_e32 v34, 0xffff, v34
	v_and_b32_e32 v35, 0xffff, v35
	;; [unrolled: 1-line block ×4, first 2 shown]
	v_mul_u32_u24_e32 v41, 0x10001, v41
	v_mul_u32_u24_e32 v34, 0x10001, v34
	;; [unrolled: 1-line block ×9, first 2 shown]
	v_pk_fma_f16 v26, v17, v41, v26
	v_pk_fma_f16 v27, v17, v34, v27
	v_pk_fma_f16 v28, v17, v46, v28
	v_pk_fma_f16 v29, v17, v35, v29
	v_pk_fma_f16 v30, v17, v47, v30
	v_pk_fma_f16 v31, v17, v36, v31
	v_pk_fma_f16 v32, v17, v48, v32
	v_pk_fma_f16 v33, v17, v37, v33
	v_pk_fma_f16 v34, v17, v49, v16
	ds_load_2addr_b32 v[16:17], v18 offset0:192 offset1:224
	ds_load_b128 v[18:21], v177 offset:10080
	s_wait_dscnt 0x0
	v_lshrrev_b32_e32 v35, 16, v18
	v_and_b32_e32 v18, 0xffff, v18
	v_dual_lshrrev_b32 v36, 16, v19 :: v_dual_lshrrev_b32 v37, 16, v20
	v_lshrrev_b32_e32 v39, 16, v21
	s_delay_alu instid0(VALU_DEP_4) | instskip(NEXT) | instid1(VALU_DEP_4)
	v_mul_u32_u24_e32 v35, 0x10001, v35
	v_mul_u32_u24_e32 v40, 0x10001, v18
	v_and_b32_e32 v18, 0xffff, v19
	v_mul_u32_u24_e32 v36, 0x10001, v36
	v_mul_u32_u24_e32 v37, 0x10001, v37
	s_delay_alu instid0(VALU_DEP_3) | instskip(SKIP_1) | instid1(VALU_DEP_1)
	v_mul_u32_u24_e32 v41, 0x10001, v18
	v_and_b32_e32 v18, 0xffff, v20
	v_mul_u32_u24_e32 v44, 0x10001, v18
	v_and_b32_e32 v18, 0xffff, v21
	s_delay_alu instid0(VALU_DEP_1)
	v_mul_u32_u24_e32 v45, 0x10001, v18
	ds_load_b128 v[18:21], v177 offset:11104
	s_wait_dscnt 0x0
	v_lshrrev_b32_e32 v46, 16, v18
	v_and_b32_e32 v18, 0xffff, v18
	v_dual_lshrrev_b32 v47, 16, v19 :: v_dual_lshrrev_b32 v48, 16, v20
	v_lshrrev_b32_e32 v49, 16, v21
	v_mul_u32_u24_e32 v39, 0x10001, v39
	s_delay_alu instid0(VALU_DEP_4)
	v_mul_u32_u24_e32 v50, 0x10001, v18
	v_and_b32_e32 v18, 0xffff, v19
	v_mul_u32_u24_e32 v46, 0x10001, v46
	v_mul_u32_u24_e32 v47, 0x10001, v47
	;; [unrolled: 1-line block ×5, first 2 shown]
	v_and_b32_e32 v18, 0xffff, v20
	v_pk_fma_f16 v19, v16, v35, v38
	v_pk_fma_f16 v20, v16, v41, v43
	s_delay_alu instid0(VALU_DEP_3)
	v_mul_u32_u24_e32 v52, 0x10001, v18
	v_and_b32_e32 v18, 0xffff, v21
	v_pk_fma_f16 v21, v16, v36, v22
	v_pk_fma_f16 v22, v16, v44, v23
	;; [unrolled: 1-line block ×4, first 2 shown]
	v_mul_u32_u24_e32 v53, 0x10001, v18
	v_pk_fma_f16 v18, v16, v40, v42
	v_pk_fma_f16 v25, v16, v39, v26
	;; [unrolled: 1-line block ×10, first 2 shown]
	ds_load_b128 v[34:37], v177 offset:10096
	s_wait_dscnt 0x0
	v_lshrrev_b32_e32 v33, 16, v34
	v_and_b32_e32 v34, 0xffff, v34
	v_dual_lshrrev_b32 v38, 16, v35 :: v_dual_lshrrev_b32 v39, 16, v36
	v_lshrrev_b32_e32 v40, 16, v37
	s_delay_alu instid0(VALU_DEP_4) | instskip(NEXT) | instid1(VALU_DEP_4)
	v_mul_u32_u24_e32 v33, 0x10001, v33
	v_mul_u32_u24_e32 v41, 0x10001, v34
	v_and_b32_e32 v34, 0xffff, v35
	v_mul_u32_u24_e32 v38, 0x10001, v38
	v_mul_u32_u24_e32 v39, 0x10001, v39
	v_pk_fma_f16 v33, v17, v33, v19
	v_pk_fma_f16 v41, v17, v41, v18
	v_mul_u32_u24_e32 v42, 0x10001, v34
	v_and_b32_e32 v34, 0xffff, v36
	v_add_nc_u32_e32 v18, 0x1c00, v181
	v_pk_fma_f16 v38, v17, v38, v21
	v_pk_fma_f16 v39, v17, v39, v23
	;; [unrolled: 1-line block ×3, first 2 shown]
	v_mul_u32_u24_e32 v43, 0x10001, v34
	v_and_b32_e32 v34, 0xffff, v37
	s_delay_alu instid0(VALU_DEP_2) | instskip(NEXT) | instid1(VALU_DEP_2)
	v_pk_fma_f16 v43, v17, v43, v22
	v_mul_u32_u24_e32 v44, 0x10001, v34
	ds_load_b128 v[34:37], v177 offset:11120
	v_pk_fma_f16 v44, v17, v44, v24
	s_wait_dscnt 0x0
	v_dual_lshrrev_b32 v45, 16, v34 :: v_dual_lshrrev_b32 v46, 16, v35
	v_dual_lshrrev_b32 v47, 16, v36 :: v_dual_lshrrev_b32 v48, 16, v37
	v_and_b32_e32 v34, 0xffff, v34
	v_and_b32_e32 v35, 0xffff, v35
	;; [unrolled: 1-line block ×4, first 2 shown]
	v_mul_u32_u24_e32 v40, 0x10001, v40
	v_mul_u32_u24_e32 v34, 0x10001, v34
	;; [unrolled: 1-line block ×9, first 2 shown]
	v_pk_fma_f16 v40, v17, v40, v25
	v_pk_fma_f16 v34, v17, v34, v26
	;; [unrolled: 1-line block ×9, first 2 shown]
	ds_load_2addr_b32 v[16:17], v18 offset1:32
	ds_load_b128 v[20:23], v177 offset:10112
	s_wait_dscnt 0x0
	v_lshrrev_b32_e32 v19, 16, v20
	v_and_b32_e32 v20, 0xffff, v20
	v_dual_lshrrev_b32 v24, 16, v21 :: v_dual_lshrrev_b32 v25, 16, v22
	v_lshrrev_b32_e32 v26, 16, v23
	s_delay_alu instid0(VALU_DEP_4) | instskip(SKIP_4) | instid1(VALU_DEP_4)
	v_mul_u32_u24_e32 v28, 0x10001, v19
	v_and_b32_e32 v19, 0xffff, v21
	v_mul_u32_u24_e32 v27, 0x10001, v20
	v_mul_u32_u24_e32 v24, 0x10001, v24
	;; [unrolled: 1-line block ×4, first 2 shown]
	v_and_b32_e32 v19, 0xffff, v22
	s_delay_alu instid0(VALU_DEP_1)
	v_mul_u32_u24_e32 v30, 0x10001, v19
	v_and_b32_e32 v19, 0xffff, v23
	ds_load_b128 v[20:23], v177 offset:11136
	v_mul_u32_u24_e32 v31, 0x10001, v19
	s_wait_dscnt 0x0
	v_lshrrev_b32_e32 v19, 16, v20
	v_and_b32_e32 v20, 0xffff, v20
	v_dual_lshrrev_b32 v32, 16, v21 :: v_dual_lshrrev_b32 v49, 16, v22
	v_mul_u32_u24_e32 v26, 0x10001, v26
	s_delay_alu instid0(VALU_DEP_4)
	v_mul_u32_u24_e32 v52, 0x10001, v19
	v_and_b32_e32 v19, 0xffff, v21
	v_mul_u32_u24_e32 v51, 0x10001, v20
	v_pk_fma_f16 v20, v16, v28, v33
	v_pk_fma_f16 v21, v16, v29, v42
	;; [unrolled: 1-line block ×3, first 2 shown]
	v_mul_u32_u24_e32 v53, 0x10001, v19
	v_and_b32_e32 v19, 0xffff, v22
	v_pk_fma_f16 v22, v16, v24, v38
	v_pk_fma_f16 v24, v16, v25, v39
	;; [unrolled: 1-line block ×4, first 2 shown]
	v_mul_u32_u24_e32 v54, 0x10001, v19
	v_and_b32_e32 v19, 0xffff, v23
	v_pk_fma_f16 v28, v16, v52, v45
	v_mul_u32_u24_e32 v32, 0x10001, v32
	v_mul_u32_u24_e32 v49, 0x10001, v49
	v_pk_fma_f16 v31, v16, v54, v36
	v_mul_u32_u24_e32 v55, 0x10001, v19
	v_pk_fma_f16 v19, v16, v27, v41
	v_pk_fma_f16 v27, v16, v51, v34
	s_delay_alu instid0(VALU_DEP_3)
	v_pk_fma_f16 v33, v16, v55, v37
	ds_load_b128 v[34:37], v177 offset:10128
	v_lshrrev_b32_e32 v50, 16, v23
	v_pk_fma_f16 v23, v16, v30, v43
	v_pk_fma_f16 v30, v16, v32, v46
	;; [unrolled: 1-line block ×3, first 2 shown]
	s_wait_dscnt 0x0
	v_lshrrev_b32_e32 v38, 16, v34
	v_and_b32_e32 v34, 0xffff, v34
	v_dual_lshrrev_b32 v39, 16, v35 :: v_dual_lshrrev_b32 v40, 16, v36
	v_lshrrev_b32_e32 v41, 16, v37
	v_mul_u32_u24_e32 v50, 0x10001, v50
	s_delay_alu instid0(VALU_DEP_4)
	v_mul_u32_u24_e32 v42, 0x10001, v34
	v_and_b32_e32 v34, 0xffff, v35
	v_mul_u32_u24_e32 v38, 0x10001, v38
	v_mul_u32_u24_e32 v39, 0x10001, v39
	v_pk_fma_f16 v16, v16, v50, v48
	v_mul_u32_u24_e32 v40, 0x10001, v40
	v_mul_u32_u24_e32 v43, 0x10001, v34
	v_and_b32_e32 v34, 0xffff, v36
	v_pk_fma_f16 v19, v17, v42, v19
	v_pk_fma_f16 v38, v17, v38, v20
	;; [unrolled: 1-line block ×4, first 2 shown]
	v_mul_u32_u24_e32 v44, 0x10001, v34
	v_and_b32_e32 v34, 0xffff, v37
	v_pk_fma_f16 v24, v17, v40, v24
	s_delay_alu instid0(VALU_DEP_3) | instskip(NEXT) | instid1(VALU_DEP_3)
	v_pk_fma_f16 v43, v17, v44, v23
	v_mul_u32_u24_e32 v45, 0x10001, v34
	ds_load_b128 v[34:37], v177 offset:11152
	v_pk_fma_f16 v25, v17, v45, v25
	s_wait_dscnt 0x0
	v_dual_lshrrev_b32 v46, 16, v34 :: v_dual_lshrrev_b32 v47, 16, v35
	v_dual_lshrrev_b32 v48, 16, v36 :: v_dual_lshrrev_b32 v49, 16, v37
	v_and_b32_e32 v34, 0xffff, v34
	v_and_b32_e32 v35, 0xffff, v35
	;; [unrolled: 1-line block ×4, first 2 shown]
	v_mul_u32_u24_e32 v41, 0x10001, v41
	v_mul_u32_u24_e32 v34, 0x10001, v34
	v_mul_u32_u24_e32 v46, 0x10001, v46
	v_mul_u32_u24_e32 v35, 0x10001, v35
	v_mul_u32_u24_e32 v47, 0x10001, v47
	v_mul_u32_u24_e32 v36, 0x10001, v36
	v_mul_u32_u24_e32 v48, 0x10001, v48
	v_mul_u32_u24_e32 v37, 0x10001, v37
	v_mul_u32_u24_e32 v49, 0x10001, v49
	v_pk_fma_f16 v26, v17, v41, v26
	v_pk_fma_f16 v27, v17, v34, v27
	;; [unrolled: 1-line block ×9, first 2 shown]
	ds_load_2addr_b32 v[16:17], v18 offset0:64 offset1:96
	ds_load_b128 v[20:23], v177 offset:10144
	s_wait_dscnt 0x0
	v_lshrrev_b32_e32 v35, 16, v20
	v_and_b32_e32 v20, 0xffff, v20
	v_dual_lshrrev_b32 v36, 16, v21 :: v_dual_lshrrev_b32 v37, 16, v22
	v_lshrrev_b32_e32 v40, 16, v23
	s_delay_alu instid0(VALU_DEP_4) | instskip(NEXT) | instid1(VALU_DEP_4)
	v_mul_u32_u24_e32 v35, 0x10001, v35
	v_mul_u32_u24_e32 v41, 0x10001, v20
	v_and_b32_e32 v20, 0xffff, v21
	v_mul_u32_u24_e32 v36, 0x10001, v36
	v_mul_u32_u24_e32 v37, 0x10001, v37
	s_delay_alu instid0(VALU_DEP_4) | instskip(NEXT) | instid1(VALU_DEP_4)
	v_pk_fma_f16 v19, v16, v41, v19
	v_mul_u32_u24_e32 v44, 0x10001, v20
	v_and_b32_e32 v20, 0xffff, v22
	s_delay_alu instid0(VALU_DEP_4) | instskip(NEXT) | instid1(VALU_DEP_2)
	v_pk_fma_f16 v24, v16, v37, v24
	v_mul_u32_u24_e32 v45, 0x10001, v20
	v_and_b32_e32 v20, 0xffff, v23
	s_delay_alu instid0(VALU_DEP_1)
	v_mul_u32_u24_e32 v46, 0x10001, v20
	ds_load_b128 v[20:23], v177 offset:11168
	v_pk_fma_f16 v25, v16, v46, v25
	s_wait_dscnt 0x0
	v_lshrrev_b32_e32 v47, 16, v20
	v_and_b32_e32 v20, 0xffff, v20
	v_dual_lshrrev_b32 v48, 16, v21 :: v_dual_lshrrev_b32 v49, 16, v22
	v_lshrrev_b32_e32 v50, 16, v23
	v_mul_u32_u24_e32 v40, 0x10001, v40
	s_delay_alu instid0(VALU_DEP_4)
	v_mul_u32_u24_e32 v51, 0x10001, v20
	v_and_b32_e32 v20, 0xffff, v21
	v_mul_u32_u24_e32 v47, 0x10001, v47
	v_mul_u32_u24_e32 v48, 0x10001, v48
	;; [unrolled: 1-line block ×5, first 2 shown]
	v_and_b32_e32 v20, 0xffff, v22
	v_pk_fma_f16 v21, v16, v44, v42
	v_pk_fma_f16 v22, v16, v36, v39
	;; [unrolled: 1-line block ×4, first 2 shown]
	v_mul_u32_u24_e32 v53, 0x10001, v20
	v_and_b32_e32 v20, 0xffff, v23
	v_pk_fma_f16 v23, v16, v45, v43
	v_pk_fma_f16 v28, v16, v47, v28
	;; [unrolled: 1-line block ×4, first 2 shown]
	v_mul_u32_u24_e32 v54, 0x10001, v20
	v_pk_fma_f16 v20, v16, v35, v38
	v_pk_fma_f16 v31, v16, v53, v31
	;; [unrolled: 1-line block ×3, first 2 shown]
	s_delay_alu instid0(VALU_DEP_4)
	v_pk_fma_f16 v33, v16, v54, v33
	v_pk_fma_f16 v16, v16, v50, v34
	ds_load_b128 v[34:37], v177 offset:10160
	s_wait_dscnt 0x0
	v_lshrrev_b32_e32 v38, 16, v34
	v_and_b32_e32 v34, 0xffff, v34
	v_dual_lshrrev_b32 v39, 16, v35 :: v_dual_lshrrev_b32 v40, 16, v36
	v_lshrrev_b32_e32 v41, 16, v37
	s_delay_alu instid0(VALU_DEP_4) | instskip(NEXT) | instid1(VALU_DEP_4)
	v_mul_u32_u24_e32 v38, 0x10001, v38
	v_mul_u32_u24_e32 v42, 0x10001, v34
	v_and_b32_e32 v34, 0xffff, v35
	v_mul_u32_u24_e32 v39, 0x10001, v39
	v_mul_u32_u24_e32 v40, 0x10001, v40
	v_pk_fma_f16 v38, v17, v38, v20
	v_pk_fma_f16 v19, v17, v42, v19
	v_mul_u32_u24_e32 v43, 0x10001, v34
	v_and_b32_e32 v34, 0xffff, v36
	v_pk_fma_f16 v39, v17, v39, v22
	v_pk_fma_f16 v24, v17, v40, v24
	s_delay_alu instid0(VALU_DEP_4) | instskip(NEXT) | instid1(VALU_DEP_4)
	v_pk_fma_f16 v42, v17, v43, v21
	v_mul_u32_u24_e32 v44, 0x10001, v34
	v_and_b32_e32 v34, 0xffff, v37
	s_delay_alu instid0(VALU_DEP_2) | instskip(NEXT) | instid1(VALU_DEP_2)
	v_pk_fma_f16 v43, v17, v44, v23
	v_mul_u32_u24_e32 v45, 0x10001, v34
	ds_load_b128 v[34:37], v177 offset:11184
	v_pk_fma_f16 v25, v17, v45, v25
	s_wait_dscnt 0x0
	v_dual_lshrrev_b32 v46, 16, v34 :: v_dual_lshrrev_b32 v47, 16, v35
	v_dual_lshrrev_b32 v48, 16, v36 :: v_dual_lshrrev_b32 v49, 16, v37
	v_and_b32_e32 v34, 0xffff, v34
	v_and_b32_e32 v35, 0xffff, v35
	;; [unrolled: 1-line block ×4, first 2 shown]
	v_mul_u32_u24_e32 v41, 0x10001, v41
	v_mul_u32_u24_e32 v34, 0x10001, v34
	v_mul_u32_u24_e32 v46, 0x10001, v46
	v_mul_u32_u24_e32 v35, 0x10001, v35
	v_mul_u32_u24_e32 v47, 0x10001, v47
	v_mul_u32_u24_e32 v36, 0x10001, v36
	v_mul_u32_u24_e32 v48, 0x10001, v48
	v_mul_u32_u24_e32 v37, 0x10001, v37
	v_mul_u32_u24_e32 v49, 0x10001, v49
	v_pk_fma_f16 v26, v17, v41, v26
	v_pk_fma_f16 v27, v17, v34, v27
	;; [unrolled: 1-line block ×9, first 2 shown]
	ds_load_2addr_b32 v[16:17], v18 offset0:128 offset1:160
	ds_load_b128 v[20:23], v177 offset:10176
	s_wait_dscnt 0x0
	v_lshrrev_b32_e32 v35, 16, v20
	v_and_b32_e32 v20, 0xffff, v20
	v_dual_lshrrev_b32 v36, 16, v21 :: v_dual_lshrrev_b32 v37, 16, v22
	v_lshrrev_b32_e32 v40, 16, v23
	s_delay_alu instid0(VALU_DEP_4) | instskip(NEXT) | instid1(VALU_DEP_4)
	v_mul_u32_u24_e32 v35, 0x10001, v35
	v_mul_u32_u24_e32 v41, 0x10001, v20
	v_and_b32_e32 v20, 0xffff, v21
	v_mul_u32_u24_e32 v36, 0x10001, v36
	v_mul_u32_u24_e32 v37, 0x10001, v37
	s_delay_alu instid0(VALU_DEP_4) | instskip(NEXT) | instid1(VALU_DEP_4)
	v_pk_fma_f16 v19, v16, v41, v19
	v_mul_u32_u24_e32 v44, 0x10001, v20
	v_and_b32_e32 v20, 0xffff, v22
	s_delay_alu instid0(VALU_DEP_4) | instskip(NEXT) | instid1(VALU_DEP_2)
	v_pk_fma_f16 v24, v16, v37, v24
	v_mul_u32_u24_e32 v45, 0x10001, v20
	v_and_b32_e32 v20, 0xffff, v23
	s_delay_alu instid0(VALU_DEP_1)
	v_mul_u32_u24_e32 v46, 0x10001, v20
	ds_load_b128 v[20:23], v177 offset:11200
	v_pk_fma_f16 v25, v16, v46, v25
	s_wait_dscnt 0x0
	v_lshrrev_b32_e32 v47, 16, v20
	v_and_b32_e32 v20, 0xffff, v20
	v_dual_lshrrev_b32 v48, 16, v21 :: v_dual_lshrrev_b32 v49, 16, v22
	v_lshrrev_b32_e32 v50, 16, v23
	v_mul_u32_u24_e32 v40, 0x10001, v40
	s_delay_alu instid0(VALU_DEP_4)
	v_mul_u32_u24_e32 v51, 0x10001, v20
	v_and_b32_e32 v20, 0xffff, v21
	v_mul_u32_u24_e32 v47, 0x10001, v47
	v_mul_u32_u24_e32 v48, 0x10001, v48
	;; [unrolled: 1-line block ×5, first 2 shown]
	v_and_b32_e32 v20, 0xffff, v22
	v_pk_fma_f16 v21, v16, v44, v42
	v_pk_fma_f16 v22, v16, v36, v39
	;; [unrolled: 1-line block ×4, first 2 shown]
	v_mul_u32_u24_e32 v53, 0x10001, v20
	v_and_b32_e32 v20, 0xffff, v23
	v_pk_fma_f16 v23, v16, v45, v43
	v_pk_fma_f16 v28, v16, v47, v28
	;; [unrolled: 1-line block ×4, first 2 shown]
	v_mul_u32_u24_e32 v54, 0x10001, v20
	v_pk_fma_f16 v20, v16, v35, v38
	v_pk_fma_f16 v31, v16, v53, v31
	;; [unrolled: 1-line block ×3, first 2 shown]
	s_delay_alu instid0(VALU_DEP_4)
	v_pk_fma_f16 v33, v16, v54, v33
	v_pk_fma_f16 v16, v16, v50, v34
	ds_load_b128 v[34:37], v177 offset:10192
	s_wait_dscnt 0x0
	v_lshrrev_b32_e32 v38, 16, v34
	v_and_b32_e32 v34, 0xffff, v34
	v_dual_lshrrev_b32 v39, 16, v35 :: v_dual_lshrrev_b32 v40, 16, v36
	v_lshrrev_b32_e32 v41, 16, v37
	s_delay_alu instid0(VALU_DEP_4) | instskip(NEXT) | instid1(VALU_DEP_4)
	v_mul_u32_u24_e32 v38, 0x10001, v38
	v_mul_u32_u24_e32 v42, 0x10001, v34
	v_and_b32_e32 v34, 0xffff, v35
	v_mul_u32_u24_e32 v39, 0x10001, v39
	v_mul_u32_u24_e32 v40, 0x10001, v40
	v_pk_fma_f16 v38, v17, v38, v20
	v_pk_fma_f16 v42, v17, v42, v19
	v_mul_u32_u24_e32 v43, 0x10001, v34
	v_and_b32_e32 v34, 0xffff, v36
	v_pk_fma_f16 v22, v17, v39, v22
	v_pk_fma_f16 v24, v17, v40, v24
	s_delay_alu instid0(VALU_DEP_4) | instskip(NEXT) | instid1(VALU_DEP_4)
	v_pk_fma_f16 v43, v17, v43, v21
	v_mul_u32_u24_e32 v44, 0x10001, v34
	v_and_b32_e32 v34, 0xffff, v37
	s_delay_alu instid0(VALU_DEP_2) | instskip(NEXT) | instid1(VALU_DEP_2)
	v_pk_fma_f16 v23, v17, v44, v23
	v_mul_u32_u24_e32 v45, 0x10001, v34
	ds_load_b128 v[34:37], v177 offset:11216
	v_pk_fma_f16 v25, v17, v45, v25
	s_wait_dscnt 0x0
	v_dual_lshrrev_b32 v46, 16, v34 :: v_dual_lshrrev_b32 v47, 16, v35
	v_dual_lshrrev_b32 v48, 16, v36 :: v_dual_lshrrev_b32 v49, 16, v37
	v_and_b32_e32 v34, 0xffff, v34
	v_and_b32_e32 v35, 0xffff, v35
	;; [unrolled: 1-line block ×4, first 2 shown]
	v_mul_u32_u24_e32 v41, 0x10001, v41
	v_mul_u32_u24_e32 v34, 0x10001, v34
	;; [unrolled: 1-line block ×9, first 2 shown]
	v_pk_fma_f16 v26, v17, v41, v26
	v_pk_fma_f16 v27, v17, v34, v27
	;; [unrolled: 1-line block ×9, first 2 shown]
	ds_load_2addr_b32 v[16:17], v18 offset0:192 offset1:224
	ds_load_b128 v[18:21], v177 offset:10208
	s_wait_dscnt 0x0
	v_lshrrev_b32_e32 v35, 16, v18
	v_and_b32_e32 v18, 0xffff, v18
	v_dual_lshrrev_b32 v36, 16, v19 :: v_dual_lshrrev_b32 v37, 16, v20
	v_lshrrev_b32_e32 v39, 16, v21
	s_delay_alu instid0(VALU_DEP_4) | instskip(NEXT) | instid1(VALU_DEP_4)
	v_mul_u32_u24_e32 v35, 0x10001, v35
	v_mul_u32_u24_e32 v40, 0x10001, v18
	v_and_b32_e32 v18, 0xffff, v19
	v_mul_u32_u24_e32 v36, 0x10001, v36
	v_mul_u32_u24_e32 v37, 0x10001, v37
	s_delay_alu instid0(VALU_DEP_3) | instskip(SKIP_1) | instid1(VALU_DEP_1)
	v_mul_u32_u24_e32 v41, 0x10001, v18
	v_and_b32_e32 v18, 0xffff, v20
	v_mul_u32_u24_e32 v44, 0x10001, v18
	v_and_b32_e32 v18, 0xffff, v21
	s_delay_alu instid0(VALU_DEP_1)
	v_mul_u32_u24_e32 v45, 0x10001, v18
	ds_load_b128 v[18:21], v177 offset:11232
	s_wait_dscnt 0x0
	v_lshrrev_b32_e32 v46, 16, v18
	v_and_b32_e32 v18, 0xffff, v18
	v_dual_lshrrev_b32 v47, 16, v19 :: v_dual_lshrrev_b32 v48, 16, v20
	v_lshrrev_b32_e32 v49, 16, v21
	v_mul_u32_u24_e32 v39, 0x10001, v39
	s_delay_alu instid0(VALU_DEP_4)
	v_mul_u32_u24_e32 v50, 0x10001, v18
	v_and_b32_e32 v18, 0xffff, v19
	v_mul_u32_u24_e32 v46, 0x10001, v46
	v_mul_u32_u24_e32 v47, 0x10001, v47
	;; [unrolled: 1-line block ×5, first 2 shown]
	v_and_b32_e32 v18, 0xffff, v20
	v_pk_fma_f16 v19, v16, v35, v38
	v_pk_fma_f16 v20, v16, v41, v43
	s_delay_alu instid0(VALU_DEP_3)
	v_mul_u32_u24_e32 v52, 0x10001, v18
	v_and_b32_e32 v18, 0xffff, v21
	v_pk_fma_f16 v21, v16, v36, v22
	v_pk_fma_f16 v22, v16, v44, v23
	;; [unrolled: 1-line block ×4, first 2 shown]
	v_mul_u32_u24_e32 v53, 0x10001, v18
	v_pk_fma_f16 v18, v16, v40, v42
	v_pk_fma_f16 v25, v16, v39, v26
	v_pk_fma_f16 v26, v16, v50, v27
	v_pk_fma_f16 v27, v16, v46, v28
	v_pk_fma_f16 v28, v16, v51, v29
	v_pk_fma_f16 v29, v16, v47, v30
	v_pk_fma_f16 v30, v16, v52, v31
	v_pk_fma_f16 v31, v16, v48, v32
	v_pk_fma_f16 v32, v16, v53, v33
	v_pk_fma_f16 v16, v16, v49, v34
	ds_load_b128 v[34:37], v177 offset:10224
	s_wait_dscnt 0x0
	v_lshrrev_b32_e32 v33, 16, v34
	v_and_b32_e32 v34, 0xffff, v34
	v_dual_lshrrev_b32 v38, 16, v35 :: v_dual_lshrrev_b32 v39, 16, v36
	v_lshrrev_b32_e32 v40, 16, v37
	s_delay_alu instid0(VALU_DEP_4) | instskip(NEXT) | instid1(VALU_DEP_4)
	v_mul_u32_u24_e32 v33, 0x10001, v33
	v_mul_u32_u24_e32 v41, 0x10001, v34
	v_and_b32_e32 v34, 0xffff, v35
	v_mul_u32_u24_e32 v38, 0x10001, v38
	v_mul_u32_u24_e32 v39, 0x10001, v39
	v_pk_fma_f16 v138, v17, v33, v19
	v_pk_fma_f16 v139, v17, v41, v18
	v_mul_u32_u24_e32 v42, 0x10001, v34
	v_and_b32_e32 v34, 0xffff, v36
	v_pk_fma_f16 v176, v17, v38, v21
	v_pk_fma_f16 v186, v17, v39, v23
	s_delay_alu instid0(VALU_DEP_4) | instskip(NEXT) | instid1(VALU_DEP_4)
	v_pk_fma_f16 v188, v17, v42, v20
	v_mul_u32_u24_e32 v43, 0x10001, v34
	v_and_b32_e32 v34, 0xffff, v37
	s_delay_alu instid0(VALU_DEP_2) | instskip(NEXT) | instid1(VALU_DEP_2)
	v_pk_fma_f16 v172, v17, v43, v22
	v_mul_u32_u24_e32 v44, 0x10001, v34
	ds_load_b128 v[34:37], v177 offset:11248
	s_wait_dscnt 0x0
	s_barrier_signal -1
	s_barrier_wait -1
	s_clause 0x1
	scratch_load_b32 v146, off, off offset:16
	scratch_load_b32 v140, off, off offset:36
	v_pk_fma_f16 v180, v17, v44, v24
	v_dual_lshrrev_b32 v45, 16, v34 :: v_dual_lshrrev_b32 v46, 16, v35
	v_dual_lshrrev_b32 v47, 16, v36 :: v_dual_lshrrev_b32 v48, 16, v37
	v_and_b32_e32 v34, 0xffff, v34
	v_and_b32_e32 v35, 0xffff, v35
	;; [unrolled: 1-line block ×4, first 2 shown]
	v_mul_u32_u24_e32 v40, 0x10001, v40
	v_mul_u32_u24_e32 v34, 0x10001, v34
	;; [unrolled: 1-line block ×9, first 2 shown]
	v_pk_fma_f16 v175, v17, v40, v25
	v_pk_fma_f16 v191, v17, v34, v26
	;; [unrolled: 1-line block ×9, first 2 shown]
	v_mov_b64_e32 v[48:49], v[64:65]
	v_mov_b64_e32 v[46:47], v[14:15]
	;; [unrolled: 1-line block ×16, first 2 shown]
.LBB52_225:
	v_cmp_lt_i32_e32 vcc_lo, v85, v81
	s_cmp_eq_u64 s[12:13], 0
	s_cselect_b32 s2, -1, 0
	s_cmp_lg_u32 s20, 0
	v_cndmask_b32_e32 v0, v110, v85, vcc_lo
	v_cmp_lt_i32_e32 vcc_lo, v84, v81
	s_cselect_b32 s3, -1, 0
	s_delay_alu instid0(SALU_CYCLE_1) | instskip(SKIP_3) | instid1(VALU_DEP_3)
	s_or_b32 s2, s3, s2
	v_cndmask_b32_e32 v10, v110, v84, vcc_lo
	v_lshlrev_b32_e32 v15, 2, v0
	v_cmp_lt_i32_e32 vcc_lo, v83, v81
	v_lshlrev_b32_e32 v31, 2, v10
	ds_bpermute_b32 v0, v15, v32
	ds_bpermute_b32 v1, v15, v33
	;; [unrolled: 1-line block ×16, first 2 shown]
	v_cndmask_b32_e32 v26, v110, v83, vcc_lo
	v_cmp_lt_i32_e32 vcc_lo, v82, v81
	s_wait_dscnt 0xe
	v_pk_add_f32 v[0:1], v[32:33], v[0:1]
	v_cndmask_b32_e32 v33, v110, v82, vcc_lo
	s_wait_dscnt 0xc
	v_pk_add_f32 v[2:3], v[34:35], v[2:3]
	v_lshlrev_b32_e32 v32, 2, v26
	s_wait_dscnt 0xa
	v_pk_add_f32 v[4:5], v[36:37], v[4:5]
	ds_bpermute_b32 v16, v31, v0
	s_wait_dscnt 0x9
	v_pk_add_f32 v[6:7], v[38:39], v[6:7]
	ds_bpermute_b32 v17, v31, v1
	;; [unrolled: 3-line block ×6, first 2 shown]
	ds_bpermute_b32 v22, v31, v6
	ds_bpermute_b32 v23, v31, v7
	;; [unrolled: 1-line block ×10, first 2 shown]
	v_lshlrev_b32_e32 v33, 2, v33
	s_wait_dscnt 0xe
	v_pk_add_f32 v[0:1], v[0:1], v[16:17]
	v_cmp_lt_i32_e32 vcc_lo, v80, v81
	s_wait_dscnt 0xc
	v_pk_add_f32 v[2:3], v[2:3], v[18:19]
	ds_bpermute_b32 v16, v32, v0
	ds_bpermute_b32 v17, v32, v1
	s_wait_dscnt 0xc
	v_pk_add_f32 v[4:5], v[4:5], v[20:21]
	ds_bpermute_b32 v18, v32, v2
	s_wait_dscnt 0xb
	v_pk_add_f32 v[6:7], v[6:7], v[22:23]
	;; [unrolled: 3-line block ×6, first 2 shown]
	ds_bpermute_b32 v23, v32, v7
	ds_bpermute_b32 v24, v32, v8
	;; [unrolled: 1-line block ×9, first 2 shown]
	s_wait_dscnt 0xe
	v_pk_add_f32 v[0:1], v[0:1], v[16:17]
	v_cndmask_b32_e32 v32, v110, v80, vcc_lo
	s_and_b32 vcc_lo, exec_lo, s2
	s_wait_dscnt 0xc
	v_pk_add_f32 v[2:3], v[2:3], v[18:19]
	ds_bpermute_b32 v16, v33, v0
	ds_bpermute_b32 v17, v33, v1
	s_wait_dscnt 0xc
	v_pk_add_f32 v[4:5], v[4:5], v[20:21]
	ds_bpermute_b32 v18, v33, v2
	ds_bpermute_b32 v19, v33, v3
	v_lshlrev_b32_e32 v39, 2, v32
	s_wait_dscnt 0xc
	v_pk_add_f32 v[6:7], v[6:7], v[22:23]
	ds_bpermute_b32 v20, v33, v4
	s_wait_dscnt 0xb
	v_pk_add_f32 v[8:9], v[8:9], v[24:25]
	ds_bpermute_b32 v21, v33, v5
	;; [unrolled: 3-line block ×5, first 2 shown]
	ds_bpermute_b32 v25, v33, v9
	ds_bpermute_b32 v26, v33, v10
	;; [unrolled: 1-line block ×7, first 2 shown]
	s_wait_dscnt 0xe
	v_pk_add_f32 v[0:1], v[0:1], v[16:17]
	s_wait_dscnt 0xc
	v_pk_add_f32 v[2:3], v[2:3], v[18:19]
	ds_bpermute_b32 v16, v39, v0
	s_wait_dscnt 0xb
	v_pk_add_f32 v[4:5], v[4:5], v[20:21]
	ds_bpermute_b32 v17, v39, v1
	ds_bpermute_b32 v18, v39, v2
	;; [unrolled: 1-line block ×3, first 2 shown]
	s_wait_dscnt 0xc
	v_pk_add_f32 v[6:7], v[6:7], v[22:23]
	ds_bpermute_b32 v20, v39, v4
	ds_bpermute_b32 v21, v39, v5
	s_wait_dscnt 0xc
	v_pk_add_f32 v[8:9], v[8:9], v[24:25]
	s_wait_dscnt 0xa
	v_pk_add_f32 v[10:11], v[10:11], v[26:27]
	ds_bpermute_b32 v22, v39, v6
	s_wait_dscnt 0x9
	v_pk_add_f32 v[12:13], v[12:13], v[28:29]
	ds_bpermute_b32 v23, v39, v7
	;; [unrolled: 3-line block ×3, first 2 shown]
	ds_bpermute_b32 v33, v39, v9
	ds_bpermute_b32 v34, v39, v10
	;; [unrolled: 1-line block ×7, first 2 shown]
	s_wait_dscnt 0xe
	v_pk_add_f32 v[30:31], v[0:1], v[16:17]
	s_wait_dscnt 0xc
	v_pk_add_f32 v[28:29], v[2:3], v[18:19]
	;; [unrolled: 2-line block ×8, first 2 shown]
	s_cbranch_vccnz .LBB52_227
; %bb.226:
	v_dual_mov_b32 v0, s33 :: v_dual_max_num_f32 v1, v49, v49
	v_dual_max_num_f32 v3, v51, v51 :: v_dual_max_num_f32 v4, v52, v52
	v_dual_max_num_f32 v5, v53, v53 :: v_dual_max_num_f32 v6, v54, v54
	s_wait_loadcnt 0xe
	global_load_b32 v64, v0, s[12:13] scale_offset
	s_wait_xcnt 0x0
	v_dual_max_num_f32 v0, v48, v48 :: v_dual_max_num_f32 v2, v50, v50
	v_dual_max_num_f32 v10, v58, v58 :: v_dual_max_num_f32 v11, v59, v59
	v_dual_max_num_f32 v7, v55, v55 :: v_dual_max_num_f32 v8, v56, v56
	s_wait_loadcnt 0x0
	v_dual_max_num_f32 v9, v57, v57 :: v_dual_max_num_f32 v15, v64, v64
	s_delay_alu instid0(VALU_DEP_1) | instskip(SKIP_3) | instid1(VALU_DEP_3)
	v_dual_max_num_f32 v12, v60, v60 :: v_dual_max_num_f32 v1, v1, v15
	v_dual_max_num_f32 v0, v0, v15 :: v_dual_max_num_f32 v2, v2, v15
	;; [unrolled: 1-line block ×4, first 2 shown]
	v_dual_sub_f32 v13, v48, v0 :: v_dual_sub_f32 v35, v49, v1
	v_dual_max_num_f32 v11, v11, v15 :: v_dual_max_num_f32 v12, v12, v15
	v_dual_sub_f32 v33, v64, v0 :: v_dual_sub_f32 v36, v64, v1
	v_dual_sub_f32 v37, v50, v2 :: v_dual_sub_f32 v38, v64, v2
	;; [unrolled: 1-line block ×3, first 2 shown]
	v_dual_mul_f32 v32, 0x3fb8aa3b, v13 :: v_dual_max_num_f32 v7, v7, v15
	v_dual_max_num_f32 v8, v8, v15 :: v_dual_max_num_f32 v9, v9, v15
	v_dual_max_num_f32 v10, v10, v15 :: v_dual_sub_f32 v41, v52, v4
	v_dual_sub_f32 v43, v53, v5 :: v_dual_sub_f32 v42, v64, v4
	v_sub_f32_e32 v44, v64, v5
	v_sub_f32_e32 v14, v60, v12
	s_delay_alu instid0(VALU_DEP_3)
	v_dual_mul_f32 v34, 0x3fb8aa3b, v33 :: v_dual_mul_f32 v69, 0x3fb8aa3b, v43
	v_dual_mul_f32 v60, 0x3fb8aa3b, v38 :: v_dual_mul_f32 v67, 0x3fb8aa3b, v41
	v_mul_f32_e32 v65, 0x3fb8aa3b, v39
	v_fma_f32 v83, 0x3fb8aa3b, v13, -v32
	v_rndne_f32_e32 v84, v32
	v_dual_sub_f32 v47, v55, v7 :: v_dual_sub_f32 v48, v64, v7
	v_dual_sub_f32 v49, v56, v8 :: v_dual_sub_f32 v51, v57, v9
	v_dual_mul_f32 v57, 0x3fb8aa3b, v35 :: v_dual_mul_f32 v68, 0x3fb8aa3b, v42
	s_delay_alu instid0(VALU_DEP_3)
	v_mul_f32_e32 v73, 0x3fb8aa3b, v47
	v_fma_f32 v85, 0x3fb8aa3b, v33, -v34
	v_rndne_f32_e32 v86, v34
	v_fma_f32 v93, 0x3fb8aa3b, v38, -v60
	v_dual_fmac_f32 v83, 0x32a5705f, v13 :: v_dual_sub_f32 v32, v32, v84
	v_dual_sub_f32 v45, v54, v6 :: v_dual_sub_f32 v46, v64, v6
	v_dual_sub_f32 v53, v58, v10 :: v_dual_sub_f32 v54, v64, v10
	v_mul_f32_e32 v58, 0x3fb8aa3b, v36
	v_fma_f32 v87, 0x3fb8aa3b, v35, -v57
	v_rndne_f32_e32 v88, v57
	v_fma_f32 v101, 0x3fb8aa3b, v42, -v68
	v_dual_fmac_f32 v85, 0x32a5705f, v33 :: v_dual_sub_f32 v34, v34, v86
	v_dual_fmac_f32 v93, 0x32a5705f, v38 :: v_dual_add_f32 v32, v32, v83
	v_dual_sub_f32 v50, v64, v8 :: v_dual_sub_f32 v52, v64, v9
	v_dual_sub_f32 v56, v59, v11 :: v_dual_sub_f32 v55, v64, v11
	v_dual_mul_f32 v59, 0x3fb8aa3b, v37 :: v_dual_mul_f32 v66, 0x3fb8aa3b, v40
	v_dual_mul_f32 v71, 0x3fb8aa3b, v45 :: v_dual_mul_f32 v80, 0x3fb8aa3b, v54
	v_sub_f32_e32 v57, v57, v88
	v_fma_f32 v89, 0x3fb8aa3b, v36, -v58
	v_rndne_f32_e32 v90, v58
	v_fmac_f32_e32 v87, 0x32a5705f, v35
	v_dual_fmac_f32 v101, 0x32a5705f, v42 :: v_dual_add_f32 v34, v34, v85
	v_exp_f32_e32 v32, v32
	v_cvt_i32_f32_e32 v84, v84
	v_fma_f32 v91, 0x3fb8aa3b, v37, -v59
	v_rndne_f32_e32 v92, v59
	v_rndne_f32_e32 v94, v60
	;; [unrolled: 1-line block ×3, first 2 shown]
	v_dual_fmac_f32 v89, 0x32a5705f, v36 :: v_dual_sub_f32 v58, v58, v90
	v_dual_mul_f32 v78, 0x3fb8aa3b, v52 :: v_dual_add_f32 v57, v57, v87
	v_exp_f32_e32 v34, v34
	v_dual_mul_f32 v70, 0x3fb8aa3b, v44 :: v_dual_mul_f32 v75, 0x3fb8aa3b, v49
	v_dual_mul_f32 v72, 0x3fb8aa3b, v46 :: v_dual_mul_f32 v77, 0x3fb8aa3b, v51
	v_fma_f32 v107, 0x3fb8aa3b, v45, -v71
	v_cvt_i32_f32_e32 v86, v86
	v_ldexp_f32 v32, v32, v84
	v_cmp_ngt_f32_e32 vcc_lo, 0xc2ce8ed0, v13
	v_dual_mul_f32 v74, 0x3fb8aa3b, v48 :: v_dual_mul_f32 v79, 0x3fb8aa3b, v53
	v_dual_mul_f32 v82, 0x3fb8aa3b, v55 :: v_dual_sub_f32 v59, v59, v92
	v_rndne_f32_e32 v98, v66
	v_fma_f32 v103, 0x3fb8aa3b, v43, -v69
	v_rndne_f32_e32 v104, v69
	v_rndne_f32_e32 v112, v73
	v_dual_fmac_f32 v91, 0x32a5705f, v37 :: v_dual_sub_f32 v60, v60, v94
	v_dual_sub_f32 v71, v71, v108 :: v_dual_add_f32 v58, v58, v89
	v_exp_f32_e32 v57, v57
	v_fma_f32 v97, 0x3fb8aa3b, v40, -v66
	v_rndne_f32_e32 v110, v72
	v_fma_f32 v111, 0x3fb8aa3b, v47, -v73
	v_fma_f32 v115, 0x3fb8aa3b, v49, -v75
	v_cvt_i32_f32_e32 v88, v88
	v_dual_fmac_f32 v107, 0x32a5705f, v45 :: v_dual_cndmask_b32 v32, 0, v32
	v_ldexp_f32 v34, v34, v86
	v_cmp_ngt_f32_e32 vcc_lo, 0xc2ce8ed0, v33
	v_fma_f32 v95, 0x3fb8aa3b, v39, -v65
	v_rndne_f32_e32 v96, v65
	v_fma_f32 v109, 0x3fb8aa3b, v46, -v72
	v_rndne_f32_e32 v122, v78
	v_rndne_f32_e32 v124, v79
	;; [unrolled: 1-line block ×3, first 2 shown]
	v_dual_sub_f32 v66, v66, v98 :: v_dual_fmac_f32 v103, 0x32a5705f, v43
	v_sub_f32_e32 v69, v69, v104
	v_dual_sub_f32 v73, v73, v112 :: v_dual_add_f32 v59, v59, v91
	v_exp_f32_e32 v58, v58
	v_cvt_i32_f32_e32 v90, v90
	v_dual_fmac_f32 v97, 0x32a5705f, v40 :: v_dual_sub_f32 v72, v72, v110
	v_fmac_f32_e32 v111, 0x32a5705f, v47
	v_dual_fmac_f32 v115, 0x32a5705f, v49 :: v_dual_cndmask_b32 v34, 0, v34
	v_ldexp_f32 v57, v57, v88
	v_cmp_ngt_f32_e32 vcc_lo, 0xc2ce8ed0, v35
	v_rndne_f32_e32 v102, v68
	v_rndne_f32_e32 v106, v70
	;; [unrolled: 1-line block ×3, first 2 shown]
	v_fma_f32 v121, 0x3fb8aa3b, v52, -v78
	v_fma_f32 v123, 0x3fb8aa3b, v53, -v79
	;; [unrolled: 1-line block ×3, first 2 shown]
	v_dual_fmac_f32 v95, 0x32a5705f, v39 :: v_dual_sub_f32 v68, v68, v102
	v_sub_f32_e32 v65, v65, v96
	v_dual_fmac_f32 v109, 0x32a5705f, v46 :: v_dual_add_f32 v60, v60, v93
	v_sub_f32_e32 v78, v78, v122
	v_dual_sub_f32 v80, v80, v126 :: v_dual_sub_f32 v79, v79, v124
	v_add_f32_e32 v69, v69, v103
	v_exp_f32_e32 v59, v59
	v_cvt_i32_f32_e32 v92, v92
	v_dual_add_f32 v66, v66, v97 :: v_dual_add_f32 v73, v73, v111
	v_cndmask_b32_e32 v57, 0, v57, vcc_lo
	v_ldexp_f32 v58, v58, v90
	v_cmp_ngt_f32_e32 vcc_lo, 0xc2ce8ed0, v36
	v_dual_mul_f32 v76, 0x3fb8aa3b, v50 :: v_dual_mul_f32 v81, 0x3fb8aa3b, v56
	v_fma_f32 v99, 0x3fb8aa3b, v41, -v67
	v_rndne_f32_e32 v100, v67
	v_fma_f32 v105, 0x3fb8aa3b, v44, -v70
	v_dual_sub_f32 v70, v70, v106 :: v_dual_sub_f32 v75, v75, v116
	v_add_f32_e32 v65, v65, v95
	v_exp_f32_e32 v60, v60
	v_exp_f32_e32 v69, v69
	v_cvt_i32_f32_e32 v94, v94
	v_cvt_i32_f32_e32 v104, v104
	v_dual_fmac_f32 v123, 0x32a5705f, v53 :: v_dual_cndmask_b32 v58, 0, v58
	v_ldexp_f32 v59, v59, v92
	v_cmp_ngt_f32_e32 vcc_lo, 0xc2ce8ed0, v37
	v_rndne_f32_e32 v114, v74
	v_rndne_f32_e32 v118, v76
	;; [unrolled: 1-line block ×3, first 2 shown]
	v_fmac_f32_e32 v99, 0x32a5705f, v41
	v_sub_f32_e32 v67, v67, v100
	v_exp_f32_e32 v65, v65
	v_fma_f32 v119, 0x3fb8aa3b, v51, -v77
	v_cvt_i32_f32_e32 v96, v96
	v_ldexp_f32 v60, v60, v94
	v_ldexp_f32 v69, v69, v104
	v_cndmask_b32_e32 v59, 0, v59, vcc_lo
	v_cmp_ngt_f32_e32 vcc_lo, 0xc2ce8ed0, v38
	v_fma_f32 v113, 0x3fb8aa3b, v48, -v74
	v_fma_f32 v117, 0x3fb8aa3b, v50, -v76
	v_rndne_f32_e32 v130, v82
	v_dual_fmac_f32 v105, 0x32a5705f, v44 :: v_dual_sub_f32 v74, v74, v114
	v_dual_sub_f32 v76, v76, v118 :: v_dual_sub_f32 v77, v77, v120
	v_add_f32_e32 v67, v67, v99
	v_exp_f32_e32 v66, v66
	v_cvt_i32_f32_e32 v98, v98
	v_dual_fmac_f32 v119, 0x32a5705f, v51 :: v_dual_add_f32 v72, v72, v109
	v_dual_add_f32 v75, v75, v115 :: v_dual_cndmask_b32 v60, 0, v60
	v_ldexp_f32 v65, v65, v96
	v_cmp_ngt_f32_e32 vcc_lo, 0xc2ce8ed0, v39
	v_fma_f32 v129, 0x3fb8aa3b, v55, -v82
	v_dual_fmac_f32 v113, 0x32a5705f, v48 :: v_dual_add_f32 v68, v68, v101
	v_sub_f32_e32 v82, v82, v130
	v_dual_fmac_f32 v117, 0x32a5705f, v50 :: v_dual_add_f32 v70, v70, v105
	v_exp_f32_e32 v67, v67
	v_cvt_i32_f32_e32 v100, v100
	v_dual_add_f32 v77, v77, v119 :: v_dual_cndmask_b32 v65, 0, v65, vcc_lo
	v_ldexp_f32 v66, v66, v98
	v_cmp_ngt_f32_e32 vcc_lo, 0xc2ce8ed0, v40
	v_exp_f32_e32 v68, v68
	v_exp_f32_e32 v70, v70
	v_fma_f32 v127, 0x3fb8aa3b, v56, -v81
	v_rndne_f32_e32 v128, v81
	v_cvt_i32_f32_e32 v102, v102
	v_cvt_i32_f32_e32 v106, v106
	v_dual_add_f32 v79, v79, v123 :: v_dual_cndmask_b32 v66, 0, v66
	v_ldexp_f32 v67, v67, v100
	v_cmp_ngt_f32_e32 vcc_lo, 0xc2ce8ed0, v41
	v_dual_fmac_f32 v121, 0x32a5705f, v52 :: v_dual_add_f32 v74, v74, v113
	v_fmac_f32_e32 v127, 0x32a5705f, v56
	v_dual_sub_f32 v81, v81, v128 :: v_dual_add_f32 v71, v71, v107
	v_ldexp_f32 v68, v68, v102
	v_ldexp_f32 v70, v70, v106
	v_cndmask_b32_e32 v67, 0, v67, vcc_lo
	v_cmp_ngt_f32_e32 vcc_lo, 0xc2ce8ed0, v42
	v_dual_add_f32 v78, v78, v121 :: v_dual_add_f32 v81, v81, v127
	v_exp_f32_e32 v71, v71
	v_cvt_i32_f32_e32 v108, v108
	v_cndmask_b32_e32 v68, 0, v68, vcc_lo
	v_cmp_ngt_f32_e32 vcc_lo, 0xc2ce8ed0, v43
	v_exp_f32_e32 v72, v72
	v_cvt_i32_f32_e32 v110, v110
	v_exp_f32_e32 v73, v73
	v_ldexp_f32 v71, v71, v108
	v_cndmask_b32_e32 v69, 0, v69, vcc_lo
	v_cmp_ngt_f32_e32 vcc_lo, 0xc2ce8ed0, v44
	v_cvt_i32_f32_e32 v112, v112
	v_ldexp_f32 v72, v72, v110
	v_exp_f32_e32 v74, v74
	v_cvt_i32_f32_e32 v114, v114
	v_cndmask_b32_e32 v70, 0, v70, vcc_lo
	v_cmp_ngt_f32_e32 vcc_lo, 0xc2ce8ed0, v45
	v_ldexp_f32 v73, v73, v112
	v_dual_fmac_f32 v125, 0x32a5705f, v54 :: v_dual_add_f32 v76, v76, v117
	v_exp_f32_e32 v75, v75
	v_cndmask_b32_e32 v71, 0, v71, vcc_lo
	v_cmp_ngt_f32_e32 vcc_lo, 0xc2ce8ed0, v46
	v_cvt_i32_f32_e32 v116, v116
	v_ldexp_f32 v74, v74, v114
	v_exp_f32_e32 v76, v76
	v_cvt_i32_f32_e32 v118, v118
	v_cndmask_b32_e32 v72, 0, v72, vcc_lo
	v_cmp_ngt_f32_e32 vcc_lo, 0xc2ce8ed0, v47
	v_ldexp_f32 v75, v75, v116
	v_exp_f32_e32 v77, v77
	v_cvt_i32_f32_e32 v120, v120
	v_ldexp_f32 v76, v76, v118
	v_cndmask_b32_e32 v73, 0, v73, vcc_lo
	v_cmp_ngt_f32_e32 vcc_lo, 0xc2ce8ed0, v48
	v_exp_f32_e32 v78, v78
	v_cvt_i32_f32_e32 v122, v122
	v_ldexp_f32 v77, v77, v120
	v_dual_fmac_f32 v129, 0x32a5705f, v55 :: v_dual_add_f32 v80, v80, v125
	v_cndmask_b32_e32 v74, 0, v74, vcc_lo
	v_cmp_ngt_f32_e32 vcc_lo, 0xc2ce8ed0, v49
	v_exp_f32_e32 v79, v79
	v_cvt_i32_f32_e32 v124, v124
	v_ldexp_f32 v78, v78, v122
	v_exp_f32_e32 v80, v80
	v_cndmask_b32_e32 v75, 0, v75, vcc_lo
	v_cmp_ngt_f32_e32 vcc_lo, 0xc2ce8ed0, v50
	v_cvt_i32_f32_e32 v126, v126
	v_ldexp_f32 v79, v79, v124
	v_exp_f32_e32 v81, v81
	v_cvt_i32_f32_e32 v128, v128
	v_cndmask_b32_e32 v76, 0, v76, vcc_lo
	v_cmp_ngt_f32_e32 vcc_lo, 0xc2ce8ed0, v51
	v_ldexp_f32 v80, v80, v126
	s_delay_alu instid0(TRANS32_DEP_1) | instid1(VALU_DEP_4)
	v_ldexp_f32 v81, v81, v128
	v_cndmask_b32_e32 v77, 0, v77, vcc_lo
	v_cmp_ngt_f32_e32 vcc_lo, 0xc2ce8ed0, v52
	v_cndmask_b32_e32 v78, 0, v78, vcc_lo
	v_cmp_ngt_f32_e32 vcc_lo, 0xc2ce8ed0, v53
	;; [unrolled: 2-line block ×4, first 2 shown]
	v_cndmask_b32_e32 v81, 0, v81, vcc_lo
	v_cmp_nlt_f32_e32 vcc_lo, 0x42b17218, v13
	v_cndmask_b32_e32 v32, 0x7f800000, v32, vcc_lo
	v_cmp_nlt_f32_e32 vcc_lo, 0x42b17218, v33
	s_delay_alu instid0(VALU_DEP_2) | instskip(SKIP_2) | instid1(VALU_DEP_3)
	v_cvt_f16_f32_e32 v13, v32
	v_cndmask_b32_e32 v34, 0x7f800000, v34, vcc_lo
	v_cmp_nlt_f32_e32 vcc_lo, 0x42b17218, v35
	v_and_b32_e32 v13, 0xffff, v13
	v_cndmask_b32_e32 v33, 0x7f800000, v57, vcc_lo
	v_cmp_nlt_f32_e32 vcc_lo, 0x42b17218, v36
	s_delay_alu instid0(VALU_DEP_3) | instskip(SKIP_2) | instid1(VALU_DEP_3)
	v_mul_u32_u24_e32 v13, 0x10001, v13
	v_cndmask_b32_e32 v35, 0x7f800000, v58, vcc_lo
	v_cmp_nlt_f32_e32 vcc_lo, 0x42b17218, v37
	v_pk_mul_f16 v139, v139, v13
	v_dual_add_f32 v13, v82, v129 :: v_dual_cndmask_b32 v36, 0x7f800000, v59
	v_cmp_nlt_f32_e32 vcc_lo, 0x42b17218, v38
	s_delay_alu instid0(VALU_DEP_2) | instskip(NEXT) | instid1(VALU_DEP_2)
	v_exp_f32_e32 v13, v13
	v_cvt_f16_f32_e32 v57, v36
	v_cndmask_b32_e32 v38, 0x7f800000, v60, vcc_lo
	v_cmp_nlt_f32_e32 vcc_lo, 0x42b17218, v39
	s_delay_alu instid0(VALU_DEP_3) | instskip(SKIP_2) | instid1(VALU_DEP_3)
	v_and_b32_e32 v57, 0xffff, v57
	v_cndmask_b32_e32 v37, 0x7f800000, v65, vcc_lo
	v_cmp_nlt_f32_e32 vcc_lo, 0x42b17218, v40
	v_mul_u32_u24_e32 v57, 0x10001, v57
	s_delay_alu instid0(VALU_DEP_3) | instskip(SKIP_2) | instid1(VALU_DEP_4)
	v_cvt_f16_f32_e32 v58, v37
	v_cndmask_b32_e32 v39, 0x7f800000, v66, vcc_lo
	v_cmp_nlt_f32_e32 vcc_lo, 0x42b17218, v41
	v_pk_mul_f16 v188, v188, v57
	s_delay_alu instid0(VALU_DEP_4) | instskip(SKIP_2) | instid1(VALU_DEP_3)
	v_and_b32_e32 v58, 0xffff, v58
	v_cndmask_b32_e32 v40, 0x7f800000, v67, vcc_lo
	v_cmp_nlt_f32_e32 vcc_lo, 0x42b17218, v42
	v_mul_u32_u24_e32 v58, 0x10001, v58
	s_delay_alu instid0(VALU_DEP_3) | instskip(SKIP_2) | instid1(VALU_DEP_4)
	v_cvt_f16_f32_e32 v59, v40
	v_cndmask_b32_e32 v42, 0x7f800000, v68, vcc_lo
	v_cmp_nlt_f32_e32 vcc_lo, 0x42b17218, v43
	v_pk_mul_f16 v176, v176, v58
	v_mul_f32_e32 v58, 0x3fb8aa3b, v14
	v_and_b32_e32 v59, 0xffff, v59
	v_cndmask_b32_e32 v41, 0x7f800000, v69, vcc_lo
	v_cmp_nlt_f32_e32 vcc_lo, 0x42b17218, v44
	s_delay_alu instid0(VALU_DEP_3) | instskip(SKIP_2) | instid1(VALU_DEP_3)
	v_mul_u32_u24_e32 v59, 0x10001, v59
	v_cndmask_b32_e32 v43, 0x7f800000, v70, vcc_lo
	v_cmp_nlt_f32_e32 vcc_lo, 0x42b17218, v45
	v_pk_mul_f16 v172, v172, v59
	v_rndne_f32_e32 v59, v58
	v_cndmask_b32_e32 v44, 0x7f800000, v71, vcc_lo
	v_cmp_nlt_f32_e32 vcc_lo, 0x42b17218, v46
	s_delay_alu instid0(VALU_DEP_2) | instskip(SKIP_2) | instid1(VALU_DEP_3)
	v_cvt_f16_f32_e32 v65, v44
	v_cndmask_b32_e32 v46, 0x7f800000, v72, vcc_lo
	v_cmp_nlt_f32_e32 vcc_lo, 0x42b17218, v47
	v_and_b32_e32 v65, 0xffff, v65
	v_cndmask_b32_e32 v45, 0x7f800000, v73, vcc_lo
	v_cmp_nlt_f32_e32 vcc_lo, 0x42b17218, v48
	s_delay_alu instid0(VALU_DEP_3) | instskip(NEXT) | instid1(VALU_DEP_3)
	v_mul_u32_u24_e32 v65, 0x10001, v65
	v_cvt_f16_f32_e32 v66, v45
	v_cndmask_b32_e32 v47, 0x7f800000, v74, vcc_lo
	v_cmp_nlt_f32_e32 vcc_lo, 0x42b17218, v49
	s_delay_alu instid0(VALU_DEP_4) | instskip(SKIP_4) | instid1(VALU_DEP_3)
	v_pk_mul_f16 v180, v180, v65
	v_sub_f32_e32 v65, v64, v12
	v_and_b32_e32 v66, 0xffff, v66
	v_cndmask_b32_e32 v48, 0x7f800000, v75, vcc_lo
	v_cmp_nlt_f32_e32 vcc_lo, 0x42b17218, v50
	v_mul_u32_u24_e32 v66, 0x10001, v66
	s_delay_alu instid0(VALU_DEP_3) | instskip(SKIP_2) | instid1(VALU_DEP_4)
	v_cvt_f16_f32_e32 v67, v48
	v_cndmask_b32_e32 v50, 0x7f800000, v76, vcc_lo
	v_cmp_nlt_f32_e32 vcc_lo, 0x42b17218, v51
	v_pk_mul_f16 v175, v175, v66
	s_delay_alu instid0(VALU_DEP_4) | instskip(SKIP_2) | instid1(VALU_DEP_3)
	v_and_b32_e32 v67, 0xffff, v67
	v_cndmask_b32_e32 v49, 0x7f800000, v77, vcc_lo
	v_cmp_nlt_f32_e32 vcc_lo, 0x42b17218, v52
	v_mul_u32_u24_e32 v67, 0x10001, v67
	s_delay_alu instid0(VALU_DEP_3) | instskip(SKIP_2) | instid1(VALU_DEP_4)
	v_cvt_f16_f32_e32 v68, v49
	v_cndmask_b32_e32 v51, 0x7f800000, v78, vcc_lo
	v_cmp_nlt_f32_e32 vcc_lo, 0x42b17218, v53
	v_pk_mul_f16 v191, v191, v67
	s_delay_alu instid0(VALU_DEP_4) | instskip(SKIP_2) | instid1(VALU_DEP_3)
	v_and_b32_e32 v68, 0xffff, v68
	v_cndmask_b32_e32 v52, 0x7f800000, v79, vcc_lo
	v_cmp_nlt_f32_e32 vcc_lo, 0x42b17218, v54
	v_mul_u32_u24_e32 v68, 0x10001, v68
	s_delay_alu instid0(VALU_DEP_3)
	v_cvt_f16_f32_e32 v69, v52
	v_cndmask_b32_e32 v54, 0x7f800000, v80, vcc_lo
	v_cmp_nlt_f32_e32 vcc_lo, 0x42b17218, v56
	v_cvt_i32_f32_e32 v56, v130
	v_pk_mul_f16 v190, v190, v68
	v_and_b32_e32 v69, 0xffff, v69
	s_delay_alu instid0(VALU_DEP_3) | instskip(SKIP_2) | instid1(VALU_DEP_4)
	v_ldexp_f32 v13, v13, v56
	v_sub_f32_e32 v56, v58, v59
	v_cvt_f16_f32_e32 v53, v33
	v_mul_u32_u24_e32 v57, 0x10001, v69
	v_cvt_i32_f32_e32 v59, v59
	s_delay_alu instid0(VALU_DEP_3) | instskip(NEXT) | instid1(VALU_DEP_3)
	v_and_b32_e32 v53, 0xffff, v53
	v_pk_mul_f16 v189, v189, v57
	v_fma_f32 v57, 0x3fb8aa3b, v14, -v58
	s_delay_alu instid0(VALU_DEP_3) | instskip(NEXT) | instid1(VALU_DEP_1)
	v_mul_u32_u24_e32 v53, 0x10001, v53
	v_pk_mul_f16 v138, v138, v53
	v_cndmask_b32_e32 v53, 0x7f800000, v81, vcc_lo
	v_cmp_ngt_f32_e32 vcc_lo, 0xc2ce8ed0, v55
	v_dual_fmac_f32 v57, 0x32a5705f, v14 :: v_dual_cndmask_b32 v66, 0, v13
	s_delay_alu instid0(VALU_DEP_1) | instskip(SKIP_1) | instid1(VALU_DEP_2)
	v_add_f32_e32 v13, v56, v57
	v_cmp_nlt_f32_e32 vcc_lo, 0x42b17218, v55
	v_exp_f32_e32 v68, v13
	s_delay_alu instid0(VALU_DEP_3) | instskip(SKIP_1) | instid1(TRANS32_DEP_1)
	v_cndmask_b32_e32 v55, 0x7f800000, v66, vcc_lo
	v_cmp_ngt_f32_e32 vcc_lo, 0xc2ce8ed0, v14
	v_ldexp_f32 v59, v68, v59
	v_max_num_f32_e32 v68, v62, v62
	v_cvt_f16_f32_e32 v60, v41
	s_delay_alu instid0(VALU_DEP_1) | instskip(NEXT) | instid1(VALU_DEP_1)
	v_and_b32_e32 v60, 0xffff, v60
	v_mul_u32_u24_e32 v60, 0x10001, v60
	s_delay_alu instid0(VALU_DEP_1) | instskip(SKIP_1) | instid1(VALU_DEP_1)
	v_pk_mul_f16 v186, v186, v60
	v_cvt_f16_f32_e32 v60, v53
	v_and_b32_e32 v58, 0xffff, v60
	s_delay_alu instid0(VALU_DEP_1) | instskip(SKIP_2) | instid1(VALU_DEP_3)
	v_mul_u32_u24_e32 v56, 0x10001, v58
	v_max_num_f32_e32 v58, v61, v61
	v_pk_fma_f32 v[30:31], v[30:31], v[32:33], v[34:35]
	v_pk_mul_f16 v185, v185, v56
	s_delay_alu instid0(VALU_DEP_3) | instskip(SKIP_2) | instid1(VALU_DEP_3)
	v_max_num_f32_e32 v13, v58, v15
	v_cndmask_b32_e32 v56, 0, v59, vcc_lo
	v_cmp_nlt_f32_e32 vcc_lo, 0x42b17218, v14
	v_sub_f32_e32 v66, v64, v13
	v_mul_f32_e32 v60, 0x3fb8aa3b, v65
	s_delay_alu instid0(VALU_DEP_4) | instskip(SKIP_1) | instid1(VALU_DEP_3)
	v_cndmask_b32_e32 v56, 0x7f800000, v56, vcc_lo
	v_cmp_ngt_f32_e32 vcc_lo, 0xc2ce8ed0, v65
	v_rndne_f32_e32 v67, v60
	s_delay_alu instid0(VALU_DEP_1)
	v_sub_f32_e32 v58, v60, v67
	v_cvt_i32_f32_e32 v59, v67
	v_mul_f32_e32 v67, 0x3fb8aa3b, v66
	v_fma_f32 v57, 0x3fb8aa3b, v65, -v60
	v_sub_f32_e32 v60, v61, v13
	v_pk_fma_f32 v[28:29], v[28:29], v[36:37], v[38:39]
	s_delay_alu instid0(VALU_DEP_4) | instskip(NEXT) | instid1(VALU_DEP_4)
	v_fma_f32 v69, 0x3fb8aa3b, v66, -v67
	v_fmac_f32_e32 v57, 0x32a5705f, v65
	v_rndne_f32_e32 v70, v67
	s_delay_alu instid0(VALU_DEP_3) | instskip(NEXT) | instid1(VALU_DEP_3)
	v_fmac_f32_e32 v69, 0x32a5705f, v66
	v_dual_add_f32 v57, v58, v57 :: v_dual_mul_f32 v58, 0x3fb8aa3b, v60
	s_delay_alu instid0(VALU_DEP_3) | instskip(SKIP_1) | instid1(VALU_DEP_3)
	v_sub_f32_e32 v67, v67, v70
	v_pk_fma_f32 v[26:27], v[26:27], v[40:41], v[42:43]
	v_exp_f32_e32 v57, v57
	s_delay_alu instid0(VALU_DEP_3) | instskip(SKIP_1) | instid1(VALU_DEP_2)
	v_fma_f32 v14, 0x3fb8aa3b, v60, -v58
	v_rndne_f32_e32 v61, v58
	v_fmac_f32_e32 v14, 0x32a5705f, v60
	s_delay_alu instid0(VALU_DEP_2) | instskip(NEXT) | instid1(TRANS32_DEP_1)
	v_sub_f32_e32 v58, v58, v61
	v_ldexp_f32 v57, v57, v59
	v_cvt_i32_f32_e32 v61, v61
	s_delay_alu instid0(VALU_DEP_3) | instskip(NEXT) | instid1(VALU_DEP_3)
	v_dual_add_f32 v58, v58, v14 :: v_dual_max_num_f32 v14, v68, v15
	v_cndmask_b32_e32 v57, 0, v57, vcc_lo
	v_cmp_nlt_f32_e32 vcc_lo, 0x42b17218, v65
	s_delay_alu instid0(VALU_DEP_3) | instskip(NEXT) | instid1(VALU_DEP_3)
	v_exp_f32_e32 v68, v58
	v_sub_f32_e32 v62, v62, v14
	s_delay_alu instid0(VALU_DEP_3) | instskip(SKIP_1) | instid1(VALU_DEP_3)
	v_cndmask_b32_e32 v58, 0x7f800000, v57, vcc_lo
	v_cmp_ngt_f32_e32 vcc_lo, 0xc2ce8ed0, v60
	v_mul_f32_e32 v65, 0x3fb8aa3b, v62
	s_delay_alu instid0(TRANS32_DEP_1)
	v_ldexp_f32 v57, v68, v61
	v_add_f32_e32 v61, v67, v69
	v_max_num_f32_e32 v69, v63, v63
	v_pk_fma_f32 v[24:25], v[24:25], v[44:45], v[46:47]
	v_fma_f32 v67, 0x3fb8aa3b, v62, -v65
	v_rndne_f32_e32 v68, v65
	v_exp_f32_e32 v61, v61
	v_dual_max_num_f32 v15, v69, v15 :: v_dual_cndmask_b32 v57, 0, v57, vcc_lo
	v_cmp_nlt_f32_e32 vcc_lo, 0x42b17218, v60
	v_cvt_i32_f32_e32 v60, v70
	v_fmac_f32_e32 v67, 0x32a5705f, v62
	s_delay_alu instid0(VALU_DEP_4)
	v_sub_f32_e32 v63, v63, v15
	v_cvt_f16_f32_e32 v59, v56
	v_sub_f32_e32 v65, v65, v68
	v_cndmask_b32_e32 v57, 0x7f800000, v57, vcc_lo
	v_cmp_ngt_f32_e32 vcc_lo, 0xc2ce8ed0, v66
	v_sub_f32_e32 v71, v64, v15
	v_and_b32_e32 v59, 0xffff, v59
	s_delay_alu instid0(VALU_DEP_1) | instskip(NEXT) | instid1(VALU_DEP_1)
	v_mul_u32_u24_e32 v59, 0x10001, v59
	v_pk_mul_f16 v184, v184, v59
	v_ldexp_f32 v59, v61, v60
	v_dual_add_f32 v61, v65, v67 :: v_dual_sub_f32 v67, v64, v14
	v_cvt_i32_f32_e32 v65, v68
	s_delay_alu instid0(VALU_DEP_3) | instskip(NEXT) | instid1(VALU_DEP_3)
	v_cndmask_b32_e32 v59, 0, v59, vcc_lo
	v_exp_f32_e32 v61, v61
	v_cmp_nlt_f32_e32 vcc_lo, 0x42b17218, v66
	s_delay_alu instid0(VALU_DEP_2) | instskip(NEXT) | instid1(TRANS32_DEP_1)
	v_cndmask_b32_e32 v59, 0x7f800000, v59, vcc_lo
	v_ldexp_f32 v61, v61, v65
	v_cmp_ngt_f32_e32 vcc_lo, 0xc2ce8ed0, v62
	s_delay_alu instid0(VALU_DEP_2) | instskip(NEXT) | instid1(VALU_DEP_1)
	v_dual_mul_f32 v68, 0x3fb8aa3b, v67 :: v_dual_cndmask_b32 v61, 0, v61
	v_fma_f32 v65, 0x3fb8aa3b, v67, -v68
	v_rndne_f32_e32 v69, v68
	v_cmp_nlt_f32_e32 vcc_lo, 0x42b17218, v62
	s_delay_alu instid0(VALU_DEP_2) | instskip(SKIP_3) | instid1(VALU_DEP_4)
	v_dual_fmac_f32 v65, 0x32a5705f, v67 :: v_dual_sub_f32 v64, v68, v69
	v_mul_f32_e32 v66, 0x3fb8aa3b, v63
	v_mul_f32_e32 v68, 0x3fb8aa3b, v71
	v_pk_fma_f32 v[22:23], v[22:23], v[48:49], v[50:51]
	v_add_f32_e32 v65, v64, v65
	s_delay_alu instid0(VALU_DEP_4)
	v_fma_f32 v70, 0x3fb8aa3b, v63, -v66
	v_rndne_f32_e32 v72, v66
	v_rndne_f32_e32 v74, v68
	v_fma_f32 v73, 0x3fb8aa3b, v71, -v68
	v_exp_f32_e32 v62, v65
	v_fmac_f32_e32 v70, 0x32a5705f, v63
	v_sub_f32_e32 v66, v66, v72
	v_dual_cndmask_b32 v64, 0x7f800000, v61 :: v_dual_sub_f32 v61, v68, v74
	v_cvt_i32_f32_e32 v68, v72
	s_delay_alu instid0(VALU_DEP_3) | instskip(SKIP_3) | instid1(VALU_DEP_4)
	v_dual_fmac_f32 v73, 0x32a5705f, v71 :: v_dual_add_f32 v66, v66, v70
	v_cvt_f16_f32_e32 v60, v57
	v_cmp_ngt_f32_e32 vcc_lo, 0xc2ce8ed0, v63
	v_pk_fma_f32 v[20:21], v[20:21], v[52:53], v[54:55]
	v_add_f32_e32 v61, v61, v73
	v_exp_f32_e32 v65, v66
	v_and_b32_e32 v60, 0xffff, v60
	v_cvt_i32_f32_e32 v66, v69
	v_cvt_f16_f32_e32 v69, v64
	v_exp_f32_e32 v61, v61
	v_pk_fma_f32 v[18:19], v[18:19], v[56:57], v[58:59]
	v_mul_u32_u24_e32 v60, 0x10001, v60
	s_delay_alu instid0(VALU_DEP_1) | instskip(SKIP_4) | instid1(VALU_DEP_3)
	v_pk_mul_f16 v182, v182, v60
	v_ldexp_f32 v60, v62, v66
	v_ldexp_f32 v62, v65, v68
	v_and_b32_e32 v65, 0xffff, v69
	v_cvt_i32_f32_e32 v66, v74
	v_cndmask_b32_e32 v62, 0, v62, vcc_lo
	v_cmp_ngt_f32_e32 vcc_lo, 0xc2ce8ed0, v67
	s_delay_alu instid0(VALU_DEP_3) | instskip(SKIP_3) | instid1(VALU_DEP_3)
	v_ldexp_f32 v61, v61, v66
	v_mul_u32_u24_e32 v68, 0x10001, v65
	v_cndmask_b32_e32 v60, 0, v60, vcc_lo
	v_cmp_nlt_f32_e32 vcc_lo, 0x42b17218, v63
	v_pk_mul_f16 v179, v179, v68
	v_cndmask_b32_e32 v65, 0x7f800000, v62, vcc_lo
	v_cmp_ngt_f32_e32 vcc_lo, 0xc2ce8ed0, v71
	v_cndmask_b32_e32 v61, 0, v61, vcc_lo
	v_cmp_nlt_f32_e32 vcc_lo, 0x42b17218, v67
	v_cndmask_b32_e32 v66, 0x7f800000, v60, vcc_lo
	v_cvt_f16_f32_e32 v60, v65
	v_cmp_nlt_f32_e32 vcc_lo, 0x42b17218, v71
	s_delay_alu instid0(VALU_DEP_2)
	v_and_b32_e32 v32, 0xffff, v60
	v_cndmask_b32_e32 v67, 0x7f800000, v61, vcc_lo
	v_mov_b64_e32 v[62:63], v[14:15]
	v_mov_b64_e32 v[60:61], v[12:13]
	;; [unrolled: 1-line block ×3, first 2 shown]
	v_mul_u32_u24_e32 v32, 0x10001, v32
	v_mov_b64_e32 v[56:57], v[8:9]
	v_mov_b64_e32 v[54:55], v[6:7]
	;; [unrolled: 1-line block ×5, first 2 shown]
	v_pk_fma_f32 v[16:17], v[16:17], v[64:65], v[66:67]
	v_pk_mul_f16 v178, v178, v32
.LBB52_227:
	scratch_load_b32 v0, off, off offset:48 th:TH_LOAD_LU ; 4-byte Folded Reload
	s_mov_b32 s2, exec_lo
	s_wait_loadcnt 0x0
	v_cmpx_gt_i32_e64 s22, v0
	s_cbranch_execz .LBB52_307
; %bb.228:
	s_load_b32 s0, s[0:1], 0xd4
	v_mov_b32_e32 v0, 1.0
	s_wait_kmcnt 0x0
	s_cmp_lg_u32 s0, 1
	s_cselect_b32 s2, -1, 0
	s_cmp_eq_u32 s0, 1
	s_cselect_b32 s3, -1, 0
	s_and_b32 vcc_lo, exec_lo, s2
	s_cbranch_vccnz .LBB52_230
; %bb.229:
	v_div_scale_f32 v0, null, v30, v30, 1.0
	s_delay_alu instid0(VALU_DEP_1) | instskip(SKIP_1) | instid1(TRANS32_DEP_1)
	v_rcp_f32_e32 v1, v0
	v_nop
	v_fma_f32 v2, -v0, v1, 1.0
	s_delay_alu instid0(VALU_DEP_1) | instskip(SKIP_1) | instid1(VALU_DEP_1)
	v_fmac_f32_e32 v1, v2, v1
	v_div_scale_f32 v2, vcc_lo, 1.0, v30, 1.0
	v_mul_f32_e32 v3, v2, v1
	s_delay_alu instid0(VALU_DEP_1) | instskip(NEXT) | instid1(VALU_DEP_1)
	v_fma_f32 v4, -v0, v3, v2
	v_fmac_f32_e32 v3, v4, v1
	s_delay_alu instid0(VALU_DEP_1) | instskip(NEXT) | instid1(VALU_DEP_1)
	v_fma_f32 v0, -v0, v3, v2
	v_div_fmas_f32 v0, v0, v1, v3
	s_delay_alu instid0(VALU_DEP_1)
	v_div_fixup_f32 v0, v0, v30, 1.0
.LBB52_230:
	scratch_load_b32 v1, off, off offset:60 th:TH_LOAD_LU ; 4-byte Folded Reload
	s_mul_i32 s1, s34, s22
	v_mov_b32_e32 v3, 0
	s_add_co_i32 s1, s1, s42
	v_cvt_f32_f16_e64 v4, v139
	v_cmp_eq_u32_e32 vcc_lo, 0, v136
	v_lshrrev_b32_e32 v5, 16, v139
	s_and_b32 s2, vcc_lo, s2
	s_delay_alu instid0(VALU_DEP_1) | instskip(SKIP_2) | instid1(VALU_DEP_1)
	v_cvt_f32_f16_e32 v5, v5
	s_wait_loadcnt 0x0
	v_add_nc_u32_e32 v1, s1, v1
	v_mad_u32 v1, v1, s23, s33
	s_delay_alu instid0(VALU_DEP_1) | instskip(NEXT) | instid1(VALU_DEP_1)
	v_mad_u32 v1, s0, v1, s20
	v_lshl_add_u32 v2, v1, 6, v150
	v_pk_mul_f32 v[4:5], v[0:1], v[4:5] op_sel_hi:[0,1]
	s_delay_alu instid0(VALU_DEP_2)
	v_lshl_add_u64 v[2:3], v[2:3], 2, s[16:17]
	global_store_b64 v[2:3], v[4:5], off
	s_wait_xcnt 0x0
	s_and_saveexec_b32 s4, s2
	s_cbranch_execz .LBB52_232
; %bb.231:
	v_dual_mov_b32 v2, v48 :: v_dual_mov_b32 v3, v30
	global_store_b64 v1, v[2:3], s[18:19] scale_offset
.LBB52_232:
	s_wait_xcnt 0x0
	s_or_b32 exec_lo, exec_lo, s4
	scratch_load_b32 v0, off, off offset:64 th:TH_LOAD_LU ; 4-byte Folded Reload
	s_wait_loadcnt 0x0
	v_cmp_gt_i32_e32 vcc_lo, s22, v0
	s_wait_xcnt 0x0
	s_and_b32 exec_lo, exec_lo, vcc_lo
	s_cbranch_execz .LBB52_307
; %bb.233:
	v_cndmask_b32_e64 v1, 0, 1, s3
	v_mov_b32_e32 v0, 1.0
	s_and_not1_b32 vcc_lo, exec_lo, s3
	s_cbranch_vccnz .LBB52_235
; %bb.234:
	v_div_scale_f32 v0, null, v31, v31, 1.0
	s_delay_alu instid0(VALU_DEP_1) | instskip(SKIP_1) | instid1(TRANS32_DEP_1)
	v_rcp_f32_e32 v2, v0
	v_nop
	v_fma_f32 v3, -v0, v2, 1.0
	s_delay_alu instid0(VALU_DEP_1) | instskip(SKIP_1) | instid1(VALU_DEP_1)
	v_fmac_f32_e32 v2, v3, v2
	v_div_scale_f32 v3, vcc_lo, 1.0, v31, 1.0
	v_mul_f32_e32 v4, v3, v2
	s_delay_alu instid0(VALU_DEP_1) | instskip(NEXT) | instid1(VALU_DEP_1)
	v_fma_f32 v5, -v0, v4, v3
	v_fmac_f32_e32 v4, v5, v2
	s_delay_alu instid0(VALU_DEP_1) | instskip(NEXT) | instid1(VALU_DEP_1)
	v_fma_f32 v0, -v0, v4, v3
	v_div_fmas_f32 v0, v0, v2, v4
	s_delay_alu instid0(VALU_DEP_1)
	v_div_fixup_f32 v0, v0, v31, 1.0
.LBB52_235:
	scratch_load_b32 v2, off, off offset:68 th:TH_LOAD_LU ; 4-byte Folded Reload
	v_lshrrev_b32_e32 v3, 16, v138
	v_cvt_f32_f16_e64 v6, v138
	v_mov_b32_e32 v5, 0
	s_delay_alu instid0(VALU_DEP_3) | instskip(NEXT) | instid1(VALU_DEP_1)
	v_cvt_f32_f16_e32 v7, v3
	v_pk_mul_f32 v[6:7], v[0:1], v[6:7] op_sel_hi:[0,1]
	s_wait_loadcnt 0x0
	v_add_nc_u32_e32 v2, s1, v2
	s_delay_alu instid0(VALU_DEP_1) | instskip(NEXT) | instid1(VALU_DEP_1)
	v_mad_u32 v2, v2, s23, s33
	v_mad_u32 v2, s0, v2, s20
	s_delay_alu instid0(VALU_DEP_1) | instskip(NEXT) | instid1(VALU_DEP_1)
	v_lshl_add_u32 v4, v2, 6, v150
	v_lshl_add_u64 v[4:5], v[4:5], 2, s[16:17]
	global_store_b64 v[4:5], v[6:7], off
	s_wait_xcnt 0x0
	s_and_saveexec_b32 s3, s2
	s_cbranch_execz .LBB52_237
; %bb.236:
	v_mov_b32_e32 v30, v49
	global_store_b64 v2, v[30:31], s[18:19] scale_offset
.LBB52_237:
	s_wait_xcnt 0x0
	s_or_b32 exec_lo, exec_lo, s3
	v_cmp_gt_i32_e32 vcc_lo, s22, v152
	s_and_b32 exec_lo, exec_lo, vcc_lo
	s_cbranch_execz .LBB52_307
; %bb.238:
	v_cmp_ne_u32_e32 vcc_lo, 1, v1
	v_mov_b32_e32 v0, 1.0
	s_cbranch_vccnz .LBB52_240
; %bb.239:
	v_div_scale_f32 v0, null, v28, v28, 1.0
	s_delay_alu instid0(VALU_DEP_1) | instskip(SKIP_1) | instid1(TRANS32_DEP_1)
	v_rcp_f32_e32 v2, v0
	v_nop
	v_fma_f32 v3, -v0, v2, 1.0
	s_delay_alu instid0(VALU_DEP_1) | instskip(SKIP_1) | instid1(VALU_DEP_1)
	v_fmac_f32_e32 v2, v3, v2
	v_div_scale_f32 v3, vcc_lo, 1.0, v28, 1.0
	v_mul_f32_e32 v4, v3, v2
	s_delay_alu instid0(VALU_DEP_1) | instskip(NEXT) | instid1(VALU_DEP_1)
	v_fma_f32 v5, -v0, v4, v3
	v_fmac_f32_e32 v4, v5, v2
	s_delay_alu instid0(VALU_DEP_1) | instskip(NEXT) | instid1(VALU_DEP_1)
	v_fma_f32 v0, -v0, v4, v3
	v_div_fmas_f32 v0, v0, v2, v4
	s_delay_alu instid0(VALU_DEP_1)
	v_div_fixup_f32 v0, v0, v28, 1.0
.LBB52_240:
	scratch_load_b32 v2, off, off offset:72 th:TH_LOAD_LU ; 4-byte Folded Reload
	v_mov_b32_e32 v5, 0
	v_cvt_f32_f16_e64 v6, v188
	v_lshrrev_b32_e32 v3, 16, v188
	s_delay_alu instid0(VALU_DEP_1) | instskip(NEXT) | instid1(VALU_DEP_1)
	v_cvt_f32_f16_e32 v7, v3
	v_pk_mul_f32 v[6:7], v[0:1], v[6:7] op_sel_hi:[0,1]
	s_wait_loadcnt 0x0
	v_add_nc_u32_e32 v2, s1, v2
	s_delay_alu instid0(VALU_DEP_1) | instskip(NEXT) | instid1(VALU_DEP_1)
	v_mad_u32 v2, v2, s23, s33
	v_mad_u32 v2, s0, v2, s20
	s_delay_alu instid0(VALU_DEP_1) | instskip(NEXT) | instid1(VALU_DEP_1)
	v_lshl_add_u32 v4, v2, 6, v150
	v_lshl_add_u64 v[4:5], v[4:5], 2, s[16:17]
	global_store_b64 v[4:5], v[6:7], off
	s_wait_xcnt 0x0
	s_and_saveexec_b32 s3, s2
	s_cbranch_execz .LBB52_242
; %bb.241:
	v_dual_mov_b32 v4, v50 :: v_dual_mov_b32 v5, v28
	global_store_b64 v2, v[4:5], s[18:19] scale_offset
.LBB52_242:
	s_wait_xcnt 0x0
	s_or_b32 exec_lo, exec_lo, s3
	scratch_load_b32 v0, off, off offset:76 th:TH_LOAD_LU ; 4-byte Folded Reload
	s_wait_loadcnt 0x0
	v_cmp_gt_i32_e32 vcc_lo, s22, v0
	s_wait_xcnt 0x0
	s_and_b32 exec_lo, exec_lo, vcc_lo
	s_cbranch_execz .LBB52_307
; %bb.243:
	v_cmp_ne_u32_e32 vcc_lo, 1, v1
	v_mov_b32_e32 v0, 1.0
	s_cbranch_vccnz .LBB52_245
; %bb.244:
	v_div_scale_f32 v0, null, v29, v29, 1.0
	s_delay_alu instid0(VALU_DEP_1) | instskip(SKIP_1) | instid1(TRANS32_DEP_1)
	v_rcp_f32_e32 v2, v0
	v_nop
	v_fma_f32 v3, -v0, v2, 1.0
	s_delay_alu instid0(VALU_DEP_1) | instskip(SKIP_1) | instid1(VALU_DEP_1)
	v_fmac_f32_e32 v2, v3, v2
	v_div_scale_f32 v3, vcc_lo, 1.0, v29, 1.0
	v_mul_f32_e32 v4, v3, v2
	s_delay_alu instid0(VALU_DEP_1) | instskip(NEXT) | instid1(VALU_DEP_1)
	v_fma_f32 v5, -v0, v4, v3
	v_fmac_f32_e32 v4, v5, v2
	s_delay_alu instid0(VALU_DEP_1) | instskip(NEXT) | instid1(VALU_DEP_1)
	v_fma_f32 v0, -v0, v4, v3
	v_div_fmas_f32 v0, v0, v2, v4
	s_delay_alu instid0(VALU_DEP_1)
	v_div_fixup_f32 v0, v0, v29, 1.0
.LBB52_245:
	scratch_load_b32 v2, off, off offset:80 th:TH_LOAD_LU ; 4-byte Folded Reload
	v_mov_b32_e32 v5, 0
	v_cvt_f32_f16_e64 v6, v176
	v_lshrrev_b32_e32 v3, 16, v176
	s_delay_alu instid0(VALU_DEP_1) | instskip(NEXT) | instid1(VALU_DEP_1)
	v_cvt_f32_f16_e32 v7, v3
	v_pk_mul_f32 v[6:7], v[0:1], v[6:7] op_sel_hi:[0,1]
	s_wait_loadcnt 0x0
	v_add_nc_u32_e32 v2, s1, v2
	s_delay_alu instid0(VALU_DEP_1) | instskip(NEXT) | instid1(VALU_DEP_1)
	v_mad_u32 v2, v2, s23, s33
	v_mad_u32 v2, s0, v2, s20
	s_delay_alu instid0(VALU_DEP_1) | instskip(NEXT) | instid1(VALU_DEP_1)
	v_lshl_add_u32 v4, v2, 6, v150
	v_lshl_add_u64 v[4:5], v[4:5], 2, s[16:17]
	global_store_b64 v[4:5], v[6:7], off
	s_wait_xcnt 0x0
	s_and_saveexec_b32 s3, s2
	s_cbranch_execz .LBB52_247
; %bb.246:
	v_mov_b32_e32 v28, v51
	global_store_b64 v2, v[28:29], s[18:19] scale_offset
.LBB52_247:
	s_wait_xcnt 0x0
	s_or_b32 exec_lo, exec_lo, s3
	scratch_load_b32 v0, off, off offset:84 th:TH_LOAD_LU ; 4-byte Folded Reload
	s_wait_loadcnt 0x0
	v_cmp_gt_i32_e32 vcc_lo, s22, v0
	s_wait_xcnt 0x0
	s_and_b32 exec_lo, exec_lo, vcc_lo
	s_cbranch_execz .LBB52_307
; %bb.248:
	v_cmp_ne_u32_e32 vcc_lo, 1, v1
	v_mov_b32_e32 v0, 1.0
	s_cbranch_vccnz .LBB52_250
; %bb.249:
	v_div_scale_f32 v0, null, v26, v26, 1.0
	s_delay_alu instid0(VALU_DEP_1) | instskip(SKIP_1) | instid1(TRANS32_DEP_1)
	v_rcp_f32_e32 v2, v0
	v_nop
	v_fma_f32 v3, -v0, v2, 1.0
	s_delay_alu instid0(VALU_DEP_1) | instskip(SKIP_1) | instid1(VALU_DEP_1)
	v_fmac_f32_e32 v2, v3, v2
	v_div_scale_f32 v3, vcc_lo, 1.0, v26, 1.0
	v_mul_f32_e32 v4, v3, v2
	s_delay_alu instid0(VALU_DEP_1) | instskip(NEXT) | instid1(VALU_DEP_1)
	v_fma_f32 v5, -v0, v4, v3
	v_fmac_f32_e32 v4, v5, v2
	s_delay_alu instid0(VALU_DEP_1) | instskip(NEXT) | instid1(VALU_DEP_1)
	v_fma_f32 v0, -v0, v4, v3
	v_div_fmas_f32 v0, v0, v2, v4
	s_delay_alu instid0(VALU_DEP_1)
	v_div_fixup_f32 v0, v0, v26, 1.0
.LBB52_250:
	scratch_load_b32 v2, off, off offset:88 th:TH_LOAD_LU ; 4-byte Folded Reload
	v_mov_b32_e32 v5, 0
	v_cvt_f32_f16_e64 v6, v172
	v_lshrrev_b32_e32 v3, 16, v172
	s_delay_alu instid0(VALU_DEP_1) | instskip(NEXT) | instid1(VALU_DEP_1)
	v_cvt_f32_f16_e32 v7, v3
	v_pk_mul_f32 v[6:7], v[0:1], v[6:7] op_sel_hi:[0,1]
	s_wait_loadcnt 0x0
	v_add_nc_u32_e32 v2, s1, v2
	s_delay_alu instid0(VALU_DEP_1) | instskip(NEXT) | instid1(VALU_DEP_1)
	v_mad_u32 v2, v2, s23, s33
	v_mad_u32 v2, s0, v2, s20
	s_delay_alu instid0(VALU_DEP_1) | instskip(NEXT) | instid1(VALU_DEP_1)
	v_lshl_add_u32 v4, v2, 6, v150
	v_lshl_add_u64 v[4:5], v[4:5], 2, s[16:17]
	global_store_b64 v[4:5], v[6:7], off
	s_wait_xcnt 0x0
	s_and_saveexec_b32 s3, s2
	s_cbranch_execz .LBB52_252
; %bb.251:
	v_dual_mov_b32 v4, v52 :: v_dual_mov_b32 v5, v26
	global_store_b64 v2, v[4:5], s[18:19] scale_offset
.LBB52_252:
	s_wait_xcnt 0x0
	s_or_b32 exec_lo, exec_lo, s3
	v_cmp_gt_i32_e32 vcc_lo, s22, v149
	s_and_b32 exec_lo, exec_lo, vcc_lo
	s_cbranch_execz .LBB52_307
; %bb.253:
	v_cmp_ne_u32_e32 vcc_lo, 1, v1
	v_mov_b32_e32 v0, 1.0
	s_cbranch_vccnz .LBB52_255
; %bb.254:
	v_div_scale_f32 v0, null, v27, v27, 1.0
	s_delay_alu instid0(VALU_DEP_1) | instskip(SKIP_1) | instid1(TRANS32_DEP_1)
	v_rcp_f32_e32 v2, v0
	v_nop
	v_fma_f32 v3, -v0, v2, 1.0
	s_delay_alu instid0(VALU_DEP_1) | instskip(SKIP_1) | instid1(VALU_DEP_1)
	v_fmac_f32_e32 v2, v3, v2
	v_div_scale_f32 v3, vcc_lo, 1.0, v27, 1.0
	v_mul_f32_e32 v4, v3, v2
	s_delay_alu instid0(VALU_DEP_1) | instskip(NEXT) | instid1(VALU_DEP_1)
	v_fma_f32 v5, -v0, v4, v3
	v_fmac_f32_e32 v4, v5, v2
	s_delay_alu instid0(VALU_DEP_1) | instskip(NEXT) | instid1(VALU_DEP_1)
	v_fma_f32 v0, -v0, v4, v3
	v_div_fmas_f32 v0, v0, v2, v4
	s_delay_alu instid0(VALU_DEP_1)
	v_div_fixup_f32 v0, v0, v27, 1.0
.LBB52_255:
	scratch_load_b32 v2, off, off offset:96 th:TH_LOAD_LU ; 4-byte Folded Reload
	v_lshrrev_b32_e32 v3, 16, v186
	v_cvt_f32_f16_e64 v6, v186
	v_mov_b32_e32 v5, 0
	s_delay_alu instid0(VALU_DEP_3) | instskip(NEXT) | instid1(VALU_DEP_1)
	v_cvt_f32_f16_e32 v7, v3
	v_pk_mul_f32 v[6:7], v[0:1], v[6:7] op_sel_hi:[0,1]
	s_wait_loadcnt 0x0
	v_add_nc_u32_e32 v2, s1, v2
	s_delay_alu instid0(VALU_DEP_1) | instskip(NEXT) | instid1(VALU_DEP_1)
	v_mad_u32 v2, v2, s23, s33
	v_mad_u32 v2, s0, v2, s20
	s_delay_alu instid0(VALU_DEP_1) | instskip(NEXT) | instid1(VALU_DEP_1)
	v_lshl_add_u32 v4, v2, 6, v150
	v_lshl_add_u64 v[4:5], v[4:5], 2, s[16:17]
	global_store_b64 v[4:5], v[6:7], off
	s_wait_xcnt 0x0
	s_and_saveexec_b32 s3, s2
	s_cbranch_execz .LBB52_257
; %bb.256:
	v_mov_b32_e32 v26, v53
	global_store_b64 v2, v[26:27], s[18:19] scale_offset
.LBB52_257:
	s_wait_xcnt 0x0
	s_or_b32 exec_lo, exec_lo, s3
	scratch_load_b32 v0, off, off offset:92 th:TH_LOAD_LU ; 4-byte Folded Reload
	s_wait_loadcnt 0x0
	v_cmp_gt_i32_e32 vcc_lo, s22, v0
	s_wait_xcnt 0x0
	s_and_b32 exec_lo, exec_lo, vcc_lo
	s_cbranch_execz .LBB52_307
; %bb.258:
	v_cmp_ne_u32_e32 vcc_lo, 1, v1
	v_mov_b32_e32 v0, 1.0
	s_cbranch_vccnz .LBB52_260
; %bb.259:
	v_div_scale_f32 v0, null, v24, v24, 1.0
	s_delay_alu instid0(VALU_DEP_1) | instskip(SKIP_1) | instid1(TRANS32_DEP_1)
	v_rcp_f32_e32 v2, v0
	v_nop
	v_fma_f32 v3, -v0, v2, 1.0
	s_delay_alu instid0(VALU_DEP_1) | instskip(SKIP_1) | instid1(VALU_DEP_1)
	v_fmac_f32_e32 v2, v3, v2
	v_div_scale_f32 v3, vcc_lo, 1.0, v24, 1.0
	v_mul_f32_e32 v4, v3, v2
	s_delay_alu instid0(VALU_DEP_1) | instskip(NEXT) | instid1(VALU_DEP_1)
	v_fma_f32 v5, -v0, v4, v3
	v_fmac_f32_e32 v4, v5, v2
	s_delay_alu instid0(VALU_DEP_1) | instskip(NEXT) | instid1(VALU_DEP_1)
	v_fma_f32 v0, -v0, v4, v3
	v_div_fmas_f32 v0, v0, v2, v4
	s_delay_alu instid0(VALU_DEP_1)
	v_div_fixup_f32 v0, v0, v24, 1.0
.LBB52_260:
	v_dual_add_nc_u32 v2, s1, v145 :: v_dual_lshrrev_b32 v3, 16, v180
	v_mov_b32_e32 v5, 0
	v_cvt_f32_f16_e64 v6, v180
	s_delay_alu instid0(VALU_DEP_3) | instskip(NEXT) | instid1(VALU_DEP_4)
	v_mad_u32 v2, v2, s23, s33
	v_cvt_f32_f16_e32 v7, v3
	s_delay_alu instid0(VALU_DEP_1) | instskip(NEXT) | instid1(VALU_DEP_3)
	v_pk_mul_f32 v[6:7], v[0:1], v[6:7] op_sel_hi:[0,1]
	v_mad_u32 v2, s0, v2, s20
	s_delay_alu instid0(VALU_DEP_1) | instskip(NEXT) | instid1(VALU_DEP_1)
	v_lshl_add_u32 v4, v2, 6, v150
	v_lshl_add_u64 v[4:5], v[4:5], 2, s[16:17]
	global_store_b64 v[4:5], v[6:7], off
	s_wait_xcnt 0x0
	s_and_saveexec_b32 s3, s2
	s_cbranch_execz .LBB52_262
; %bb.261:
	v_dual_mov_b32 v4, v54 :: v_dual_mov_b32 v5, v24
	global_store_b64 v2, v[4:5], s[18:19] scale_offset
.LBB52_262:
	s_wait_xcnt 0x0
	s_or_b32 exec_lo, exec_lo, s3
	v_cmp_gt_i32_e32 vcc_lo, s22, v187
	s_and_b32 exec_lo, exec_lo, vcc_lo
	s_cbranch_execz .LBB52_307
; %bb.263:
	v_cmp_ne_u32_e32 vcc_lo, 1, v1
	v_mov_b32_e32 v0, 1.0
	s_cbranch_vccnz .LBB52_265
; %bb.264:
	v_div_scale_f32 v0, null, v25, v25, 1.0
	s_delay_alu instid0(VALU_DEP_1) | instskip(SKIP_1) | instid1(TRANS32_DEP_1)
	v_rcp_f32_e32 v2, v0
	v_nop
	v_fma_f32 v3, -v0, v2, 1.0
	s_delay_alu instid0(VALU_DEP_1) | instskip(SKIP_1) | instid1(VALU_DEP_1)
	v_fmac_f32_e32 v2, v3, v2
	v_div_scale_f32 v3, vcc_lo, 1.0, v25, 1.0
	v_mul_f32_e32 v4, v3, v2
	s_delay_alu instid0(VALU_DEP_1) | instskip(NEXT) | instid1(VALU_DEP_1)
	v_fma_f32 v5, -v0, v4, v3
	v_fmac_f32_e32 v4, v5, v2
	s_delay_alu instid0(VALU_DEP_1) | instskip(NEXT) | instid1(VALU_DEP_1)
	v_fma_f32 v0, -v0, v4, v3
	v_div_fmas_f32 v0, v0, v2, v4
	s_delay_alu instid0(VALU_DEP_1)
	v_div_fixup_f32 v0, v0, v25, 1.0
.LBB52_265:
	v_dual_add_nc_u32 v2, s1, v144 :: v_dual_lshrrev_b32 v3, 16, v175
	v_mov_b32_e32 v5, 0
	v_cvt_f32_f16_e64 v6, v175
	s_delay_alu instid0(VALU_DEP_3) | instskip(NEXT) | instid1(VALU_DEP_4)
	v_mad_u32 v2, v2, s23, s33
	v_cvt_f32_f16_e32 v7, v3
	s_delay_alu instid0(VALU_DEP_1) | instskip(NEXT) | instid1(VALU_DEP_3)
	v_pk_mul_f32 v[6:7], v[0:1], v[6:7] op_sel_hi:[0,1]
	v_mad_u32 v2, s0, v2, s20
	s_delay_alu instid0(VALU_DEP_1) | instskip(NEXT) | instid1(VALU_DEP_1)
	v_lshl_add_u32 v4, v2, 6, v150
	v_lshl_add_u64 v[4:5], v[4:5], 2, s[16:17]
	global_store_b64 v[4:5], v[6:7], off
	s_wait_xcnt 0x0
	s_and_saveexec_b32 s3, s2
	s_cbranch_execz .LBB52_267
; %bb.266:
	v_mov_b32_e32 v24, v55
	global_store_b64 v2, v[24:25], s[18:19] scale_offset
.LBB52_267:
	s_wait_xcnt 0x0
	s_or_b32 exec_lo, exec_lo, s3
	v_cmp_gt_i32_e32 vcc_lo, s22, v147
	s_and_b32 exec_lo, exec_lo, vcc_lo
	s_cbranch_execz .LBB52_307
; %bb.268:
	v_cmp_ne_u32_e32 vcc_lo, 1, v1
	v_mov_b32_e32 v0, 1.0
	s_cbranch_vccnz .LBB52_270
; %bb.269:
	v_div_scale_f32 v0, null, v22, v22, 1.0
	s_delay_alu instid0(VALU_DEP_1) | instskip(SKIP_1) | instid1(TRANS32_DEP_1)
	v_rcp_f32_e32 v2, v0
	v_nop
	v_fma_f32 v3, -v0, v2, 1.0
	s_delay_alu instid0(VALU_DEP_1) | instskip(SKIP_1) | instid1(VALU_DEP_1)
	v_fmac_f32_e32 v2, v3, v2
	v_div_scale_f32 v3, vcc_lo, 1.0, v22, 1.0
	v_mul_f32_e32 v4, v3, v2
	s_delay_alu instid0(VALU_DEP_1) | instskip(NEXT) | instid1(VALU_DEP_1)
	v_fma_f32 v5, -v0, v4, v3
	v_fmac_f32_e32 v4, v5, v2
	s_delay_alu instid0(VALU_DEP_1) | instskip(NEXT) | instid1(VALU_DEP_1)
	v_fma_f32 v0, -v0, v4, v3
	v_div_fmas_f32 v0, v0, v2, v4
	s_delay_alu instid0(VALU_DEP_1)
	v_div_fixup_f32 v0, v0, v22, 1.0
.LBB52_270:
	v_dual_mov_b32 v5, 0 :: v_dual_add_nc_u32 v2, s1, v151
	v_lshrrev_b32_e32 v3, 16, v191
	v_cvt_f32_f16_e64 v6, v191
	s_delay_alu instid0(VALU_DEP_3) | instskip(NEXT) | instid1(VALU_DEP_3)
	v_mad_u32 v2, v2, s23, s33
	v_cvt_f32_f16_e32 v7, v3
	s_delay_alu instid0(VALU_DEP_1) | instskip(NEXT) | instid1(VALU_DEP_3)
	v_pk_mul_f32 v[6:7], v[0:1], v[6:7] op_sel_hi:[0,1]
	v_mad_u32 v2, s0, v2, s20
	s_delay_alu instid0(VALU_DEP_1) | instskip(NEXT) | instid1(VALU_DEP_1)
	v_lshl_add_u32 v4, v2, 6, v150
	v_lshl_add_u64 v[4:5], v[4:5], 2, s[16:17]
	global_store_b64 v[4:5], v[6:7], off
	s_wait_xcnt 0x0
	s_and_saveexec_b32 s3, s2
	s_cbranch_execz .LBB52_272
; %bb.271:
	v_dual_mov_b32 v4, v56 :: v_dual_mov_b32 v5, v22
	global_store_b64 v2, v[4:5], s[18:19] scale_offset
.LBB52_272:
	s_wait_xcnt 0x0
	s_or_b32 exec_lo, exec_lo, s3
	v_cmp_gt_i32_e32 vcc_lo, s22, v143
	s_and_b32 exec_lo, exec_lo, vcc_lo
	s_cbranch_execz .LBB52_307
; %bb.273:
	v_cmp_ne_u32_e32 vcc_lo, 1, v1
	v_mov_b32_e32 v0, 1.0
	s_cbranch_vccnz .LBB52_275
; %bb.274:
	v_div_scale_f32 v0, null, v23, v23, 1.0
	s_delay_alu instid0(VALU_DEP_1) | instskip(SKIP_1) | instid1(TRANS32_DEP_1)
	v_rcp_f32_e32 v2, v0
	v_nop
	v_fma_f32 v3, -v0, v2, 1.0
	s_delay_alu instid0(VALU_DEP_1) | instskip(SKIP_1) | instid1(VALU_DEP_1)
	v_fmac_f32_e32 v2, v3, v2
	v_div_scale_f32 v3, vcc_lo, 1.0, v23, 1.0
	v_mul_f32_e32 v4, v3, v2
	s_delay_alu instid0(VALU_DEP_1) | instskip(NEXT) | instid1(VALU_DEP_1)
	v_fma_f32 v5, -v0, v4, v3
	v_fmac_f32_e32 v4, v5, v2
	s_delay_alu instid0(VALU_DEP_1) | instskip(NEXT) | instid1(VALU_DEP_1)
	v_fma_f32 v0, -v0, v4, v3
	v_div_fmas_f32 v0, v0, v2, v4
	s_delay_alu instid0(VALU_DEP_1)
	v_div_fixup_f32 v0, v0, v23, 1.0
.LBB52_275:
	v_dual_add_nc_u32 v2, s1, v148 :: v_dual_lshrrev_b32 v3, 16, v190
	v_mov_b32_e32 v5, 0
	v_cvt_f32_f16_e64 v6, v190
	s_delay_alu instid0(VALU_DEP_3) | instskip(NEXT) | instid1(VALU_DEP_4)
	v_mad_u32 v2, v2, s23, s33
	v_cvt_f32_f16_e32 v7, v3
	s_delay_alu instid0(VALU_DEP_1) | instskip(NEXT) | instid1(VALU_DEP_3)
	v_pk_mul_f32 v[6:7], v[0:1], v[6:7] op_sel_hi:[0,1]
	v_mad_u32 v2, s0, v2, s20
	s_delay_alu instid0(VALU_DEP_1) | instskip(NEXT) | instid1(VALU_DEP_1)
	v_lshl_add_u32 v4, v2, 6, v150
	v_lshl_add_u64 v[4:5], v[4:5], 2, s[16:17]
	global_store_b64 v[4:5], v[6:7], off
	s_wait_xcnt 0x0
	s_and_saveexec_b32 s3, s2
	s_cbranch_execz .LBB52_277
; %bb.276:
	v_mov_b32_e32 v22, v57
	global_store_b64 v2, v[22:23], s[18:19] scale_offset
.LBB52_277:
	s_wait_xcnt 0x0
	s_or_b32 exec_lo, exec_lo, s3
	v_cmp_gt_i32_e32 vcc_lo, s22, v142
	s_and_b32 exec_lo, exec_lo, vcc_lo
	s_cbranch_execz .LBB52_307
; %bb.278:
	v_cmp_ne_u32_e32 vcc_lo, 1, v1
	v_mov_b32_e32 v0, 1.0
	s_cbranch_vccnz .LBB52_280
; %bb.279:
	v_div_scale_f32 v0, null, v20, v20, 1.0
	s_delay_alu instid0(VALU_DEP_1) | instskip(SKIP_1) | instid1(TRANS32_DEP_1)
	v_rcp_f32_e32 v2, v0
	v_nop
	v_fma_f32 v3, -v0, v2, 1.0
	s_delay_alu instid0(VALU_DEP_1) | instskip(SKIP_1) | instid1(VALU_DEP_1)
	v_fmac_f32_e32 v2, v3, v2
	v_div_scale_f32 v3, vcc_lo, 1.0, v20, 1.0
	v_mul_f32_e32 v4, v3, v2
	s_delay_alu instid0(VALU_DEP_1) | instskip(NEXT) | instid1(VALU_DEP_1)
	v_fma_f32 v5, -v0, v4, v3
	v_fmac_f32_e32 v4, v5, v2
	s_delay_alu instid0(VALU_DEP_1) | instskip(NEXT) | instid1(VALU_DEP_1)
	v_fma_f32 v0, -v0, v4, v3
	v_div_fmas_f32 v0, v0, v2, v4
	s_delay_alu instid0(VALU_DEP_1)
	v_div_fixup_f32 v0, v0, v20, 1.0
.LBB52_280:
	v_dual_add_nc_u32 v2, s1, v146 :: v_dual_lshrrev_b32 v3, 16, v189
	v_mov_b32_e32 v5, 0
	v_cvt_f32_f16_e64 v6, v189
	s_delay_alu instid0(VALU_DEP_3) | instskip(NEXT) | instid1(VALU_DEP_4)
	v_mad_u32 v2, v2, s23, s33
	v_cvt_f32_f16_e32 v7, v3
	s_delay_alu instid0(VALU_DEP_1) | instskip(NEXT) | instid1(VALU_DEP_3)
	v_pk_mul_f32 v[6:7], v[0:1], v[6:7] op_sel_hi:[0,1]
	v_mad_u32 v2, s0, v2, s20
	s_delay_alu instid0(VALU_DEP_1) | instskip(NEXT) | instid1(VALU_DEP_1)
	v_lshl_add_u32 v4, v2, 6, v150
	v_lshl_add_u64 v[4:5], v[4:5], 2, s[16:17]
	global_store_b64 v[4:5], v[6:7], off
	s_wait_xcnt 0x0
	s_and_saveexec_b32 s3, s2
	s_cbranch_execz .LBB52_282
; %bb.281:
	v_dual_mov_b32 v4, v58 :: v_dual_mov_b32 v5, v20
	global_store_b64 v2, v[4:5], s[18:19] scale_offset
.LBB52_282:
	s_wait_xcnt 0x0
	s_or_b32 exec_lo, exec_lo, s3
	v_cmp_gt_i32_e32 vcc_lo, s22, v140
	s_and_b32 exec_lo, exec_lo, vcc_lo
	s_cbranch_execz .LBB52_307
; %bb.283:
	v_cmp_ne_u32_e32 vcc_lo, 1, v1
	v_mov_b32_e32 v0, 1.0
	s_cbranch_vccnz .LBB52_285
; %bb.284:
	v_div_scale_f32 v0, null, v21, v21, 1.0
	s_delay_alu instid0(VALU_DEP_1) | instskip(SKIP_1) | instid1(TRANS32_DEP_1)
	v_rcp_f32_e32 v2, v0
	v_nop
	v_fma_f32 v3, -v0, v2, 1.0
	s_delay_alu instid0(VALU_DEP_1) | instskip(SKIP_1) | instid1(VALU_DEP_1)
	v_fmac_f32_e32 v2, v3, v2
	v_div_scale_f32 v3, vcc_lo, 1.0, v21, 1.0
	v_mul_f32_e32 v4, v3, v2
	s_delay_alu instid0(VALU_DEP_1) | instskip(NEXT) | instid1(VALU_DEP_1)
	v_fma_f32 v5, -v0, v4, v3
	v_fmac_f32_e32 v4, v5, v2
	s_delay_alu instid0(VALU_DEP_1) | instskip(NEXT) | instid1(VALU_DEP_1)
	v_fma_f32 v0, -v0, v4, v3
	v_div_fmas_f32 v0, v0, v2, v4
	s_delay_alu instid0(VALU_DEP_1)
	v_div_fixup_f32 v0, v0, v21, 1.0
.LBB52_285:
	v_dual_add_nc_u32 v2, s1, v135 :: v_dual_lshrrev_b32 v3, 16, v185
	v_mov_b32_e32 v5, 0
	v_cvt_f32_f16_e64 v6, v185
	s_delay_alu instid0(VALU_DEP_3) | instskip(NEXT) | instid1(VALU_DEP_4)
	v_mad_u32 v2, v2, s23, s33
	v_cvt_f32_f16_e32 v7, v3
	s_delay_alu instid0(VALU_DEP_1) | instskip(NEXT) | instid1(VALU_DEP_3)
	v_pk_mul_f32 v[6:7], v[0:1], v[6:7] op_sel_hi:[0,1]
	v_mad_u32 v2, s0, v2, s20
	s_delay_alu instid0(VALU_DEP_1) | instskip(NEXT) | instid1(VALU_DEP_1)
	v_lshl_add_u32 v4, v2, 6, v150
	v_lshl_add_u64 v[4:5], v[4:5], 2, s[16:17]
	global_store_b64 v[4:5], v[6:7], off
	s_wait_xcnt 0x0
	s_and_saveexec_b32 s3, s2
	s_cbranch_execz .LBB52_287
; %bb.286:
	v_mov_b32_e32 v20, v59
	global_store_b64 v2, v[20:21], s[18:19] scale_offset
.LBB52_287:
	s_wait_xcnt 0x0
	s_or_b32 exec_lo, exec_lo, s3
	v_cmp_gt_i32_e32 vcc_lo, s22, v134
	s_and_b32 exec_lo, exec_lo, vcc_lo
	s_cbranch_execz .LBB52_307
; %bb.288:
	v_cmp_ne_u32_e32 vcc_lo, 1, v1
	v_mov_b32_e32 v0, 1.0
	s_cbranch_vccnz .LBB52_290
; %bb.289:
	v_div_scale_f32 v0, null, v18, v18, 1.0
	s_delay_alu instid0(VALU_DEP_1) | instskip(SKIP_1) | instid1(TRANS32_DEP_1)
	v_rcp_f32_e32 v2, v0
	v_nop
	v_fma_f32 v3, -v0, v2, 1.0
	s_delay_alu instid0(VALU_DEP_1) | instskip(SKIP_1) | instid1(VALU_DEP_1)
	v_fmac_f32_e32 v2, v3, v2
	v_div_scale_f32 v3, vcc_lo, 1.0, v18, 1.0
	v_mul_f32_e32 v4, v3, v2
	s_delay_alu instid0(VALU_DEP_1) | instskip(NEXT) | instid1(VALU_DEP_1)
	v_fma_f32 v5, -v0, v4, v3
	v_fmac_f32_e32 v4, v5, v2
	s_delay_alu instid0(VALU_DEP_1) | instskip(NEXT) | instid1(VALU_DEP_1)
	v_fma_f32 v0, -v0, v4, v3
	v_div_fmas_f32 v0, v0, v2, v4
	s_delay_alu instid0(VALU_DEP_1)
	v_div_fixup_f32 v0, v0, v18, 1.0
.LBB52_290:
	v_dual_mov_b32 v5, 0 :: v_dual_add_nc_u32 v2, s1, v132
	v_lshrrev_b32_e32 v3, 16, v184
	v_cvt_f32_f16_e64 v6, v184
	s_delay_alu instid0(VALU_DEP_3) | instskip(NEXT) | instid1(VALU_DEP_3)
	v_mad_u32 v2, v2, s23, s33
	v_cvt_f32_f16_e32 v7, v3
	s_delay_alu instid0(VALU_DEP_1) | instskip(NEXT) | instid1(VALU_DEP_3)
	v_pk_mul_f32 v[6:7], v[0:1], v[6:7] op_sel_hi:[0,1]
	v_mad_u32 v2, s0, v2, s20
	s_delay_alu instid0(VALU_DEP_1) | instskip(NEXT) | instid1(VALU_DEP_1)
	v_lshl_add_u32 v4, v2, 6, v150
	v_lshl_add_u64 v[4:5], v[4:5], 2, s[16:17]
	global_store_b64 v[4:5], v[6:7], off
	s_wait_xcnt 0x0
	s_and_saveexec_b32 s3, s2
	s_cbranch_execz .LBB52_292
; %bb.291:
	v_dual_mov_b32 v4, v60 :: v_dual_mov_b32 v5, v18
	global_store_b64 v2, v[4:5], s[18:19] scale_offset
.LBB52_292:
	s_wait_xcnt 0x0
	s_or_b32 exec_lo, exec_lo, s3
	v_cmp_gt_i32_e32 vcc_lo, s22, v133
	s_and_b32 exec_lo, exec_lo, vcc_lo
	s_cbranch_execz .LBB52_307
; %bb.293:
	v_cmp_ne_u32_e32 vcc_lo, 1, v1
	v_mov_b32_e32 v0, 1.0
	s_cbranch_vccnz .LBB52_295
; %bb.294:
	v_div_scale_f32 v0, null, v19, v19, 1.0
	s_delay_alu instid0(VALU_DEP_1) | instskip(SKIP_1) | instid1(TRANS32_DEP_1)
	v_rcp_f32_e32 v2, v0
	v_nop
	v_fma_f32 v3, -v0, v2, 1.0
	s_delay_alu instid0(VALU_DEP_1) | instskip(SKIP_1) | instid1(VALU_DEP_1)
	v_fmac_f32_e32 v2, v3, v2
	v_div_scale_f32 v3, vcc_lo, 1.0, v19, 1.0
	v_mul_f32_e32 v4, v3, v2
	s_delay_alu instid0(VALU_DEP_1) | instskip(NEXT) | instid1(VALU_DEP_1)
	v_fma_f32 v5, -v0, v4, v3
	v_fmac_f32_e32 v4, v5, v2
	s_delay_alu instid0(VALU_DEP_1) | instskip(NEXT) | instid1(VALU_DEP_1)
	v_fma_f32 v0, -v0, v4, v3
	v_div_fmas_f32 v0, v0, v2, v4
	s_delay_alu instid0(VALU_DEP_1)
	v_div_fixup_f32 v0, v0, v19, 1.0
.LBB52_295:
	v_dual_add_nc_u32 v2, s1, v131 :: v_dual_lshrrev_b32 v3, 16, v182
	v_mov_b32_e32 v5, 0
	v_cvt_f32_f16_e64 v6, v182
	s_delay_alu instid0(VALU_DEP_3) | instskip(NEXT) | instid1(VALU_DEP_4)
	v_mad_u32 v2, v2, s23, s33
	v_cvt_f32_f16_e32 v7, v3
	s_delay_alu instid0(VALU_DEP_1) | instskip(NEXT) | instid1(VALU_DEP_3)
	v_pk_mul_f32 v[6:7], v[0:1], v[6:7] op_sel_hi:[0,1]
	v_mad_u32 v2, s0, v2, s20
	s_delay_alu instid0(VALU_DEP_1) | instskip(NEXT) | instid1(VALU_DEP_1)
	v_lshl_add_u32 v4, v2, 6, v150
	v_lshl_add_u64 v[4:5], v[4:5], 2, s[16:17]
	global_store_b64 v[4:5], v[6:7], off
	s_wait_xcnt 0x0
	s_and_saveexec_b32 s3, s2
	s_cbranch_execz .LBB52_297
; %bb.296:
	v_mov_b32_e32 v18, v61
	global_store_b64 v2, v[18:19], s[18:19] scale_offset
.LBB52_297:
	s_wait_xcnt 0x0
	s_or_b32 exec_lo, exec_lo, s3
	scratch_load_b32 v0, off, off offset:100 th:TH_LOAD_LU ; 4-byte Folded Reload
	s_wait_loadcnt 0x0
	v_cmp_gt_i32_e32 vcc_lo, s22, v0
	s_wait_xcnt 0x0
	s_and_b32 exec_lo, exec_lo, vcc_lo
	s_cbranch_execz .LBB52_307
; %bb.298:
	v_cmp_ne_u32_e32 vcc_lo, 1, v1
	v_mov_b32_e32 v0, 1.0
	s_cbranch_vccnz .LBB52_300
; %bb.299:
	v_div_scale_f32 v0, null, v16, v16, 1.0
	s_delay_alu instid0(VALU_DEP_1) | instskip(SKIP_1) | instid1(TRANS32_DEP_1)
	v_rcp_f32_e32 v2, v0
	v_nop
	v_fma_f32 v3, -v0, v2, 1.0
	s_delay_alu instid0(VALU_DEP_1) | instskip(SKIP_1) | instid1(VALU_DEP_1)
	v_fmac_f32_e32 v2, v3, v2
	v_div_scale_f32 v3, vcc_lo, 1.0, v16, 1.0
	v_mul_f32_e32 v4, v3, v2
	s_delay_alu instid0(VALU_DEP_1) | instskip(NEXT) | instid1(VALU_DEP_1)
	v_fma_f32 v5, -v0, v4, v3
	v_fmac_f32_e32 v4, v5, v2
	s_delay_alu instid0(VALU_DEP_1) | instskip(NEXT) | instid1(VALU_DEP_1)
	v_fma_f32 v0, -v0, v4, v3
	v_div_fmas_f32 v0, v0, v2, v4
	s_delay_alu instid0(VALU_DEP_1)
	v_div_fixup_f32 v0, v0, v16, 1.0
.LBB52_300:
	scratch_load_b32 v2, off, off offset:108 th:TH_LOAD_LU ; 4-byte Folded Reload
	v_mov_b32_e32 v5, 0
	v_cvt_f32_f16_e64 v6, v179
	v_lshrrev_b32_e32 v3, 16, v179
	s_delay_alu instid0(VALU_DEP_1) | instskip(NEXT) | instid1(VALU_DEP_1)
	v_cvt_f32_f16_e32 v7, v3
	v_pk_mul_f32 v[6:7], v[0:1], v[6:7] op_sel_hi:[0,1]
	s_wait_loadcnt 0x0
	v_add_nc_u32_e32 v2, s1, v2
	s_delay_alu instid0(VALU_DEP_1) | instskip(NEXT) | instid1(VALU_DEP_1)
	v_mad_u32 v2, v2, s23, s33
	v_mad_u32 v2, s0, v2, s20
	s_delay_alu instid0(VALU_DEP_1) | instskip(NEXT) | instid1(VALU_DEP_1)
	v_lshl_add_u32 v4, v2, 6, v150
	v_lshl_add_u64 v[4:5], v[4:5], 2, s[16:17]
	global_store_b64 v[4:5], v[6:7], off
	s_wait_xcnt 0x0
	s_and_saveexec_b32 s3, s2
	s_cbranch_execz .LBB52_302
; %bb.301:
	v_dual_mov_b32 v4, v62 :: v_dual_mov_b32 v5, v16
	global_store_b64 v2, v[4:5], s[18:19] scale_offset
.LBB52_302:
	s_wait_xcnt 0x0
	s_or_b32 exec_lo, exec_lo, s3
	scratch_load_b32 v0, off, off offset:104 th:TH_LOAD_LU ; 4-byte Folded Reload
	s_wait_loadcnt 0x0
	v_cmp_gt_i32_e32 vcc_lo, s22, v0
	s_wait_xcnt 0x0
	s_and_b32 exec_lo, exec_lo, vcc_lo
	s_cbranch_execz .LBB52_307
; %bb.303:
	v_cmp_ne_u32_e32 vcc_lo, 1, v1
	v_mov_b32_e32 v0, 1.0
	s_cbranch_vccnz .LBB52_305
; %bb.304:
	v_div_scale_f32 v0, null, v17, v17, 1.0
	s_delay_alu instid0(VALU_DEP_1) | instskip(SKIP_1) | instid1(TRANS32_DEP_1)
	v_rcp_f32_e32 v1, v0
	v_nop
	v_fma_f32 v2, -v0, v1, 1.0
	s_delay_alu instid0(VALU_DEP_1) | instskip(SKIP_1) | instid1(VALU_DEP_1)
	v_fmac_f32_e32 v1, v2, v1
	v_div_scale_f32 v2, vcc_lo, 1.0, v17, 1.0
	v_mul_f32_e32 v3, v2, v1
	s_delay_alu instid0(VALU_DEP_1) | instskip(NEXT) | instid1(VALU_DEP_1)
	v_fma_f32 v4, -v0, v3, v2
	v_fmac_f32_e32 v3, v4, v1
	s_delay_alu instid0(VALU_DEP_1) | instskip(NEXT) | instid1(VALU_DEP_1)
	v_fma_f32 v0, -v0, v3, v2
	v_div_fmas_f32 v0, v0, v1, v3
	s_delay_alu instid0(VALU_DEP_1)
	v_div_fixup_f32 v0, v0, v17, 1.0
.LBB52_305:
	scratch_load_b32 v1, off, off offset:112 th:TH_LOAD_LU ; 4-byte Folded Reload
	v_mov_b32_e32 v3, 0
	v_cvt_f32_f16_e64 v4, v178
	v_lshrrev_b32_e32 v5, 16, v178
	s_delay_alu instid0(VALU_DEP_1) | instskip(SKIP_2) | instid1(VALU_DEP_1)
	v_cvt_f32_f16_e32 v5, v5
	s_wait_loadcnt 0x0
	v_add_nc_u32_e32 v1, s1, v1
	v_mad_u32 v1, v1, s23, s33
	s_delay_alu instid0(VALU_DEP_1) | instskip(NEXT) | instid1(VALU_DEP_1)
	v_mad_u32 v1, s0, v1, s20
	v_lshl_add_u32 v2, v1, 6, v150
	v_pk_mul_f32 v[4:5], v[0:1], v[4:5] op_sel_hi:[0,1]
	s_delay_alu instid0(VALU_DEP_2)
	v_lshl_add_u64 v[2:3], v[2:3], 2, s[16:17]
	global_store_b64 v[2:3], v[4:5], off
	s_wait_xcnt 0x0
	s_and_b32 exec_lo, exec_lo, s2
	s_cbranch_execz .LBB52_307
; %bb.306:
	v_mov_b32_e32 v16, v63
	global_store_b64 v1, v[16:17], s[18:19] scale_offset
.LBB52_307:
	s_endpgm
	.section	.rodata,"a",@progbits
	.p2align	6, 0x0
	.amdhsa_kernel _ZL15flash_attn_tileILi64ELi64ELi64ELi1ELb0EEvPKcS1_S1_S1_S1_PKiPfP15HIP_vector_typeIfLj2EEffffjfiS5_IjLj3EEiiiiiiiiiiiliiliiiiil
		.amdhsa_group_segment_fixed_size 25600
		.amdhsa_private_segment_fixed_size 272
		.amdhsa_kernarg_size 464
		.amdhsa_user_sgpr_count 2
		.amdhsa_user_sgpr_dispatch_ptr 0
		.amdhsa_user_sgpr_queue_ptr 0
		.amdhsa_user_sgpr_kernarg_segment_ptr 1
		.amdhsa_user_sgpr_dispatch_id 0
		.amdhsa_user_sgpr_kernarg_preload_length 0
		.amdhsa_user_sgpr_kernarg_preload_offset 0
		.amdhsa_user_sgpr_private_segment_size 0
		.amdhsa_wavefront_size32 1
		.amdhsa_uses_dynamic_stack 0
		.amdhsa_enable_private_segment 1
		.amdhsa_system_sgpr_workgroup_id_x 1
		.amdhsa_system_sgpr_workgroup_id_y 1
		.amdhsa_system_sgpr_workgroup_id_z 1
		.amdhsa_system_sgpr_workgroup_info 0
		.amdhsa_system_vgpr_workitem_id 1
		.amdhsa_next_free_vgpr 192
		.amdhsa_next_free_sgpr 46
		.amdhsa_named_barrier_count 0
		.amdhsa_reserve_vcc 1
		.amdhsa_float_round_mode_32 0
		.amdhsa_float_round_mode_16_64 0
		.amdhsa_float_denorm_mode_32 3
		.amdhsa_float_denorm_mode_16_64 3
		.amdhsa_fp16_overflow 0
		.amdhsa_memory_ordered 1
		.amdhsa_forward_progress 1
		.amdhsa_inst_pref_size 255
		.amdhsa_round_robin_scheduling 0
		.amdhsa_exception_fp_ieee_invalid_op 0
		.amdhsa_exception_fp_denorm_src 0
		.amdhsa_exception_fp_ieee_div_zero 0
		.amdhsa_exception_fp_ieee_overflow 0
		.amdhsa_exception_fp_ieee_underflow 0
		.amdhsa_exception_fp_ieee_inexact 0
		.amdhsa_exception_int_div_zero 0
	.end_amdhsa_kernel
	.section	.text._ZL15flash_attn_tileILi64ELi64ELi64ELi1ELb0EEvPKcS1_S1_S1_S1_PKiPfP15HIP_vector_typeIfLj2EEffffjfiS5_IjLj3EEiiiiiiiiiiiliiliiiiil,"axG",@progbits,_ZL15flash_attn_tileILi64ELi64ELi64ELi1ELb0EEvPKcS1_S1_S1_S1_PKiPfP15HIP_vector_typeIfLj2EEffffjfiS5_IjLj3EEiiiiiiiiiiiliiliiiiil,comdat
.Lfunc_end52:
	.size	_ZL15flash_attn_tileILi64ELi64ELi64ELi1ELb0EEvPKcS1_S1_S1_S1_PKiPfP15HIP_vector_typeIfLj2EEffffjfiS5_IjLj3EEiiiiiiiiiiiliiliiiiil, .Lfunc_end52-_ZL15flash_attn_tileILi64ELi64ELi64ELi1ELb0EEvPKcS1_S1_S1_S1_PKiPfP15HIP_vector_typeIfLj2EEffffjfiS5_IjLj3EEiiiiiiiiiiiliiliiiiil
                                        ; -- End function
	.set _ZL15flash_attn_tileILi64ELi64ELi64ELi1ELb0EEvPKcS1_S1_S1_S1_PKiPfP15HIP_vector_typeIfLj2EEffffjfiS5_IjLj3EEiiiiiiiiiiiliiliiiiil.num_vgpr, 192
	.set _ZL15flash_attn_tileILi64ELi64ELi64ELi1ELb0EEvPKcS1_S1_S1_S1_PKiPfP15HIP_vector_typeIfLj2EEffffjfiS5_IjLj3EEiiiiiiiiiiiliiliiiiil.num_agpr, 0
	.set _ZL15flash_attn_tileILi64ELi64ELi64ELi1ELb0EEvPKcS1_S1_S1_S1_PKiPfP15HIP_vector_typeIfLj2EEffffjfiS5_IjLj3EEiiiiiiiiiiiliiliiiiil.numbered_sgpr, 46
	.set _ZL15flash_attn_tileILi64ELi64ELi64ELi1ELb0EEvPKcS1_S1_S1_S1_PKiPfP15HIP_vector_typeIfLj2EEffffjfiS5_IjLj3EEiiiiiiiiiiiliiliiiiil.num_named_barrier, 0
	.set _ZL15flash_attn_tileILi64ELi64ELi64ELi1ELb0EEvPKcS1_S1_S1_S1_PKiPfP15HIP_vector_typeIfLj2EEffffjfiS5_IjLj3EEiiiiiiiiiiiliiliiiiil.private_seg_size, 272
	.set _ZL15flash_attn_tileILi64ELi64ELi64ELi1ELb0EEvPKcS1_S1_S1_S1_PKiPfP15HIP_vector_typeIfLj2EEffffjfiS5_IjLj3EEiiiiiiiiiiiliiliiiiil.uses_vcc, 1
	.set _ZL15flash_attn_tileILi64ELi64ELi64ELi1ELb0EEvPKcS1_S1_S1_S1_PKiPfP15HIP_vector_typeIfLj2EEffffjfiS5_IjLj3EEiiiiiiiiiiiliiliiiiil.uses_flat_scratch, 1
	.set _ZL15flash_attn_tileILi64ELi64ELi64ELi1ELb0EEvPKcS1_S1_S1_S1_PKiPfP15HIP_vector_typeIfLj2EEffffjfiS5_IjLj3EEiiiiiiiiiiiliiliiiiil.has_dyn_sized_stack, 0
	.set _ZL15flash_attn_tileILi64ELi64ELi64ELi1ELb0EEvPKcS1_S1_S1_S1_PKiPfP15HIP_vector_typeIfLj2EEffffjfiS5_IjLj3EEiiiiiiiiiiiliiliiiiil.has_recursion, 0
	.set _ZL15flash_attn_tileILi64ELi64ELi64ELi1ELb0EEvPKcS1_S1_S1_S1_PKiPfP15HIP_vector_typeIfLj2EEffffjfiS5_IjLj3EEiiiiiiiiiiiliiliiiiil.has_indirect_call, 0
	.section	.AMDGPU.csdata,"",@progbits
; Kernel info:
; codeLenInByte = 97272
; TotalNumSgprs: 48
; NumVgprs: 192
; ScratchSize: 272
; MemoryBound: 0
; FloatMode: 240
; IeeeMode: 1
; LDSByteSize: 25600 bytes/workgroup (compile time only)
; SGPRBlocks: 0
; VGPRBlocks: 11
; NumSGPRsForWavesPerEU: 48
; NumVGPRsForWavesPerEU: 192
; NamedBarCnt: 0
; Occupancy: 5
; WaveLimiterHint : 0
; COMPUTE_PGM_RSRC2:SCRATCH_EN: 1
; COMPUTE_PGM_RSRC2:USER_SGPR: 2
; COMPUTE_PGM_RSRC2:TRAP_HANDLER: 0
; COMPUTE_PGM_RSRC2:TGID_X_EN: 1
; COMPUTE_PGM_RSRC2:TGID_Y_EN: 1
; COMPUTE_PGM_RSRC2:TGID_Z_EN: 1
; COMPUTE_PGM_RSRC2:TIDIG_COMP_CNT: 1
	.section	.text._ZL25flash_attn_mask_to_KV_maxILi64EEvPK7__half2Piiii,"axG",@progbits,_ZL25flash_attn_mask_to_KV_maxILi64EEvPK7__half2Piiii,comdat
	.globl	_ZL25flash_attn_mask_to_KV_maxILi64EEvPK7__half2Piiii ; -- Begin function _ZL25flash_attn_mask_to_KV_maxILi64EEvPK7__half2Piiii
	.p2align	8
	.type	_ZL25flash_attn_mask_to_KV_maxILi64EEvPK7__half2Piiii,@function
_ZL25flash_attn_mask_to_KV_maxILi64EEvPK7__half2Piiii: ; @_ZL25flash_attn_mask_to_KV_maxILi64EEvPK7__half2Piiii
; %bb.0:
	s_load_b128 s[4:7], s[0:1], 0x0
	s_mov_b32 s2, exec_lo
	v_cmpx_gt_u32_e32 32, v0
; %bb.1:
	v_dual_mov_b32 v2, 1 :: v_dual_lshlrev_b32 v1, 2, v0
	ds_store_b32 v1, v2
; %bb.2:
	s_or_b32 exec_lo, exec_lo, s2
	s_clause 0x1
	s_load_b96 s[8:10], s[0:1], 0x10
	s_load_b32 s11, s[0:1], 0x20
	s_wait_xcnt 0x0
	s_bfe_u32 s1, ttmp6, 0x4000c
	s_bfe_u32 s2, ttmp6, 0x40010
	s_add_co_i32 s1, s1, 1
	s_add_co_i32 s2, s2, 1
	s_and_b32 s0, ttmp6, 15
	s_bfe_u32 s3, ttmp6, 0x40004
	s_mul_i32 s1, ttmp9, s1
	s_mul_i32 s2, ttmp7, s2
	s_getreg_b32 s12, hwreg(HW_REG_IB_STS2, 6, 4)
	s_add_co_i32 s0, s0, s1
	s_add_co_i32 s3, s3, s2
	s_cmp_eq_u32 s12, 0
	v_dual_lshrrev_b32 v1, 3, v0 :: v_dual_bitop2_b32 v2, 31, v0 bitop3:0x40
	s_cselect_b32 s1, ttmp9, s0
	s_cselect_b32 s12, ttmp7, s3
	s_wait_dscnt 0x0
	s_barrier_signal -1
	s_wait_kmcnt 0x0
	s_mul_i32 s0, s1, s9
	s_mul_i32 s2, s10, s12
	s_lshl_b32 s0, s0, 6
	s_barrier_wait -1
	s_add_co_i32 s2, s2, s0
	v_cmp_eq_u32_e64 s0, 0, v2
	s_ashr_i32 s3, s2, 31
	v_lshlrev_b32_e32 v2, 2, v2
	s_lshl_b64 s[2:3], s[2:3], 2
	s_delay_alu instid0(SALU_CYCLE_1)
	s_add_nc_u64 s[2:3], s[4:5], s[2:3]
	s_lshl_b32 s5, s8, 8
	s_branch .LBB53_4
.LBB53_3:                               ;   in Loop: Header=BB53_4 Depth=1
	s_or_b32 exec_lo, exec_lo, s8
	s_wait_dscnt 0x0
	s_barrier_signal -1
	s_barrier_wait -1
	ds_load_b32 v3, v2
	s_wait_dscnt 0x0
	s_barrier_signal -1
	s_barrier_wait -1
	v_cmp_ne_u32_e32 vcc_lo, 0, v3
	s_cmp_lg_u32 vcc_lo, exec_lo
	s_cselect_b32 s8, -1, 0
	s_delay_alu instid0(SALU_CYCLE_1)
	s_and_b32 vcc_lo, exec_lo, s8
	s_cbranch_vccnz .LBB53_260
.LBB53_4:                               ; =>This Inner Loop Header: Depth=1
	s_mov_b32 s4, s5
	s_addk_co_i32 s5, 0xff00
	s_delay_alu instid0(SALU_CYCLE_1)
	s_cmp_lt_i32 s5, 0
	s_cbranch_scc1 .LBB53_259
; %bb.5:                                ;   in Loop: Header=BB53_4 Depth=1
	s_lshr_b32 s8, s5, 1
	s_delay_alu instid0(SALU_CYCLE_1) | instskip(SKIP_4) | instid1(VALU_DEP_2)
	v_add_nc_u32_e32 v3, s8, v0
	global_load_b32 v4, v3, s[2:3] scale_offset
	s_wait_loadcnt 0x0
	v_lshrrev_b32_e32 v5, 16, v4
	v_cmp_class_f16_e64 s8, v4, 0x204
	v_cmp_class_f16_e64 s10, v5, 0x204
	s_and_b32 s13, s8, s10
	s_mov_b32 s10, 0
	s_and_saveexec_b32 s8, s13
	s_cbranch_execz .LBB53_257
; %bb.6:                                ;   in Loop: Header=BB53_4 Depth=1
	v_add_nc_u32_e32 v3, s9, v3
	s_mov_b32 s13, 0
	global_load_b32 v4, v3, s[2:3] scale_offset
	s_wait_loadcnt 0x0
	v_cmp_class_f16_e64 s14, v4, 0x204
	s_and_saveexec_b32 s10, s14
	s_cbranch_execz .LBB53_256
; %bb.7:                                ;   in Loop: Header=BB53_4 Depth=1
	v_lshrrev_b32_e32 v4, 16, v4
	s_mov_b32 s14, 0
	s_delay_alu instid0(VALU_DEP_1)
	v_cmp_class_f16_e64 s15, v4, 0x204
	s_and_saveexec_b32 s13, s15
	s_cbranch_execz .LBB53_255
; %bb.8:                                ;   in Loop: Header=BB53_4 Depth=1
	v_add_nc_u32_e32 v3, s9, v3
	s_mov_b32 s15, 0
	global_load_b32 v4, v3, s[2:3] scale_offset
	s_wait_loadcnt 0x0
	v_cmp_class_f16_e64 s16, v4, 0x204
	s_and_saveexec_b32 s14, s16
	s_cbranch_execz .LBB53_254
; %bb.9:                                ;   in Loop: Header=BB53_4 Depth=1
	v_lshrrev_b32_e32 v4, 16, v4
	s_mov_b32 s16, 0
	s_delay_alu instid0(VALU_DEP_1)
	v_cmp_class_f16_e64 s17, v4, 0x204
	s_and_saveexec_b32 s15, s17
	s_cbranch_execz .LBB53_253
; %bb.10:                               ;   in Loop: Header=BB53_4 Depth=1
	v_add_nc_u32_e32 v3, s9, v3
	s_mov_b32 s17, 0
	global_load_b32 v4, v3, s[2:3] scale_offset
	s_wait_loadcnt 0x0
	v_cmp_class_f16_e64 s18, v4, 0x204
	s_and_saveexec_b32 s16, s18
	s_cbranch_execz .LBB53_252
; %bb.11:                               ;   in Loop: Header=BB53_4 Depth=1
	v_lshrrev_b32_e32 v4, 16, v4
	s_mov_b32 s18, 0
	s_delay_alu instid0(VALU_DEP_1)
	v_cmp_class_f16_e64 s19, v4, 0x204
	s_and_saveexec_b32 s17, s19
	s_cbranch_execz .LBB53_251
; %bb.12:                               ;   in Loop: Header=BB53_4 Depth=1
	v_add_nc_u32_e32 v3, s9, v3
	s_mov_b32 s19, 0
	global_load_b32 v4, v3, s[2:3] scale_offset
	s_wait_loadcnt 0x0
	v_cmp_class_f16_e64 s20, v4, 0x204
	s_and_saveexec_b32 s18, s20
	s_cbranch_execz .LBB53_250
; %bb.13:                               ;   in Loop: Header=BB53_4 Depth=1
	;; [unrolled: 15-line block ×24, first 2 shown]
	v_lshrrev_b32_e32 v4, 16, v4
	s_mov_b32 s65, 0
	s_delay_alu instid0(VALU_DEP_1)
	v_cmp_class_f16_e64 s66, v4, 0x204
	s_and_saveexec_b32 s64, s66
	s_cbranch_execz .LBB53_205
; %bb.58:                               ;   in Loop: Header=BB53_4 Depth=1
	v_add_nc_u32_e32 v3, s9, v3
	global_load_b32 v4, v3, s[2:3] scale_offset
	s_wait_loadcnt 0x0
	v_cmp_class_f16_e64 s66, v4, 0x204
	s_mov_b32 s67, exec_lo
	s_delay_alu instid0(SALU_CYCLE_1)
	s_and_b32 s66, s67, s66
                                        ; implicit-def: $vgpr7 : SGPR spill to VGPR lane
	v_writelane_b32 v7, s67, 0
	s_mov_b32 exec_lo, s66
	s_cbranch_execz .LBB53_204
; %bb.59:                               ;   in Loop: Header=BB53_4 Depth=1
	v_lshrrev_b32_e32 v4, 16, v4
	s_delay_alu instid0(VALU_DEP_1) | instskip(SKIP_1) | instid1(SALU_CYCLE_1)
	v_cmp_class_f16_e64 s66, v4, 0x204
	s_mov_b32 s67, exec_lo
	s_and_b32 s66, s67, s66
	v_writelane_b32 v7, s67, 1
	s_mov_b32 exec_lo, s66
	s_cbranch_execz .LBB53_203
; %bb.60:                               ;   in Loop: Header=BB53_4 Depth=1
	v_add_nc_u32_e32 v3, s9, v3
	global_load_b32 v4, v3, s[2:3] scale_offset
	s_wait_loadcnt 0x0
	v_cmp_class_f16_e64 s66, v4, 0x204
	s_mov_b32 s67, exec_lo
	s_delay_alu instid0(SALU_CYCLE_1)
	s_and_b32 s66, s67, s66
	v_writelane_b32 v7, s67, 2
	s_mov_b32 exec_lo, s66
	s_cbranch_execz .LBB53_202
; %bb.61:                               ;   in Loop: Header=BB53_4 Depth=1
	v_lshrrev_b32_e32 v4, 16, v4
	s_delay_alu instid0(VALU_DEP_1) | instskip(SKIP_1) | instid1(SALU_CYCLE_1)
	v_cmp_class_f16_e64 s66, v4, 0x204
	s_mov_b32 s67, exec_lo
	s_and_b32 s66, s67, s66
	v_writelane_b32 v7, s67, 3
	s_mov_b32 exec_lo, s66
	s_cbranch_execz .LBB53_201
; %bb.62:                               ;   in Loop: Header=BB53_4 Depth=1
	v_add_nc_u32_e32 v3, s9, v3
	global_load_b32 v4, v3, s[2:3] scale_offset
	s_wait_loadcnt 0x0
	v_cmp_class_f16_e64 s66, v4, 0x204
	s_mov_b32 s67, exec_lo
	s_delay_alu instid0(SALU_CYCLE_1)
	s_and_b32 s66, s67, s66
	;; [unrolled: 20-line block ×16, first 2 shown]
                                        ; implicit-def: $vgpr6 : SGPR spill to VGPR lane
	v_writelane_b32 v6, s67, 0
	s_mov_b32 exec_lo, s66
	s_cbranch_execz .LBB53_172
; %bb.91:                               ;   in Loop: Header=BB53_4 Depth=1
	v_lshrrev_b32_e32 v4, 16, v4
	s_delay_alu instid0(VALU_DEP_1)
	v_cmp_class_f16_e64 s66, v4, 0x204
	s_and_saveexec_b32 s98, s66
	s_cbranch_execz .LBB53_171
; %bb.92:                               ;   in Loop: Header=BB53_4 Depth=1
	v_add_nc_u32_e32 v3, s9, v3
	global_load_b32 v4, v3, s[2:3] scale_offset
	s_wait_loadcnt 0x0
	v_cmp_class_f16_e64 s66, v4, 0x204
	s_and_saveexec_b32 s99, s66
	s_cbranch_execz .LBB53_170
; %bb.93:                               ;   in Loop: Header=BB53_4 Depth=1
	v_lshrrev_b32_e32 v4, 16, v4
	s_delay_alu instid0(VALU_DEP_1)
	v_cmp_class_f16_e64 s66, v4, 0x204
	s_and_saveexec_b32 s100, s66
	s_cbranch_execz .LBB53_169
; %bb.94:                               ;   in Loop: Header=BB53_4 Depth=1
	v_add_nc_u32_e32 v3, s9, v3
	global_load_b32 v4, v3, s[2:3] scale_offset
	s_wait_loadcnt 0x0
	v_cmp_class_f16_e64 s66, v4, 0x204
	s_and_saveexec_b32 s101, s66
	;; [unrolled: 13-line block ×3, first 2 shown]
	s_cbranch_execz .LBB53_166
; %bb.97:                               ;   in Loop: Header=BB53_4 Depth=1
	v_lshrrev_b32_e32 v4, 16, v4
	s_delay_alu instid0(VALU_DEP_1)
	v_cmp_class_f16_e64 s66, v4, 0x204
	s_and_saveexec_b32 s104, s66
	s_cbranch_execz .LBB53_165
; %bb.98:                               ;   in Loop: Header=BB53_4 Depth=1
	v_add_nc_u32_e32 v3, s9, v3
	global_load_b32 v4, v3, s[2:3] scale_offset
	s_wait_loadcnt 0x0
	v_cmp_class_f16_e64 s66, v4, 0x204
	s_and_saveexec_b32 vcc_lo, s66
	s_cbranch_execz .LBB53_164
; %bb.99:                               ;   in Loop: Header=BB53_4 Depth=1
	v_lshrrev_b32_e32 v4, 16, v4
	s_delay_alu instid0(VALU_DEP_1)
	v_cmp_class_f16_e64 s66, v4, 0x204
	s_and_saveexec_b32 vcc_hi, s66
	s_cbranch_execz .LBB53_163
; %bb.100:                              ;   in Loop: Header=BB53_4 Depth=1
	v_add_nc_u32_e32 v3, s9, v3
	s_mov_b32 s66, 0
	global_load_b32 v4, v3, s[2:3] scale_offset
	s_wait_loadcnt 0x0
	v_cmp_class_f16_e64 s67, v4, 0x204
	s_and_saveexec_b32 s65, s67
	s_cbranch_execz .LBB53_162
; %bb.101:                              ;   in Loop: Header=BB53_4 Depth=1
	v_lshrrev_b32_e32 v4, 16, v4
	s_mov_b32 s67, 0
	s_delay_alu instid0(VALU_DEP_1)
	v_cmp_class_f16_e64 s68, v4, 0x204
	s_and_saveexec_b32 s66, s68
	s_cbranch_execz .LBB53_161
; %bb.102:                              ;   in Loop: Header=BB53_4 Depth=1
	v_add_nc_u32_e32 v3, s9, v3
	s_mov_b32 s68, 0
	global_load_b32 v4, v3, s[2:3] scale_offset
	s_wait_loadcnt 0x0
	v_cmp_class_f16_e64 s69, v4, 0x204
	s_and_saveexec_b32 s67, s69
	s_cbranch_execz .LBB53_160
; %bb.103:                              ;   in Loop: Header=BB53_4 Depth=1
	v_lshrrev_b32_e32 v4, 16, v4
	s_mov_b32 s69, 0
	s_delay_alu instid0(VALU_DEP_1)
	v_cmp_class_f16_e64 s70, v4, 0x204
	s_and_saveexec_b32 s68, s70
	;; [unrolled: 15-line block ×15, first 2 shown]
	s_cbranch_execz .LBB53_133
; %bb.130:                              ;   in Loop: Header=BB53_4 Depth=1
	v_add_nc_u32_e32 v3, s9, v3
	global_load_b32 v3, v3, s[2:3] scale_offset
	s_wait_loadcnt 0x0
	v_cmp_class_f16_e64 s97, v3, 0x204
	s_and_saveexec_b32 s96, s97
; %bb.131:                              ;   in Loop: Header=BB53_4 Depth=1
	v_lshrrev_b32_e32 v3, 16, v3
	s_delay_alu instid0(VALU_DEP_1)
	v_cmp_class_f16_e64 s95, v3, 0x204
	s_and_b32 s95, s95, exec_lo
; %bb.132:                              ;   in Loop: Header=BB53_4 Depth=1
	s_or_b32 exec_lo, exec_lo, s96
	s_delay_alu instid0(SALU_CYCLE_1)
	s_and_b32 s95, s95, exec_lo
.LBB53_133:                             ;   in Loop: Header=BB53_4 Depth=1
	s_or_b32 exec_lo, exec_lo, s94
	s_delay_alu instid0(SALU_CYCLE_1)
	s_and_b32 s94, s95, exec_lo
.LBB53_134:                             ;   in Loop: Header=BB53_4 Depth=1
	s_or_b32 exec_lo, exec_lo, s93
	s_delay_alu instid0(SALU_CYCLE_1)
	s_and_b32 s93, s94, exec_lo
.LBB53_135:                             ;   in Loop: Header=BB53_4 Depth=1
	s_or_b32 exec_lo, exec_lo, s92
	s_delay_alu instid0(SALU_CYCLE_1)
	s_and_b32 s92, s93, exec_lo
.LBB53_136:                             ;   in Loop: Header=BB53_4 Depth=1
	s_or_b32 exec_lo, exec_lo, s91
	s_delay_alu instid0(SALU_CYCLE_1)
	s_and_b32 s91, s92, exec_lo
.LBB53_137:                             ;   in Loop: Header=BB53_4 Depth=1
	s_or_b32 exec_lo, exec_lo, s90
	s_delay_alu instid0(SALU_CYCLE_1)
	s_and_b32 s90, s91, exec_lo
.LBB53_138:                             ;   in Loop: Header=BB53_4 Depth=1
	s_or_b32 exec_lo, exec_lo, s89
	s_delay_alu instid0(SALU_CYCLE_1)
	s_and_b32 s89, s90, exec_lo
.LBB53_139:                             ;   in Loop: Header=BB53_4 Depth=1
	s_or_b32 exec_lo, exec_lo, s88
	s_delay_alu instid0(SALU_CYCLE_1)
	s_and_b32 s88, s89, exec_lo
.LBB53_140:                             ;   in Loop: Header=BB53_4 Depth=1
	s_or_b32 exec_lo, exec_lo, s87
	s_delay_alu instid0(SALU_CYCLE_1)
	s_and_b32 s87, s88, exec_lo
.LBB53_141:                             ;   in Loop: Header=BB53_4 Depth=1
	s_or_b32 exec_lo, exec_lo, s86
	s_delay_alu instid0(SALU_CYCLE_1)
	s_and_b32 s86, s87, exec_lo
.LBB53_142:                             ;   in Loop: Header=BB53_4 Depth=1
	s_or_b32 exec_lo, exec_lo, s85
	s_delay_alu instid0(SALU_CYCLE_1)
	s_and_b32 s85, s86, exec_lo
.LBB53_143:                             ;   in Loop: Header=BB53_4 Depth=1
	s_or_b32 exec_lo, exec_lo, s84
	s_delay_alu instid0(SALU_CYCLE_1)
	s_and_b32 s84, s85, exec_lo
.LBB53_144:                             ;   in Loop: Header=BB53_4 Depth=1
	s_or_b32 exec_lo, exec_lo, s83
	s_delay_alu instid0(SALU_CYCLE_1)
	s_and_b32 s83, s84, exec_lo
.LBB53_145:                             ;   in Loop: Header=BB53_4 Depth=1
	s_or_b32 exec_lo, exec_lo, s82
	s_delay_alu instid0(SALU_CYCLE_1)
	s_and_b32 s82, s83, exec_lo
.LBB53_146:                             ;   in Loop: Header=BB53_4 Depth=1
	s_or_b32 exec_lo, exec_lo, s81
	s_delay_alu instid0(SALU_CYCLE_1)
	s_and_b32 s81, s82, exec_lo
.LBB53_147:                             ;   in Loop: Header=BB53_4 Depth=1
	s_or_b32 exec_lo, exec_lo, s80
	s_delay_alu instid0(SALU_CYCLE_1)
	s_and_b32 s80, s81, exec_lo
.LBB53_148:                             ;   in Loop: Header=BB53_4 Depth=1
	s_or_b32 exec_lo, exec_lo, s79
	s_delay_alu instid0(SALU_CYCLE_1)
	s_and_b32 s79, s80, exec_lo
.LBB53_149:                             ;   in Loop: Header=BB53_4 Depth=1
	s_or_b32 exec_lo, exec_lo, s78
	s_delay_alu instid0(SALU_CYCLE_1)
	s_and_b32 s78, s79, exec_lo
.LBB53_150:                             ;   in Loop: Header=BB53_4 Depth=1
	s_or_b32 exec_lo, exec_lo, s77
	s_delay_alu instid0(SALU_CYCLE_1)
	s_and_b32 s77, s78, exec_lo
.LBB53_151:                             ;   in Loop: Header=BB53_4 Depth=1
	s_or_b32 exec_lo, exec_lo, s76
	s_delay_alu instid0(SALU_CYCLE_1)
	s_and_b32 s76, s77, exec_lo
.LBB53_152:                             ;   in Loop: Header=BB53_4 Depth=1
	s_or_b32 exec_lo, exec_lo, s75
	s_delay_alu instid0(SALU_CYCLE_1)
	s_and_b32 s75, s76, exec_lo
.LBB53_153:                             ;   in Loop: Header=BB53_4 Depth=1
	s_or_b32 exec_lo, exec_lo, s74
	s_delay_alu instid0(SALU_CYCLE_1)
	s_and_b32 s74, s75, exec_lo
.LBB53_154:                             ;   in Loop: Header=BB53_4 Depth=1
	s_or_b32 exec_lo, exec_lo, s73
	s_delay_alu instid0(SALU_CYCLE_1)
	s_and_b32 s73, s74, exec_lo
.LBB53_155:                             ;   in Loop: Header=BB53_4 Depth=1
	s_or_b32 exec_lo, exec_lo, s72
	s_delay_alu instid0(SALU_CYCLE_1)
	s_and_b32 s72, s73, exec_lo
.LBB53_156:                             ;   in Loop: Header=BB53_4 Depth=1
	s_or_b32 exec_lo, exec_lo, s71
	s_delay_alu instid0(SALU_CYCLE_1)
	s_and_b32 s71, s72, exec_lo
.LBB53_157:                             ;   in Loop: Header=BB53_4 Depth=1
	s_or_b32 exec_lo, exec_lo, s70
	s_delay_alu instid0(SALU_CYCLE_1)
	s_and_b32 s70, s71, exec_lo
.LBB53_158:                             ;   in Loop: Header=BB53_4 Depth=1
	s_or_b32 exec_lo, exec_lo, s69
	s_delay_alu instid0(SALU_CYCLE_1)
	s_and_b32 s69, s70, exec_lo
.LBB53_159:                             ;   in Loop: Header=BB53_4 Depth=1
	s_or_b32 exec_lo, exec_lo, s68
	s_delay_alu instid0(SALU_CYCLE_1)
	s_and_b32 s68, s69, exec_lo
.LBB53_160:                             ;   in Loop: Header=BB53_4 Depth=1
	s_or_b32 exec_lo, exec_lo, s67
	s_delay_alu instid0(SALU_CYCLE_1)
	s_and_b32 s67, s68, exec_lo
.LBB53_161:                             ;   in Loop: Header=BB53_4 Depth=1
	s_or_b32 exec_lo, exec_lo, s66
	s_delay_alu instid0(SALU_CYCLE_1)
	s_and_b32 s66, s67, exec_lo
.LBB53_162:                             ;   in Loop: Header=BB53_4 Depth=1
	s_or_b32 exec_lo, exec_lo, s65
	s_delay_alu instid0(SALU_CYCLE_1)
	s_and_b32 s65, s66, exec_lo
.LBB53_163:                             ;   in Loop: Header=BB53_4 Depth=1
	s_or_b32 exec_lo, exec_lo, vcc_hi
	s_delay_alu instid0(SALU_CYCLE_1)
	s_and_b32 s65, s65, exec_lo
.LBB53_164:                             ;   in Loop: Header=BB53_4 Depth=1
	s_or_b32 exec_lo, exec_lo, vcc_lo
	s_delay_alu instid0(SALU_CYCLE_1)
	s_and_b32 s65, s65, exec_lo
.LBB53_165:                             ;   in Loop: Header=BB53_4 Depth=1
	s_or_b32 exec_lo, exec_lo, s104
	s_delay_alu instid0(SALU_CYCLE_1)
	s_and_b32 s65, s65, exec_lo
.LBB53_166:                             ;   in Loop: Header=BB53_4 Depth=1
	s_or_b32 exec_lo, exec_lo, s103
	s_delay_alu instid0(SALU_CYCLE_1)
	s_and_b32 s65, s65, exec_lo
.LBB53_167:                             ;   in Loop: Header=BB53_4 Depth=1
	s_or_b32 exec_lo, exec_lo, s102
	s_delay_alu instid0(SALU_CYCLE_1)
	s_and_b32 s65, s65, exec_lo
.LBB53_168:                             ;   in Loop: Header=BB53_4 Depth=1
	s_or_b32 exec_lo, exec_lo, s101
	s_delay_alu instid0(SALU_CYCLE_1)
	s_and_b32 s65, s65, exec_lo
.LBB53_169:                             ;   in Loop: Header=BB53_4 Depth=1
	s_or_b32 exec_lo, exec_lo, s100
	s_delay_alu instid0(SALU_CYCLE_1)
	s_and_b32 s65, s65, exec_lo
.LBB53_170:                             ;   in Loop: Header=BB53_4 Depth=1
	s_or_b32 exec_lo, exec_lo, s99
	s_delay_alu instid0(SALU_CYCLE_1)
	s_and_b32 s65, s65, exec_lo
.LBB53_171:                             ;   in Loop: Header=BB53_4 Depth=1
	s_or_b32 exec_lo, exec_lo, s98
	s_delay_alu instid0(SALU_CYCLE_1)
	s_and_b32 s65, s65, exec_lo
.LBB53_172:                             ;   in Loop: Header=BB53_4 Depth=1
	s_delay_alu instid0(VALU_DEP_1) | instskip(SKIP_1) | instid1(SALU_CYCLE_1)
	v_readlane_b32 s66, v6, 0
	s_or_b32 exec_lo, exec_lo, s66
	s_and_b32 s65, s65, exec_lo
.LBB53_173:                             ;   in Loop: Header=BB53_4 Depth=1
	s_delay_alu instid0(VALU_DEP_1) | instskip(SKIP_1) | instid1(SALU_CYCLE_1)
	v_readlane_b32 s66, v7, 31
	s_or_b32 exec_lo, exec_lo, s66
	s_and_b32 s65, s65, exec_lo
.LBB53_174:                             ;   in Loop: Header=BB53_4 Depth=1
	s_delay_alu instid0(VALU_DEP_1) | instskip(SKIP_1) | instid1(SALU_CYCLE_1)
	v_readlane_b32 s66, v7, 30
	s_or_b32 exec_lo, exec_lo, s66
	s_and_b32 s65, s65, exec_lo
.LBB53_175:                             ;   in Loop: Header=BB53_4 Depth=1
	s_delay_alu instid0(VALU_DEP_1) | instskip(SKIP_1) | instid1(SALU_CYCLE_1)
	v_readlane_b32 s66, v7, 29
	s_or_b32 exec_lo, exec_lo, s66
	s_and_b32 s65, s65, exec_lo
.LBB53_176:                             ;   in Loop: Header=BB53_4 Depth=1
	s_delay_alu instid0(VALU_DEP_1) | instskip(SKIP_1) | instid1(SALU_CYCLE_1)
	v_readlane_b32 s66, v7, 28
	s_or_b32 exec_lo, exec_lo, s66
	s_and_b32 s65, s65, exec_lo
.LBB53_177:                             ;   in Loop: Header=BB53_4 Depth=1
	s_delay_alu instid0(VALU_DEP_1) | instskip(SKIP_1) | instid1(SALU_CYCLE_1)
	v_readlane_b32 s66, v7, 27
	s_or_b32 exec_lo, exec_lo, s66
	s_and_b32 s65, s65, exec_lo
.LBB53_178:                             ;   in Loop: Header=BB53_4 Depth=1
	s_delay_alu instid0(VALU_DEP_1) | instskip(SKIP_1) | instid1(SALU_CYCLE_1)
	v_readlane_b32 s66, v7, 26
	s_or_b32 exec_lo, exec_lo, s66
	s_and_b32 s65, s65, exec_lo
.LBB53_179:                             ;   in Loop: Header=BB53_4 Depth=1
	s_delay_alu instid0(VALU_DEP_1) | instskip(SKIP_1) | instid1(SALU_CYCLE_1)
	v_readlane_b32 s66, v7, 25
	s_or_b32 exec_lo, exec_lo, s66
	s_and_b32 s65, s65, exec_lo
.LBB53_180:                             ;   in Loop: Header=BB53_4 Depth=1
	s_delay_alu instid0(VALU_DEP_1) | instskip(SKIP_1) | instid1(SALU_CYCLE_1)
	v_readlane_b32 s66, v7, 24
	s_or_b32 exec_lo, exec_lo, s66
	s_and_b32 s65, s65, exec_lo
.LBB53_181:                             ;   in Loop: Header=BB53_4 Depth=1
	s_delay_alu instid0(VALU_DEP_1) | instskip(SKIP_1) | instid1(SALU_CYCLE_1)
	v_readlane_b32 s66, v7, 23
	s_or_b32 exec_lo, exec_lo, s66
	s_and_b32 s65, s65, exec_lo
.LBB53_182:                             ;   in Loop: Header=BB53_4 Depth=1
	s_delay_alu instid0(VALU_DEP_1) | instskip(SKIP_1) | instid1(SALU_CYCLE_1)
	v_readlane_b32 s66, v7, 22
	s_or_b32 exec_lo, exec_lo, s66
	s_and_b32 s65, s65, exec_lo
.LBB53_183:                             ;   in Loop: Header=BB53_4 Depth=1
	s_delay_alu instid0(VALU_DEP_1) | instskip(SKIP_1) | instid1(SALU_CYCLE_1)
	v_readlane_b32 s66, v7, 21
	s_or_b32 exec_lo, exec_lo, s66
	s_and_b32 s65, s65, exec_lo
.LBB53_184:                             ;   in Loop: Header=BB53_4 Depth=1
	s_delay_alu instid0(VALU_DEP_1) | instskip(SKIP_1) | instid1(SALU_CYCLE_1)
	v_readlane_b32 s66, v7, 20
	s_or_b32 exec_lo, exec_lo, s66
	s_and_b32 s65, s65, exec_lo
.LBB53_185:                             ;   in Loop: Header=BB53_4 Depth=1
	s_delay_alu instid0(VALU_DEP_1) | instskip(SKIP_1) | instid1(SALU_CYCLE_1)
	v_readlane_b32 s66, v7, 19
	s_or_b32 exec_lo, exec_lo, s66
	s_and_b32 s65, s65, exec_lo
.LBB53_186:                             ;   in Loop: Header=BB53_4 Depth=1
	s_delay_alu instid0(VALU_DEP_1) | instskip(SKIP_1) | instid1(SALU_CYCLE_1)
	v_readlane_b32 s66, v7, 18
	s_or_b32 exec_lo, exec_lo, s66
	s_and_b32 s65, s65, exec_lo
.LBB53_187:                             ;   in Loop: Header=BB53_4 Depth=1
	s_delay_alu instid0(VALU_DEP_1) | instskip(SKIP_1) | instid1(SALU_CYCLE_1)
	v_readlane_b32 s66, v7, 17
	s_or_b32 exec_lo, exec_lo, s66
	s_and_b32 s65, s65, exec_lo
.LBB53_188:                             ;   in Loop: Header=BB53_4 Depth=1
	s_delay_alu instid0(VALU_DEP_1) | instskip(SKIP_1) | instid1(SALU_CYCLE_1)
	v_readlane_b32 s66, v7, 16
	s_or_b32 exec_lo, exec_lo, s66
	s_and_b32 s65, s65, exec_lo
.LBB53_189:                             ;   in Loop: Header=BB53_4 Depth=1
	s_delay_alu instid0(VALU_DEP_1) | instskip(SKIP_1) | instid1(SALU_CYCLE_1)
	v_readlane_b32 s66, v7, 15
	s_or_b32 exec_lo, exec_lo, s66
	s_and_b32 s65, s65, exec_lo
.LBB53_190:                             ;   in Loop: Header=BB53_4 Depth=1
	s_delay_alu instid0(VALU_DEP_1) | instskip(SKIP_1) | instid1(SALU_CYCLE_1)
	v_readlane_b32 s66, v7, 14
	s_or_b32 exec_lo, exec_lo, s66
	s_and_b32 s65, s65, exec_lo
.LBB53_191:                             ;   in Loop: Header=BB53_4 Depth=1
	s_delay_alu instid0(VALU_DEP_1) | instskip(SKIP_1) | instid1(SALU_CYCLE_1)
	v_readlane_b32 s66, v7, 13
	s_or_b32 exec_lo, exec_lo, s66
	s_and_b32 s65, s65, exec_lo
.LBB53_192:                             ;   in Loop: Header=BB53_4 Depth=1
	s_delay_alu instid0(VALU_DEP_1) | instskip(SKIP_1) | instid1(SALU_CYCLE_1)
	v_readlane_b32 s66, v7, 12
	s_or_b32 exec_lo, exec_lo, s66
	s_and_b32 s65, s65, exec_lo
.LBB53_193:                             ;   in Loop: Header=BB53_4 Depth=1
	s_delay_alu instid0(VALU_DEP_1) | instskip(SKIP_1) | instid1(SALU_CYCLE_1)
	v_readlane_b32 s66, v7, 11
	s_or_b32 exec_lo, exec_lo, s66
	s_and_b32 s65, s65, exec_lo
.LBB53_194:                             ;   in Loop: Header=BB53_4 Depth=1
	s_delay_alu instid0(VALU_DEP_1) | instskip(SKIP_1) | instid1(SALU_CYCLE_1)
	v_readlane_b32 s66, v7, 10
	s_or_b32 exec_lo, exec_lo, s66
	s_and_b32 s65, s65, exec_lo
.LBB53_195:                             ;   in Loop: Header=BB53_4 Depth=1
	s_delay_alu instid0(VALU_DEP_1) | instskip(SKIP_1) | instid1(SALU_CYCLE_1)
	v_readlane_b32 s66, v7, 9
	s_or_b32 exec_lo, exec_lo, s66
	s_and_b32 s65, s65, exec_lo
.LBB53_196:                             ;   in Loop: Header=BB53_4 Depth=1
	s_delay_alu instid0(VALU_DEP_1) | instskip(SKIP_1) | instid1(SALU_CYCLE_1)
	v_readlane_b32 s66, v7, 8
	s_or_b32 exec_lo, exec_lo, s66
	s_and_b32 s65, s65, exec_lo
.LBB53_197:                             ;   in Loop: Header=BB53_4 Depth=1
	s_delay_alu instid0(VALU_DEP_1) | instskip(SKIP_1) | instid1(SALU_CYCLE_1)
	v_readlane_b32 s66, v7, 7
	s_or_b32 exec_lo, exec_lo, s66
	s_and_b32 s65, s65, exec_lo
.LBB53_198:                             ;   in Loop: Header=BB53_4 Depth=1
	s_delay_alu instid0(VALU_DEP_1) | instskip(SKIP_1) | instid1(SALU_CYCLE_1)
	v_readlane_b32 s66, v7, 6
	s_or_b32 exec_lo, exec_lo, s66
	s_and_b32 s65, s65, exec_lo
.LBB53_199:                             ;   in Loop: Header=BB53_4 Depth=1
	s_delay_alu instid0(VALU_DEP_1) | instskip(SKIP_1) | instid1(SALU_CYCLE_1)
	v_readlane_b32 s66, v7, 5
	s_or_b32 exec_lo, exec_lo, s66
	s_and_b32 s65, s65, exec_lo
.LBB53_200:                             ;   in Loop: Header=BB53_4 Depth=1
	s_delay_alu instid0(VALU_DEP_1) | instskip(SKIP_1) | instid1(SALU_CYCLE_1)
	v_readlane_b32 s66, v7, 4
	s_or_b32 exec_lo, exec_lo, s66
	s_and_b32 s65, s65, exec_lo
.LBB53_201:                             ;   in Loop: Header=BB53_4 Depth=1
	s_delay_alu instid0(VALU_DEP_1) | instskip(SKIP_1) | instid1(SALU_CYCLE_1)
	v_readlane_b32 s66, v7, 3
	s_or_b32 exec_lo, exec_lo, s66
	s_and_b32 s65, s65, exec_lo
.LBB53_202:                             ;   in Loop: Header=BB53_4 Depth=1
	s_delay_alu instid0(VALU_DEP_1) | instskip(SKIP_1) | instid1(SALU_CYCLE_1)
	v_readlane_b32 s66, v7, 2
	s_or_b32 exec_lo, exec_lo, s66
	s_and_b32 s65, s65, exec_lo
.LBB53_203:                             ;   in Loop: Header=BB53_4 Depth=1
	s_delay_alu instid0(VALU_DEP_1) | instskip(SKIP_1) | instid1(SALU_CYCLE_1)
	v_readlane_b32 s66, v7, 1
	s_or_b32 exec_lo, exec_lo, s66
	s_and_b32 s65, s65, exec_lo
.LBB53_204:                             ;   in Loop: Header=BB53_4 Depth=1
	s_delay_alu instid0(VALU_DEP_1) | instskip(SKIP_1) | instid1(SALU_CYCLE_1)
	v_readlane_b32 s66, v7, 0
	s_or_b32 exec_lo, exec_lo, s66
	s_and_b32 s65, s65, exec_lo
.LBB53_205:                             ;   in Loop: Header=BB53_4 Depth=1
	s_or_b32 exec_lo, exec_lo, s64
	s_delay_alu instid0(SALU_CYCLE_1)
	s_and_b32 s64, s65, exec_lo
.LBB53_206:                             ;   in Loop: Header=BB53_4 Depth=1
	s_or_b32 exec_lo, exec_lo, s63
	s_delay_alu instid0(SALU_CYCLE_1)
	s_and_b32 s63, s64, exec_lo
.LBB53_207:                             ;   in Loop: Header=BB53_4 Depth=1
	s_or_b32 exec_lo, exec_lo, s62
	s_delay_alu instid0(SALU_CYCLE_1)
	s_and_b32 s62, s63, exec_lo
.LBB53_208:                             ;   in Loop: Header=BB53_4 Depth=1
	s_or_b32 exec_lo, exec_lo, s61
	s_delay_alu instid0(SALU_CYCLE_1)
	s_and_b32 s61, s62, exec_lo
.LBB53_209:                             ;   in Loop: Header=BB53_4 Depth=1
	s_or_b32 exec_lo, exec_lo, s60
	s_delay_alu instid0(SALU_CYCLE_1)
	s_and_b32 s60, s61, exec_lo
.LBB53_210:                             ;   in Loop: Header=BB53_4 Depth=1
	s_or_b32 exec_lo, exec_lo, s59
	s_delay_alu instid0(SALU_CYCLE_1)
	s_and_b32 s59, s60, exec_lo
.LBB53_211:                             ;   in Loop: Header=BB53_4 Depth=1
	s_or_b32 exec_lo, exec_lo, s58
	s_delay_alu instid0(SALU_CYCLE_1)
	s_and_b32 s58, s59, exec_lo
.LBB53_212:                             ;   in Loop: Header=BB53_4 Depth=1
	s_or_b32 exec_lo, exec_lo, s57
	s_delay_alu instid0(SALU_CYCLE_1)
	s_and_b32 s57, s58, exec_lo
.LBB53_213:                             ;   in Loop: Header=BB53_4 Depth=1
	s_or_b32 exec_lo, exec_lo, s56
	s_delay_alu instid0(SALU_CYCLE_1)
	s_and_b32 s56, s57, exec_lo
.LBB53_214:                             ;   in Loop: Header=BB53_4 Depth=1
	s_or_b32 exec_lo, exec_lo, s55
	s_delay_alu instid0(SALU_CYCLE_1)
	s_and_b32 s55, s56, exec_lo
.LBB53_215:                             ;   in Loop: Header=BB53_4 Depth=1
	s_or_b32 exec_lo, exec_lo, s54
	s_delay_alu instid0(SALU_CYCLE_1)
	s_and_b32 s54, s55, exec_lo
.LBB53_216:                             ;   in Loop: Header=BB53_4 Depth=1
	s_or_b32 exec_lo, exec_lo, s53
	s_delay_alu instid0(SALU_CYCLE_1)
	s_and_b32 s53, s54, exec_lo
.LBB53_217:                             ;   in Loop: Header=BB53_4 Depth=1
	s_or_b32 exec_lo, exec_lo, s52
	s_delay_alu instid0(SALU_CYCLE_1)
	s_and_b32 s52, s53, exec_lo
.LBB53_218:                             ;   in Loop: Header=BB53_4 Depth=1
	s_or_b32 exec_lo, exec_lo, s51
	s_delay_alu instid0(SALU_CYCLE_1)
	s_and_b32 s51, s52, exec_lo
.LBB53_219:                             ;   in Loop: Header=BB53_4 Depth=1
	s_or_b32 exec_lo, exec_lo, s50
	s_delay_alu instid0(SALU_CYCLE_1)
	s_and_b32 s50, s51, exec_lo
.LBB53_220:                             ;   in Loop: Header=BB53_4 Depth=1
	s_or_b32 exec_lo, exec_lo, s49
	s_delay_alu instid0(SALU_CYCLE_1)
	s_and_b32 s49, s50, exec_lo
.LBB53_221:                             ;   in Loop: Header=BB53_4 Depth=1
	s_or_b32 exec_lo, exec_lo, s48
	s_delay_alu instid0(SALU_CYCLE_1)
	s_and_b32 s48, s49, exec_lo
.LBB53_222:                             ;   in Loop: Header=BB53_4 Depth=1
	s_or_b32 exec_lo, exec_lo, s47
	s_delay_alu instid0(SALU_CYCLE_1)
	s_and_b32 s47, s48, exec_lo
.LBB53_223:                             ;   in Loop: Header=BB53_4 Depth=1
	s_or_b32 exec_lo, exec_lo, s46
	s_delay_alu instid0(SALU_CYCLE_1)
	s_and_b32 s46, s47, exec_lo
.LBB53_224:                             ;   in Loop: Header=BB53_4 Depth=1
	s_or_b32 exec_lo, exec_lo, s45
	s_delay_alu instid0(SALU_CYCLE_1)
	s_and_b32 s45, s46, exec_lo
.LBB53_225:                             ;   in Loop: Header=BB53_4 Depth=1
	s_or_b32 exec_lo, exec_lo, s44
	s_delay_alu instid0(SALU_CYCLE_1)
	s_and_b32 s44, s45, exec_lo
.LBB53_226:                             ;   in Loop: Header=BB53_4 Depth=1
	s_or_b32 exec_lo, exec_lo, s43
	s_delay_alu instid0(SALU_CYCLE_1)
	s_and_b32 s43, s44, exec_lo
.LBB53_227:                             ;   in Loop: Header=BB53_4 Depth=1
	s_or_b32 exec_lo, exec_lo, s42
	s_delay_alu instid0(SALU_CYCLE_1)
	s_and_b32 s42, s43, exec_lo
.LBB53_228:                             ;   in Loop: Header=BB53_4 Depth=1
	s_or_b32 exec_lo, exec_lo, s41
	s_delay_alu instid0(SALU_CYCLE_1)
	s_and_b32 s41, s42, exec_lo
.LBB53_229:                             ;   in Loop: Header=BB53_4 Depth=1
	s_or_b32 exec_lo, exec_lo, s40
	s_delay_alu instid0(SALU_CYCLE_1)
	s_and_b32 s40, s41, exec_lo
.LBB53_230:                             ;   in Loop: Header=BB53_4 Depth=1
	s_or_b32 exec_lo, exec_lo, s39
	s_delay_alu instid0(SALU_CYCLE_1)
	s_and_b32 s39, s40, exec_lo
.LBB53_231:                             ;   in Loop: Header=BB53_4 Depth=1
	s_or_b32 exec_lo, exec_lo, s38
	s_delay_alu instid0(SALU_CYCLE_1)
	s_and_b32 s38, s39, exec_lo
.LBB53_232:                             ;   in Loop: Header=BB53_4 Depth=1
	s_or_b32 exec_lo, exec_lo, s37
	s_delay_alu instid0(SALU_CYCLE_1)
	s_and_b32 s37, s38, exec_lo
.LBB53_233:                             ;   in Loop: Header=BB53_4 Depth=1
	s_or_b32 exec_lo, exec_lo, s36
	s_delay_alu instid0(SALU_CYCLE_1)
	s_and_b32 s36, s37, exec_lo
.LBB53_234:                             ;   in Loop: Header=BB53_4 Depth=1
	s_or_b32 exec_lo, exec_lo, s35
	s_delay_alu instid0(SALU_CYCLE_1)
	s_and_b32 s35, s36, exec_lo
.LBB53_235:                             ;   in Loop: Header=BB53_4 Depth=1
	s_or_b32 exec_lo, exec_lo, s34
	s_delay_alu instid0(SALU_CYCLE_1)
	s_and_b32 s34, s35, exec_lo
.LBB53_236:                             ;   in Loop: Header=BB53_4 Depth=1
	s_or_b32 exec_lo, exec_lo, s33
	s_delay_alu instid0(SALU_CYCLE_1)
	s_and_b32 s33, s34, exec_lo
.LBB53_237:                             ;   in Loop: Header=BB53_4 Depth=1
	s_or_b32 exec_lo, exec_lo, s31
	s_delay_alu instid0(SALU_CYCLE_1)
	s_and_b32 s31, s33, exec_lo
.LBB53_238:                             ;   in Loop: Header=BB53_4 Depth=1
	s_or_b32 exec_lo, exec_lo, s30
	s_delay_alu instid0(SALU_CYCLE_1)
	s_and_b32 s30, s31, exec_lo
.LBB53_239:                             ;   in Loop: Header=BB53_4 Depth=1
	s_or_b32 exec_lo, exec_lo, s29
	s_delay_alu instid0(SALU_CYCLE_1)
	s_and_b32 s29, s30, exec_lo
.LBB53_240:                             ;   in Loop: Header=BB53_4 Depth=1
	s_or_b32 exec_lo, exec_lo, s28
	s_delay_alu instid0(SALU_CYCLE_1)
	s_and_b32 s28, s29, exec_lo
.LBB53_241:                             ;   in Loop: Header=BB53_4 Depth=1
	s_or_b32 exec_lo, exec_lo, s27
	s_delay_alu instid0(SALU_CYCLE_1)
	s_and_b32 s27, s28, exec_lo
.LBB53_242:                             ;   in Loop: Header=BB53_4 Depth=1
	s_or_b32 exec_lo, exec_lo, s26
	s_delay_alu instid0(SALU_CYCLE_1)
	s_and_b32 s26, s27, exec_lo
.LBB53_243:                             ;   in Loop: Header=BB53_4 Depth=1
	s_or_b32 exec_lo, exec_lo, s25
	s_delay_alu instid0(SALU_CYCLE_1)
	s_and_b32 s25, s26, exec_lo
.LBB53_244:                             ;   in Loop: Header=BB53_4 Depth=1
	s_or_b32 exec_lo, exec_lo, s24
	s_delay_alu instid0(SALU_CYCLE_1)
	s_and_b32 s24, s25, exec_lo
.LBB53_245:                             ;   in Loop: Header=BB53_4 Depth=1
	s_or_b32 exec_lo, exec_lo, s23
	s_delay_alu instid0(SALU_CYCLE_1)
	s_and_b32 s23, s24, exec_lo
.LBB53_246:                             ;   in Loop: Header=BB53_4 Depth=1
	s_or_b32 exec_lo, exec_lo, s22
	s_delay_alu instid0(SALU_CYCLE_1)
	s_and_b32 s22, s23, exec_lo
.LBB53_247:                             ;   in Loop: Header=BB53_4 Depth=1
	s_or_b32 exec_lo, exec_lo, s21
	s_delay_alu instid0(SALU_CYCLE_1)
	s_and_b32 s21, s22, exec_lo
.LBB53_248:                             ;   in Loop: Header=BB53_4 Depth=1
	s_or_b32 exec_lo, exec_lo, s20
	s_delay_alu instid0(SALU_CYCLE_1)
	s_and_b32 s20, s21, exec_lo
.LBB53_249:                             ;   in Loop: Header=BB53_4 Depth=1
	s_or_b32 exec_lo, exec_lo, s19
	s_delay_alu instid0(SALU_CYCLE_1)
	s_and_b32 s19, s20, exec_lo
.LBB53_250:                             ;   in Loop: Header=BB53_4 Depth=1
	s_or_b32 exec_lo, exec_lo, s18
	s_delay_alu instid0(SALU_CYCLE_1)
	s_and_b32 s18, s19, exec_lo
.LBB53_251:                             ;   in Loop: Header=BB53_4 Depth=1
	s_or_b32 exec_lo, exec_lo, s17
	s_delay_alu instid0(SALU_CYCLE_1)
	s_and_b32 s17, s18, exec_lo
.LBB53_252:                             ;   in Loop: Header=BB53_4 Depth=1
	s_or_b32 exec_lo, exec_lo, s16
	s_delay_alu instid0(SALU_CYCLE_1)
	s_and_b32 s16, s17, exec_lo
.LBB53_253:                             ;   in Loop: Header=BB53_4 Depth=1
	s_or_b32 exec_lo, exec_lo, s15
	s_delay_alu instid0(SALU_CYCLE_1)
	s_and_b32 s15, s16, exec_lo
.LBB53_254:                             ;   in Loop: Header=BB53_4 Depth=1
	s_or_b32 exec_lo, exec_lo, s14
	s_delay_alu instid0(SALU_CYCLE_1)
	s_and_b32 s14, s15, exec_lo
.LBB53_255:                             ;   in Loop: Header=BB53_4 Depth=1
	s_or_b32 exec_lo, exec_lo, s13
	s_delay_alu instid0(SALU_CYCLE_1)
	s_and_b32 s13, s14, exec_lo
.LBB53_256:                             ;   in Loop: Header=BB53_4 Depth=1
	s_or_b32 exec_lo, exec_lo, s10
	s_delay_alu instid0(SALU_CYCLE_1)
	s_and_b32 s10, s13, exec_lo
.LBB53_257:                             ;   in Loop: Header=BB53_4 Depth=1
	s_or_b32 exec_lo, exec_lo, s8
	v_cndmask_b32_e64 v3, 0, 1, s10
	s_mov_b32 s13, exec_lo
	s_delay_alu instid0(VALU_DEP_1)
	v_cmp_ne_u32_e32 vcc_lo, 0, v3
	s_and_saveexec_b32 s8, s0
	s_cbranch_execz .LBB53_3
; %bb.258:                              ;   in Loop: Header=BB53_4 Depth=1
	s_cmp_eq_u32 vcc_lo, s13
	s_cselect_b32 s10, -1, 0
	s_delay_alu instid0(SALU_CYCLE_1)
	v_cndmask_b32_e64 v3, 0, 1, s10
	ds_store_b32 v1, v3
	s_branch .LBB53_3
.LBB53_259:                             ;   in Loop: Header=BB53_4 Depth=1
	s_cbranch_execz .LBB53_4
.LBB53_260:
	s_mov_b32 s0, exec_lo
	v_cmpx_eq_u32_e32 0, v0
	s_cbranch_execz .LBB53_262
; %bb.261:
	s_mul_i32 s0, s11, s12
	v_mov_b32_e32 v1, s4
	s_add_co_i32 s0, s0, s1
	s_delay_alu instid0(SALU_CYCLE_1)
	v_mov_b32_e32 v0, s0
	global_store_b32 v0, v1, s[6:7] scale_offset
.LBB53_262:
	s_endpgm
	.section	.rodata,"a",@progbits
	.p2align	6, 0x0
	.amdhsa_kernel _ZL25flash_attn_mask_to_KV_maxILi64EEvPK7__half2Piiii
		.amdhsa_group_segment_fixed_size 128
		.amdhsa_private_segment_fixed_size 0
		.amdhsa_kernarg_size 288
		.amdhsa_user_sgpr_count 2
		.amdhsa_user_sgpr_dispatch_ptr 0
		.amdhsa_user_sgpr_queue_ptr 0
		.amdhsa_user_sgpr_kernarg_segment_ptr 1
		.amdhsa_user_sgpr_dispatch_id 0
		.amdhsa_user_sgpr_kernarg_preload_length 0
		.amdhsa_user_sgpr_kernarg_preload_offset 0
		.amdhsa_user_sgpr_private_segment_size 0
		.amdhsa_wavefront_size32 1
		.amdhsa_uses_dynamic_stack 0
		.amdhsa_enable_private_segment 0
		.amdhsa_system_sgpr_workgroup_id_x 1
		.amdhsa_system_sgpr_workgroup_id_y 1
		.amdhsa_system_sgpr_workgroup_id_z 0
		.amdhsa_system_sgpr_workgroup_info 0
		.amdhsa_system_vgpr_workitem_id 0
		.amdhsa_next_free_vgpr 8
		.amdhsa_next_free_sgpr 105
		.amdhsa_named_barrier_count 0
		.amdhsa_reserve_vcc 1
		.amdhsa_float_round_mode_32 0
		.amdhsa_float_round_mode_16_64 0
		.amdhsa_float_denorm_mode_32 3
		.amdhsa_float_denorm_mode_16_64 3
		.amdhsa_fp16_overflow 0
		.amdhsa_memory_ordered 1
		.amdhsa_forward_progress 1
		.amdhsa_inst_pref_size 59
		.amdhsa_round_robin_scheduling 0
		.amdhsa_exception_fp_ieee_invalid_op 0
		.amdhsa_exception_fp_denorm_src 0
		.amdhsa_exception_fp_ieee_div_zero 0
		.amdhsa_exception_fp_ieee_overflow 0
		.amdhsa_exception_fp_ieee_underflow 0
		.amdhsa_exception_fp_ieee_inexact 0
		.amdhsa_exception_int_div_zero 0
	.end_amdhsa_kernel
	.section	.text._ZL25flash_attn_mask_to_KV_maxILi64EEvPK7__half2Piiii,"axG",@progbits,_ZL25flash_attn_mask_to_KV_maxILi64EEvPK7__half2Piiii,comdat
.Lfunc_end53:
	.size	_ZL25flash_attn_mask_to_KV_maxILi64EEvPK7__half2Piiii, .Lfunc_end53-_ZL25flash_attn_mask_to_KV_maxILi64EEvPK7__half2Piiii
                                        ; -- End function
	.set _ZL25flash_attn_mask_to_KV_maxILi64EEvPK7__half2Piiii.num_vgpr, 8
	.set _ZL25flash_attn_mask_to_KV_maxILi64EEvPK7__half2Piiii.num_agpr, 0
	.set _ZL25flash_attn_mask_to_KV_maxILi64EEvPK7__half2Piiii.numbered_sgpr, 105
	.set _ZL25flash_attn_mask_to_KV_maxILi64EEvPK7__half2Piiii.num_named_barrier, 0
	.set _ZL25flash_attn_mask_to_KV_maxILi64EEvPK7__half2Piiii.private_seg_size, 0
	.set _ZL25flash_attn_mask_to_KV_maxILi64EEvPK7__half2Piiii.uses_vcc, 1
	.set _ZL25flash_attn_mask_to_KV_maxILi64EEvPK7__half2Piiii.uses_flat_scratch, 0
	.set _ZL25flash_attn_mask_to_KV_maxILi64EEvPK7__half2Piiii.has_dyn_sized_stack, 0
	.set _ZL25flash_attn_mask_to_KV_maxILi64EEvPK7__half2Piiii.has_recursion, 0
	.set _ZL25flash_attn_mask_to_KV_maxILi64EEvPK7__half2Piiii.has_indirect_call, 0
	.section	.AMDGPU.csdata,"",@progbits
; Kernel info:
; codeLenInByte = 7440
; TotalNumSgprs: 107
; NumVgprs: 8
; ScratchSize: 0
; MemoryBound: 0
; FloatMode: 240
; IeeeMode: 1
; LDSByteSize: 128 bytes/workgroup (compile time only)
; SGPRBlocks: 0
; VGPRBlocks: 0
; NumSGPRsForWavesPerEU: 107
; NumVGPRsForWavesPerEU: 8
; NamedBarCnt: 0
; Occupancy: 16
; WaveLimiterHint : 0
; COMPUTE_PGM_RSRC2:SCRATCH_EN: 0
; COMPUTE_PGM_RSRC2:USER_SGPR: 2
; COMPUTE_PGM_RSRC2:TRAP_HANDLER: 0
; COMPUTE_PGM_RSRC2:TGID_X_EN: 1
; COMPUTE_PGM_RSRC2:TGID_Y_EN: 1
; COMPUTE_PGM_RSRC2:TGID_Z_EN: 0
; COMPUTE_PGM_RSRC2:TIDIG_COMP_CNT: 0
	.section	.text._ZL33flash_attn_stream_k_fixup_uniformILi64ELi64ELi1EEvPfPK15HIP_vector_typeIfLj2EEiiiiiiS1_IjLj3EES5_S5_,"axG",@progbits,_ZL33flash_attn_stream_k_fixup_uniformILi64ELi64ELi1EEvPfPK15HIP_vector_typeIfLj2EEiiiiiiS1_IjLj3EES5_S5_,comdat
	.globl	_ZL33flash_attn_stream_k_fixup_uniformILi64ELi64ELi1EEvPfPK15HIP_vector_typeIfLj2EEiiiiiiS1_IjLj3EES5_S5_ ; -- Begin function _ZL33flash_attn_stream_k_fixup_uniformILi64ELi64ELi1EEvPfPK15HIP_vector_typeIfLj2EEiiiiiiS1_IjLj3EES5_S5_
	.p2align	8
	.type	_ZL33flash_attn_stream_k_fixup_uniformILi64ELi64ELi1EEvPfPK15HIP_vector_typeIfLj2EEiiiiiiS1_IjLj3EES5_S5_,@function
_ZL33flash_attn_stream_k_fixup_uniformILi64ELi64ELi1EEvPfPK15HIP_vector_typeIfLj2EEiiiiiiS1_IjLj3EES5_S5_: ; @_ZL33flash_attn_stream_k_fixup_uniformILi64ELi64ELi1EEvPfPK15HIP_vector_typeIfLj2EEiiiiiiS1_IjLj3EES5_S5_
; %bb.0:
	s_load_b256 s[4:11], s[0:1], 0x1c
	s_bfe_u32 s2, ttmp6, 0x40014
	s_lshr_b32 s3, ttmp7, 16
	s_add_co_i32 s2, s2, 1
	s_bfe_u32 s13, ttmp6, 0x40010
	s_mul_i32 s2, s3, s2
	s_bfe_u32 s12, ttmp6, 0x40008
	s_and_b32 s14, ttmp7, 0xffff
	s_add_co_i32 s13, s13, 1
	s_bfe_u32 s15, ttmp6, 0x4000c
	s_add_co_i32 s2, s12, s2
	s_mul_i32 s12, s14, s13
	s_bfe_u32 s13, ttmp6, 0x40004
	s_add_co_i32 s15, s15, 1
	s_add_co_i32 s13, s13, s12
	s_and_b32 s12, ttmp6, 15
	s_mul_i32 s15, ttmp9, s15
	s_getreg_b32 s20, hwreg(HW_REG_IB_STS2, 6, 4)
	s_add_co_i32 s12, s12, s15
	s_load_b128 s[16:19], s[0:1], 0x3c
	s_cmp_eq_u32 s20, 0
	s_cselect_b32 s12, ttmp9, s12
	s_cselect_b32 s13, s14, s13
	s_wait_kmcnt 0x0
	s_mul_hi_u32 s7, s7, s12
	s_cselect_b32 s14, s3, s2
	s_add_co_i32 s2, s12, s7
	s_delay_alu instid0(SALU_CYCLE_1) | instskip(NEXT) | instid1(SALU_CYCLE_1)
	s_lshr_b32 s7, s2, s8
	s_mul_i32 s2, s7, s9
	s_delay_alu instid0(SALU_CYCLE_1) | instskip(NEXT) | instid1(SALU_CYCLE_1)
	s_sub_co_i32 s8, s12, s2
	s_mul_hi_u32 s2, s8, s10
	s_delay_alu instid0(SALU_CYCLE_1) | instskip(SKIP_2) | instid1(SALU_CYCLE_1)
	s_add_co_i32 s9, s8, s2
	s_load_b64 s[2:3], s[0:1], 0x10
	s_lshr_b32 s15, s9, s11
	s_mul_i32 s9, s15, s16
	s_delay_alu instid0(SALU_CYCLE_1) | instskip(NEXT) | instid1(SALU_CYCLE_1)
	s_sub_co_i32 s8, s8, s9
	s_mul_hi_u32 s9, s8, s17
	s_delay_alu instid0(SALU_CYCLE_1) | instskip(NEXT) | instid1(SALU_CYCLE_1)
	s_add_co_i32 s9, s8, s9
	s_lshr_b32 s16, s9, s18
	s_delay_alu instid0(SALU_CYCLE_1) | instskip(NEXT) | instid1(SALU_CYCLE_1)
	s_mul_i32 s9, s16, s19
	s_sub_co_i32 s17, s8, s9
	s_delay_alu instid0(SALU_CYCLE_1) | instskip(NEXT) | instid1(SALU_CYCLE_1)
	s_lshl_b32 s8, s17, 6
	s_add_co_i32 s8, s8, s13
	s_wait_kmcnt 0x0
	s_cmp_lt_i32 s8, s2
	s_cselect_b32 s8, -1, 0
	s_add_co_i32 s9, s16, s14
	s_delay_alu instid0(SALU_CYCLE_1) | instskip(SKIP_1) | instid1(SALU_CYCLE_1)
	s_cmp_lt_i32 s9, s5
	s_cselect_b32 s9, -1, 0
	s_and_b32 s8, s8, s9
	s_delay_alu instid0(SALU_CYCLE_1)
	s_and_not1_b32 vcc_lo, exec_lo, s8
	s_cbranch_vccnz .LBB54_6
; %bb.1:
	s_mul_i32 s2, s7, s2
	s_load_b128 s[8:11], s[0:1], 0x0
	s_wait_xcnt 0x0
	s_add_co_i32 s0, s2, s13
	s_mul_i32 s15, s15, s5
	s_mul_i32 s0, s0, s3
	;; [unrolled: 1-line block ×3, first 2 shown]
	s_add_co_i32 s0, s0, s14
	s_lshl_b32 s1, s1, 12
	s_add_co_i32 s0, s0, s15
	s_mul_i32 s7, s6, s12
	s_add_co_i32 s0, s0, s16
	s_add_co_i32 s5, s7, s6
	s_lshl_b32 s0, s0, 6
	s_add_co_i32 s13, s13, s14
	s_add_co_i32 s1, s1, s0
	s_lshl_b32 s0, s5, 6
	v_or_b32_e32 v4, s1, v0
	s_add_co_i32 s0, s13, s0
	s_add_co_i32 s2, s5, -2
	s_sub_co_i32 s0, s0, 64
	s_delay_alu instid0(SALU_CYCLE_1)
	s_ashr_i32 s1, s0, 31
	s_wait_kmcnt 0x0
	global_load_b32 v3, v4, s[8:9] scale_offset
	s_lshl_b64 s[0:1], s[0:1], 3
	v_ashrrev_i32_e32 v5, 31, v4
	s_add_nc_u64 s[0:1], s[10:11], s[0:1]
	s_cmp_lt_i32 s2, s7
	s_load_b32 s14, s[0:1], 0x4
	s_cbranch_scc1 .LBB54_4
; %bb.2:
	s_wait_xcnt 0x0
	s_load_b32 s0, s[0:1], 0x0
	s_add_co_i32 s12, s12, 1
	s_lshl_b32 s3, s13, 6
	s_wait_xcnt 0x0
	s_mul_i32 s1, s6, s12
	s_lshl_b32 s2, s4, 8
	s_lshl_b32 s6, s1, 12
	;; [unrolled: 1-line block ×3, first 2 shown]
	s_add_co_i32 s6, s3, s6
	s_ashr_i32 s3, s2, 31
	s_wait_kmcnt 0x0
	v_dual_mov_b32 v2, s14 :: v_dual_bitop2_b32 v0, s6, v0 bitop3:0x54
	s_add_co_i32 s1, s13, s1
	s_lshl_b32 s4, s4, 6
	s_lshl_b64 s[2:3], s[2:3], 2
	s_delay_alu instid0(VALU_DEP_1)
	v_add_nc_u32_e32 v0, 0xffffe000, v0
	s_add_co_i32 s4, s1, s4
	s_add_nc_u64 s[2:3], s[10:11], s[2:3]
	s_add_co_i32 s1, s5, -1
	s_addk_co_i32 s4, 0xff80
.LBB54_3:                               ; =>This Inner Loop Header: Depth=1
	global_load_b32 v7, v0, s[2:3] scale_offset
	s_ashr_i32 s5, s4, 31
	v_max_num_f32_e64 v1, s0, s0
	s_lshl_b64 s[12:13], s[4:5], 3
	s_delay_alu instid0(SALU_CYCLE_1) | instskip(SKIP_1) | instid1(VALU_DEP_1)
	s_add_nc_u64 s[12:13], s[10:11], s[12:13]
	s_load_b64 s[12:13], s[12:13], 0x0
	v_readfirstlane_b32 s5, v1
	v_add_nc_u32_e32 v0, 0xfffff000, v0
	s_wait_kmcnt 0x0
	v_max_num_f32_e64 v1, s12, s12
	s_delay_alu instid0(VALU_DEP_1) | instskip(SKIP_1) | instid1(SALU_CYCLE_3)
	v_readfirstlane_b32 s6, v1
	s_max_num_f32 s5, s5, s6
	s_sub_f32 s0, s0, s5
	s_sub_f32 s6, s12, s5
	s_delay_alu instid0(SALU_CYCLE_2) | instskip(NEXT) | instid1(SALU_CYCLE_2)
	s_mul_f32 s12, s0, 0x3fb8aa3b
	s_mul_f32 s14, s6, 0x3fb8aa3b
	s_delay_alu instid0(SALU_CYCLE_2)
	s_xor_b32 s15, s12, 0x80000000
	s_rndne_f32 s16, s12
	s_fmamk_f32 s15, s0, 0x3fb8aa3b, s15
	s_cmp_nlt_f32 s0, 0xc2ce8ed0
	s_rndne_f32 s17, s14
	s_sub_f32 s12, s12, s16
	s_fmamk_f32 s15, s0, 0x32a5705f, s15
	s_cselect_b32 vcc_lo, -1, 0
	s_cmp_ngt_f32 s0, 0x42b17218
	s_delay_alu instid0(SALU_CYCLE_1) | instskip(SKIP_2) | instid1(SALU_CYCLE_1)
	s_add_f32 s12, s12, s15
	s_cvt_i32_f32 s15, s16
	s_sub_f32 s16, s14, s17
	v_s_exp_f32 s12, s12
	v_nop
	s_delay_alu instid0(TRANS32_DEP_1) | instskip(SKIP_1) | instid1(VALU_DEP_1)
	v_ldexp_f32 v1, s12, s15
	s_cvt_i32_f32 s12, s17
	v_cndmask_b32_e32 v1, 0, v1, vcc_lo
	s_cselect_b32 vcc_lo, -1, 0
	s_cmp_ge_f32 s0, 0xc1a00000
	s_delay_alu instid0(VALU_DEP_1)
	v_cndmask_b32_e32 v1, 0x7f800000, v1, vcc_lo
	s_cselect_b32 vcc_lo, -1, 0
	s_xor_b32 s0, s14, 0x80000000
	s_cmp_nlt_f32 s6, 0xc2ce8ed0
	s_fmamk_f32 s0, s6, 0x3fb8aa3b, s0
	v_cndmask_b32_e32 v10, 0, v1, vcc_lo
	s_delay_alu instid0(SALU_CYCLE_2) | instskip(NEXT) | instid1(SALU_CYCLE_3)
	s_fmamk_f32 s0, s6, 0x32a5705f, s0
	s_add_f32 s0, s16, s0
	s_delay_alu instid0(SALU_CYCLE_3) | instskip(SKIP_1) | instid1(TRANS32_DEP_1)
	v_s_exp_f32 s0, s0
	v_nop
	v_ldexp_f32 v6, s0, s12
	s_cselect_b32 s0, -1, 0
	s_cmp_ngt_f32 s6, 0x42b17218
	s_delay_alu instid0(VALU_DEP_1) | instskip(SKIP_2) | instid1(VALU_DEP_1)
	v_cndmask_b32_e64 v6, 0, v6, s0
	s_cselect_b32 s0, -1, 0
	s_cmp_ge_f32 s6, 0xc1a00000
	v_cndmask_b32_e64 v8, 0x7f800000, v6, s0
	s_cselect_b32 s0, -1, 0
	v_mov_b32_e32 v6, s13
	s_add_co_i32 s1, s1, -1
	s_sub_co_i32 s4, s4, 64
	v_cndmask_b32_e64 v8, 0, v8, s0
	s_cmp_le_i32 s1, s7
	s_mov_b32 s0, s5
	s_wait_loadcnt 0x0
	s_delay_alu instid0(VALU_DEP_1) | instskip(NEXT) | instid1(VALU_DEP_1)
	v_pk_mul_f32 v[6:7], v[6:7], v[8:9] op_sel_hi:[1,0]
	v_pk_fma_f32 v[2:3], v[2:3], v[10:11], v[6:7] op_sel_hi:[1,0,1]
	s_cbranch_scc0 .LBB54_3
	s_branch .LBB54_5
.LBB54_4:
	s_wait_kmcnt 0x0
	v_mov_b32_e32 v2, s14
.LBB54_5:
	v_lshl_add_u64 v[0:1], v[4:5], 2, s[8:9]
	s_wait_loadcnt 0x0
	s_delay_alu instid0(VALU_DEP_2) | instskip(NEXT) | instid1(VALU_DEP_1)
	v_div_scale_f32 v4, null, v2, v2, v3
	v_rcp_f32_e32 v5, v4
	v_nop
	s_delay_alu instid0(TRANS32_DEP_1) | instskip(NEXT) | instid1(VALU_DEP_1)
	v_fma_f32 v6, -v4, v5, 1.0
	v_fmac_f32_e32 v5, v6, v5
	v_div_scale_f32 v6, vcc_lo, v3, v2, v3
	s_delay_alu instid0(VALU_DEP_1) | instskip(NEXT) | instid1(VALU_DEP_1)
	v_mul_f32_e32 v7, v6, v5
	v_fma_f32 v8, -v4, v7, v6
	s_delay_alu instid0(VALU_DEP_1) | instskip(NEXT) | instid1(VALU_DEP_1)
	v_fmac_f32_e32 v7, v8, v5
	v_fma_f32 v4, -v4, v7, v6
	s_delay_alu instid0(VALU_DEP_1) | instskip(NEXT) | instid1(VALU_DEP_1)
	v_div_fmas_f32 v4, v4, v5, v7
	v_div_fixup_f32 v2, v4, v2, v3
	global_store_b32 v[0:1], v2, off
.LBB54_6:
	s_endpgm
	.section	.rodata,"a",@progbits
	.p2align	6, 0x0
	.amdhsa_kernel _ZL33flash_attn_stream_k_fixup_uniformILi64ELi64ELi1EEvPfPK15HIP_vector_typeIfLj2EEiiiiiiS1_IjLj3EES5_S5_
		.amdhsa_group_segment_fixed_size 0
		.amdhsa_private_segment_fixed_size 0
		.amdhsa_kernarg_size 76
		.amdhsa_user_sgpr_count 2
		.amdhsa_user_sgpr_dispatch_ptr 0
		.amdhsa_user_sgpr_queue_ptr 0
		.amdhsa_user_sgpr_kernarg_segment_ptr 1
		.amdhsa_user_sgpr_dispatch_id 0
		.amdhsa_user_sgpr_kernarg_preload_length 0
		.amdhsa_user_sgpr_kernarg_preload_offset 0
		.amdhsa_user_sgpr_private_segment_size 0
		.amdhsa_wavefront_size32 1
		.amdhsa_uses_dynamic_stack 0
		.amdhsa_enable_private_segment 0
		.amdhsa_system_sgpr_workgroup_id_x 1
		.amdhsa_system_sgpr_workgroup_id_y 1
		.amdhsa_system_sgpr_workgroup_id_z 1
		.amdhsa_system_sgpr_workgroup_info 0
		.amdhsa_system_vgpr_workitem_id 0
		.amdhsa_next_free_vgpr 12
		.amdhsa_next_free_sgpr 21
		.amdhsa_named_barrier_count 0
		.amdhsa_reserve_vcc 1
		.amdhsa_float_round_mode_32 0
		.amdhsa_float_round_mode_16_64 0
		.amdhsa_float_denorm_mode_32 3
		.amdhsa_float_denorm_mode_16_64 3
		.amdhsa_fp16_overflow 0
		.amdhsa_memory_ordered 1
		.amdhsa_forward_progress 1
		.amdhsa_inst_pref_size 9
		.amdhsa_round_robin_scheduling 0
		.amdhsa_exception_fp_ieee_invalid_op 0
		.amdhsa_exception_fp_denorm_src 0
		.amdhsa_exception_fp_ieee_div_zero 0
		.amdhsa_exception_fp_ieee_overflow 0
		.amdhsa_exception_fp_ieee_underflow 0
		.amdhsa_exception_fp_ieee_inexact 0
		.amdhsa_exception_int_div_zero 0
	.end_amdhsa_kernel
	.section	.text._ZL33flash_attn_stream_k_fixup_uniformILi64ELi64ELi1EEvPfPK15HIP_vector_typeIfLj2EEiiiiiiS1_IjLj3EES5_S5_,"axG",@progbits,_ZL33flash_attn_stream_k_fixup_uniformILi64ELi64ELi1EEvPfPK15HIP_vector_typeIfLj2EEiiiiiiS1_IjLj3EES5_S5_,comdat
.Lfunc_end54:
	.size	_ZL33flash_attn_stream_k_fixup_uniformILi64ELi64ELi1EEvPfPK15HIP_vector_typeIfLj2EEiiiiiiS1_IjLj3EES5_S5_, .Lfunc_end54-_ZL33flash_attn_stream_k_fixup_uniformILi64ELi64ELi1EEvPfPK15HIP_vector_typeIfLj2EEiiiiiiS1_IjLj3EES5_S5_
                                        ; -- End function
	.set _ZL33flash_attn_stream_k_fixup_uniformILi64ELi64ELi1EEvPfPK15HIP_vector_typeIfLj2EEiiiiiiS1_IjLj3EES5_S5_.num_vgpr, 12
	.set _ZL33flash_attn_stream_k_fixup_uniformILi64ELi64ELi1EEvPfPK15HIP_vector_typeIfLj2EEiiiiiiS1_IjLj3EES5_S5_.num_agpr, 0
	.set _ZL33flash_attn_stream_k_fixup_uniformILi64ELi64ELi1EEvPfPK15HIP_vector_typeIfLj2EEiiiiiiS1_IjLj3EES5_S5_.numbered_sgpr, 21
	.set _ZL33flash_attn_stream_k_fixup_uniformILi64ELi64ELi1EEvPfPK15HIP_vector_typeIfLj2EEiiiiiiS1_IjLj3EES5_S5_.num_named_barrier, 0
	.set _ZL33flash_attn_stream_k_fixup_uniformILi64ELi64ELi1EEvPfPK15HIP_vector_typeIfLj2EEiiiiiiS1_IjLj3EES5_S5_.private_seg_size, 0
	.set _ZL33flash_attn_stream_k_fixup_uniformILi64ELi64ELi1EEvPfPK15HIP_vector_typeIfLj2EEiiiiiiS1_IjLj3EES5_S5_.uses_vcc, 1
	.set _ZL33flash_attn_stream_k_fixup_uniformILi64ELi64ELi1EEvPfPK15HIP_vector_typeIfLj2EEiiiiiiS1_IjLj3EES5_S5_.uses_flat_scratch, 0
	.set _ZL33flash_attn_stream_k_fixup_uniformILi64ELi64ELi1EEvPfPK15HIP_vector_typeIfLj2EEiiiiiiS1_IjLj3EES5_S5_.has_dyn_sized_stack, 0
	.set _ZL33flash_attn_stream_k_fixup_uniformILi64ELi64ELi1EEvPfPK15HIP_vector_typeIfLj2EEiiiiiiS1_IjLj3EES5_S5_.has_recursion, 0
	.set _ZL33flash_attn_stream_k_fixup_uniformILi64ELi64ELi1EEvPfPK15HIP_vector_typeIfLj2EEiiiiiiS1_IjLj3EES5_S5_.has_indirect_call, 0
	.section	.AMDGPU.csdata,"",@progbits
; Kernel info:
; codeLenInByte = 1080
; TotalNumSgprs: 23
; NumVgprs: 12
; ScratchSize: 0
; MemoryBound: 0
; FloatMode: 240
; IeeeMode: 1
; LDSByteSize: 0 bytes/workgroup (compile time only)
; SGPRBlocks: 0
; VGPRBlocks: 0
; NumSGPRsForWavesPerEU: 23
; NumVGPRsForWavesPerEU: 12
; NamedBarCnt: 0
; Occupancy: 16
; WaveLimiterHint : 0
; COMPUTE_PGM_RSRC2:SCRATCH_EN: 0
; COMPUTE_PGM_RSRC2:USER_SGPR: 2
; COMPUTE_PGM_RSRC2:TRAP_HANDLER: 0
; COMPUTE_PGM_RSRC2:TGID_X_EN: 1
; COMPUTE_PGM_RSRC2:TGID_Y_EN: 1
; COMPUTE_PGM_RSRC2:TGID_Z_EN: 1
; COMPUTE_PGM_RSRC2:TIDIG_COMP_CNT: 0
	.section	.text._ZL33flash_attn_stream_k_fixup_generalILi64ELi64ELi1EEvPfPK15HIP_vector_typeIfLj2EEiiiiS1_IjLj3EES5_S5_S5_,"axG",@progbits,_ZL33flash_attn_stream_k_fixup_generalILi64ELi64ELi1EEvPfPK15HIP_vector_typeIfLj2EEiiiiS1_IjLj3EES5_S5_S5_,comdat
	.globl	_ZL33flash_attn_stream_k_fixup_generalILi64ELi64ELi1EEvPfPK15HIP_vector_typeIfLj2EEiiiiS1_IjLj3EES5_S5_S5_ ; -- Begin function _ZL33flash_attn_stream_k_fixup_generalILi64ELi64ELi1EEvPfPK15HIP_vector_typeIfLj2EEiiiiS1_IjLj3EES5_S5_S5_
	.p2align	8
	.type	_ZL33flash_attn_stream_k_fixup_generalILi64ELi64ELi1EEvPfPK15HIP_vector_typeIfLj2EEiiiiS1_IjLj3EES5_S5_S5_,@function
_ZL33flash_attn_stream_k_fixup_generalILi64ELi64ELi1EEvPfPK15HIP_vector_typeIfLj2EEiiiiS1_IjLj3EES5_S5_S5_: ; @_ZL33flash_attn_stream_k_fixup_generalILi64ELi64ELi1EEvPfPK15HIP_vector_typeIfLj2EEiiiiS1_IjLj3EES5_S5_S5_
; %bb.0:
	s_clause 0x1
	s_load_b128 s[4:7], s[0:1], 0x10
	s_load_b32 s16, s[0:1], 0x50
	s_bfe_u32 s2, ttmp6, 0x4000c
	s_and_b32 s3, ttmp6, 15
	s_add_co_i32 s2, s2, 1
	s_getreg_b32 s15, hwreg(HW_REG_IB_STS2, 6, 4)
	s_mul_i32 s2, ttmp9, s2
	s_mov_b32 s17, 0
	s_add_co_i32 s3, s3, s2
	s_cmp_eq_u32 s15, 0
	s_cselect_b32 s2, ttmp9, s3
	s_delay_alu instid0(SALU_CYCLE_1) | instskip(SKIP_3) | instid1(SALU_CYCLE_1)
	s_ashr_i32 s3, s2, 31
	s_wait_kmcnt 0x0
	s_ashr_i32 s19, s7, 31
	s_mov_b32 s18, s7
	s_mul_u64 s[8:9], s[18:19], s[2:3]
	s_delay_alu instid0(SALU_CYCLE_1) | instskip(NEXT) | instid1(SALU_CYCLE_1)
	s_and_b64 s[10:11], s[8:9], 0xffffffff00000000
	s_cmp_lg_u64 s[10:11], 0
	s_cbranch_scc0 .LBB55_21
; %bb.1:
	s_add_nc_u64 s[10:11], s[16:17], 0
	s_mov_b32 s23, s17
	s_xor_b64 s[10:11], s[10:11], 0
	s_mov_b32 s27, s17
	s_cvt_f32_u32 s3, s10
	s_cvt_f32_u32 s7, s11
	s_sub_nc_u64 s[20:21], 0, s[10:11]
	s_delay_alu instid0(SALU_CYCLE_2) | instskip(NEXT) | instid1(SALU_CYCLE_3)
	s_fmamk_f32 s3, s7, 0x4f800000, s3
	v_s_rcp_f32 s3, s3
	s_delay_alu instid0(TRANS32_DEP_1) | instskip(NEXT) | instid1(SALU_CYCLE_3)
	s_mul_f32 s3, s3, 0x5f7ffffc
	s_mul_f32 s7, s3, 0x2f800000
	s_delay_alu instid0(SALU_CYCLE_3) | instskip(NEXT) | instid1(SALU_CYCLE_3)
	s_trunc_f32 s7, s7
	s_fmamk_f32 s3, s7, 0xcf800000, s3
	s_cvt_u32_f32 s13, s7
	s_delay_alu instid0(SALU_CYCLE_2) | instskip(NEXT) | instid1(SALU_CYCLE_3)
	s_cvt_u32_f32 s12, s3
	s_mul_u64 s[24:25], s[20:21], s[12:13]
	s_delay_alu instid0(SALU_CYCLE_1)
	s_mul_hi_u32 s29, s12, s25
	s_mul_i32 s28, s12, s25
	s_mul_hi_u32 s22, s12, s24
	s_mul_i32 s7, s13, s24
	s_add_nc_u64 s[22:23], s[22:23], s[28:29]
	s_mul_hi_u32 s3, s13, s24
	s_mul_hi_u32 s14, s13, s25
	s_add_co_u32 s7, s22, s7
	s_add_co_ci_u32 s26, s23, s3
	s_mul_i32 s24, s13, s25
	s_add_co_ci_u32 s25, s14, 0
	s_delay_alu instid0(SALU_CYCLE_1) | instskip(SKIP_3) | instid1(SALU_CYCLE_1)
	s_add_nc_u64 s[22:23], s[26:27], s[24:25]
	s_mov_b32 s25, s17
	s_add_co_u32 s12, s12, s22
	s_cselect_b32 s3, -1, 0
	s_cmp_lg_u32 s3, 0
	s_add_co_ci_u32 s13, s13, s23
	s_mov_b32 s23, s17
	s_mul_u64 s[20:21], s[20:21], s[12:13]
	s_delay_alu instid0(SALU_CYCLE_1)
	s_mul_hi_u32 s27, s12, s21
	s_mul_i32 s26, s12, s21
	s_mul_hi_u32 s22, s12, s20
	s_mul_i32 s7, s13, s20
	s_add_nc_u64 s[22:23], s[22:23], s[26:27]
	s_mul_hi_u32 s3, s13, s20
	s_mul_hi_u32 s14, s13, s21
	s_add_co_u32 s7, s22, s7
	s_add_co_ci_u32 s24, s23, s3
	s_mul_i32 s20, s13, s21
	s_add_co_ci_u32 s21, s14, 0
	s_mov_b32 s23, s17
	s_add_nc_u64 s[20:21], s[24:25], s[20:21]
	s_delay_alu instid0(SALU_CYCLE_1) | instskip(SKIP_1) | instid1(SALU_CYCLE_1)
	s_add_co_u32 s3, s12, s20
	s_cselect_b32 s7, -1, 0
	s_cmp_lg_u32 s7, 0
	s_add_co_ci_u32 s7, s13, s21
	s_ashr_i32 s12, s9, 31
	s_delay_alu instid0(SALU_CYCLE_1) | instskip(NEXT) | instid1(SALU_CYCLE_1)
	s_mov_b32 s13, s12
	s_add_nc_u64 s[20:21], s[8:9], s[12:13]
	s_delay_alu instid0(SALU_CYCLE_1) | instskip(NEXT) | instid1(SALU_CYCLE_1)
	s_xor_b64 s[20:21], s[20:21], s[12:13]
	s_mul_hi_u32 s27, s20, s7
	s_mul_i32 s26, s20, s7
	s_mul_hi_u32 s22, s20, s3
	s_mul_hi_u32 s14, s21, s3
	s_mul_i32 s3, s21, s3
	s_add_nc_u64 s[22:23], s[22:23], s[26:27]
	s_mul_hi_u32 s9, s21, s7
	s_add_co_u32 s3, s22, s3
	s_add_co_ci_u32 s24, s23, s14
	s_mul_i32 s26, s21, s7
	s_add_co_ci_u32 s27, s9, 0
	s_delay_alu instid0(SALU_CYCLE_1) | instskip(NEXT) | instid1(SALU_CYCLE_1)
	s_add_nc_u64 s[22:23], s[24:25], s[26:27]
	s_and_b64 s[24:25], s[22:23], 0xffffffff00000000
	s_delay_alu instid0(SALU_CYCLE_1) | instskip(NEXT) | instid1(SALU_CYCLE_1)
	s_or_b32 s24, s24, s22
	s_mul_u64 s[22:23], s[10:11], s[24:25]
	s_add_nc_u64 s[26:27], s[24:25], 1
	s_sub_co_u32 s3, s20, s22
	s_cselect_b32 s7, -1, 0
	s_sub_co_i32 s9, s21, s23
	s_cmp_lg_u32 s7, 0
	s_add_nc_u64 s[28:29], s[24:25], 2
	s_sub_co_ci_u32 s9, s9, s11
	s_sub_co_u32 s14, s3, s10
	s_cselect_b32 s20, -1, 0
	s_delay_alu instid0(SALU_CYCLE_1) | instskip(SKIP_1) | instid1(SALU_CYCLE_1)
	s_cmp_lg_u32 s20, 0
	s_sub_co_ci_u32 s9, s9, 0
	s_cmp_ge_u32 s9, s11
	s_cselect_b32 s20, -1, 0
	s_cmp_ge_u32 s14, s10
	s_cselect_b32 s14, -1, 0
	s_cmp_eq_u32 s9, s11
	s_cselect_b32 s9, s14, s20
	s_delay_alu instid0(SALU_CYCLE_1) | instskip(SKIP_4) | instid1(SALU_CYCLE_1)
	s_cmp_lg_u32 s9, 0
	s_cselect_b32 s9, s28, s26
	s_cselect_b32 s14, s29, s27
	s_cmp_lg_u32 s7, 0
	s_sub_co_ci_u32 s7, s21, s23
	s_cmp_ge_u32 s7, s11
	s_cselect_b32 s20, -1, 0
	s_cmp_ge_u32 s3, s10
	s_cselect_b32 s3, -1, 0
	s_cmp_eq_u32 s7, s11
	s_cselect_b32 s3, s3, s20
	s_delay_alu instid0(SALU_CYCLE_1) | instskip(SKIP_4) | instid1(SALU_CYCLE_1)
	s_cmp_lg_u32 s3, 0
	s_mov_b32 s3, s17
	s_cselect_b32 s11, s14, s25
	s_cselect_b32 s10, s9, s24
	s_xor_b64 s[12:13], s[12:13], 0
	s_xor_b64 s[10:11], s[10:11], s[12:13]
	s_delay_alu instid0(SALU_CYCLE_1)
	s_sub_nc_u64 s[20:21], s[10:11], s[12:13]
	s_and_not1_b32 vcc_lo, exec_lo, s3
	s_cbranch_vccnz .LBB55_3
.LBB55_2:
	v_cvt_f32_u32_e32 v1, s16
	s_sub_co_i32 s7, 0, s16
	s_mov_b32 s21, 0
	s_delay_alu instid0(VALU_DEP_1) | instskip(SKIP_1) | instid1(TRANS32_DEP_1)
	v_rcp_iflag_f32_e32 v1, v1
	v_nop
	v_mul_f32_e32 v1, 0x4f7ffffe, v1
	s_delay_alu instid0(VALU_DEP_1) | instskip(NEXT) | instid1(VALU_DEP_1)
	v_cvt_u32_f32_e32 v1, v1
	v_readfirstlane_b32 s3, v1
	s_mul_i32 s7, s7, s3
	s_delay_alu instid0(SALU_CYCLE_1) | instskip(NEXT) | instid1(SALU_CYCLE_1)
	s_mul_hi_u32 s7, s3, s7
	s_add_co_i32 s3, s3, s7
	s_delay_alu instid0(SALU_CYCLE_1) | instskip(NEXT) | instid1(SALU_CYCLE_1)
	s_mul_hi_u32 s3, s8, s3
	s_mul_i32 s7, s3, s16
	s_delay_alu instid0(SALU_CYCLE_1)
	s_sub_co_i32 s7, s8, s7
	s_add_co_i32 s8, s3, 1
	s_sub_co_i32 s9, s7, s16
	s_cmp_ge_u32 s7, s16
	s_cselect_b32 s3, s8, s3
	s_cselect_b32 s7, s9, s7
	s_add_co_i32 s8, s3, 1
	s_cmp_ge_u32 s7, s16
	s_cselect_b32 s20, s8, s3
.LBB55_3:
	s_add_co_i32 s8, s2, 1
	s_delay_alu instid0(SALU_CYCLE_1) | instskip(NEXT) | instid1(SALU_CYCLE_1)
	s_ashr_i32 s9, s8, 31
	s_mul_u64 s[8:9], s[18:19], s[8:9]
	s_delay_alu instid0(SALU_CYCLE_1) | instskip(NEXT) | instid1(SALU_CYCLE_1)
	s_and_b64 s[10:11], s[8:9], 0xffffffff00000000
	s_cmp_lg_u64 s[10:11], 0
	s_cbranch_scc0 .LBB55_22
; %bb.4:
	s_add_nc_u64 s[10:11], s[16:17], 0
	s_delay_alu instid0(SALU_CYCLE_1) | instskip(SKIP_4) | instid1(SALU_CYCLE_2)
	s_xor_b64 s[12:13], s[10:11], 0
	s_mov_b32 s11, 0
	s_cvt_f32_u32 s3, s12
	s_cvt_f32_u32 s7, s13
	s_sub_nc_u64 s[24:25], 0, s[12:13]
	s_fmamk_f32 s3, s7, 0x4f800000, s3
	s_delay_alu instid0(SALU_CYCLE_3) | instskip(NEXT) | instid1(TRANS32_DEP_1)
	v_s_rcp_f32 s3, s3
	s_mul_f32 s3, s3, 0x5f7ffffc
	s_delay_alu instid0(SALU_CYCLE_3) | instskip(NEXT) | instid1(SALU_CYCLE_3)
	s_mul_f32 s7, s3, 0x2f800000
	s_trunc_f32 s7, s7
	s_delay_alu instid0(SALU_CYCLE_3) | instskip(SKIP_1) | instid1(SALU_CYCLE_2)
	s_fmamk_f32 s3, s7, 0xcf800000, s3
	s_cvt_u32_f32 s23, s7
	s_cvt_u32_f32 s22, s3
	s_delay_alu instid0(SALU_CYCLE_3) | instskip(NEXT) | instid1(SALU_CYCLE_1)
	s_mul_u64 s[26:27], s[24:25], s[22:23]
	s_mul_hi_u32 s29, s22, s27
	s_mul_i32 s28, s22, s27
	s_mul_hi_u32 s10, s22, s26
	s_mul_i32 s7, s23, s26
	s_add_nc_u64 s[28:29], s[10:11], s[28:29]
	s_mul_hi_u32 s3, s23, s26
	s_mul_hi_u32 s14, s23, s27
	s_add_co_u32 s7, s28, s7
	s_add_co_ci_u32 s10, s29, s3
	s_mul_i32 s26, s23, s27
	s_add_co_ci_u32 s27, s14, 0
	s_delay_alu instid0(SALU_CYCLE_1) | instskip(NEXT) | instid1(SALU_CYCLE_1)
	s_add_nc_u64 s[26:27], s[10:11], s[26:27]
	s_add_co_u32 s22, s22, s26
	s_cselect_b32 s3, -1, 0
	s_delay_alu instid0(SALU_CYCLE_1) | instskip(SKIP_1) | instid1(SALU_CYCLE_1)
	s_cmp_lg_u32 s3, 0
	s_add_co_ci_u32 s23, s23, s27
	s_mul_u64 s[24:25], s[24:25], s[22:23]
	s_delay_alu instid0(SALU_CYCLE_1)
	s_mul_hi_u32 s27, s22, s25
	s_mul_i32 s26, s22, s25
	s_mul_hi_u32 s10, s22, s24
	s_mul_i32 s7, s23, s24
	s_add_nc_u64 s[26:27], s[10:11], s[26:27]
	s_mul_hi_u32 s3, s23, s24
	s_mul_hi_u32 s14, s23, s25
	s_add_co_u32 s7, s26, s7
	s_add_co_ci_u32 s10, s27, s3
	s_mul_i32 s24, s23, s25
	s_add_co_ci_u32 s25, s14, 0
	s_delay_alu instid0(SALU_CYCLE_1) | instskip(NEXT) | instid1(SALU_CYCLE_1)
	s_add_nc_u64 s[24:25], s[10:11], s[24:25]
	s_add_co_u32 s3, s22, s24
	s_cselect_b32 s7, -1, 0
	s_delay_alu instid0(SALU_CYCLE_1) | instskip(SKIP_2) | instid1(SALU_CYCLE_1)
	s_cmp_lg_u32 s7, 0
	s_add_co_ci_u32 s7, s23, s25
	s_ashr_i32 s22, s9, 31
	s_mov_b32 s23, s22
	s_delay_alu instid0(SALU_CYCLE_1) | instskip(NEXT) | instid1(SALU_CYCLE_1)
	s_add_nc_u64 s[24:25], s[8:9], s[22:23]
	s_xor_b64 s[24:25], s[24:25], s[22:23]
	s_delay_alu instid0(SALU_CYCLE_1)
	s_mul_hi_u32 s27, s24, s7
	s_mul_i32 s26, s24, s7
	s_mul_hi_u32 s10, s24, s3
	s_mul_hi_u32 s14, s25, s3
	s_mul_i32 s3, s25, s3
	s_add_nc_u64 s[26:27], s[10:11], s[26:27]
	s_mul_hi_u32 s9, s25, s7
	s_add_co_u32 s3, s26, s3
	s_add_co_ci_u32 s10, s27, s14
	s_mul_i32 s28, s25, s7
	s_add_co_ci_u32 s29, s9, 0
	s_delay_alu instid0(SALU_CYCLE_1) | instskip(NEXT) | instid1(SALU_CYCLE_1)
	s_add_nc_u64 s[26:27], s[10:11], s[28:29]
	s_and_b64 s[28:29], s[26:27], 0xffffffff00000000
	s_delay_alu instid0(SALU_CYCLE_1) | instskip(NEXT) | instid1(SALU_CYCLE_1)
	s_or_b32 s28, s28, s26
	s_mul_u64 s[26:27], s[12:13], s[28:29]
	s_add_nc_u64 s[30:31], s[28:29], 1
	s_sub_co_u32 s3, s24, s26
	s_cselect_b32 s7, -1, 0
	s_sub_co_i32 s9, s25, s27
	s_cmp_lg_u32 s7, 0
	s_add_nc_u64 s[34:35], s[28:29], 2
	s_sub_co_ci_u32 s9, s9, s13
	s_sub_co_u32 s10, s3, s12
	s_cselect_b32 s14, -1, 0
	s_delay_alu instid0(SALU_CYCLE_1) | instskip(SKIP_1) | instid1(SALU_CYCLE_1)
	s_cmp_lg_u32 s14, 0
	s_sub_co_ci_u32 s9, s9, 0
	s_cmp_ge_u32 s9, s13
	s_cselect_b32 s14, -1, 0
	s_cmp_ge_u32 s10, s12
	s_cselect_b32 s10, -1, 0
	s_cmp_eq_u32 s9, s13
	s_cselect_b32 s9, s10, s14
	s_delay_alu instid0(SALU_CYCLE_1) | instskip(SKIP_4) | instid1(SALU_CYCLE_1)
	s_cmp_lg_u32 s9, 0
	s_cselect_b32 s9, s34, s30
	s_cselect_b32 s10, s35, s31
	s_cmp_lg_u32 s7, 0
	s_sub_co_ci_u32 s7, s25, s27
	s_cmp_ge_u32 s7, s13
	s_cselect_b32 s14, -1, 0
	s_cmp_ge_u32 s3, s12
	s_cselect_b32 s3, -1, 0
	s_cmp_eq_u32 s7, s13
	s_cselect_b32 s3, s3, s14
	s_delay_alu instid0(SALU_CYCLE_1) | instskip(SKIP_3) | instid1(SALU_CYCLE_1)
	s_cmp_lg_u32 s3, 0
	s_cselect_b32 s13, s10, s29
	s_cselect_b32 s12, s9, s28
	s_xor_b64 s[22:23], s[22:23], 0
	s_xor_b64 s[12:13], s[12:13], s[22:23]
	s_delay_alu instid0(SALU_CYCLE_1)
	s_sub_nc_u64 s[24:25], s[12:13], s[22:23]
	s_load_b96 s[12:14], s[0:1], 0x44
	s_cbranch_execnz .LBB55_6
.LBB55_5:
	v_cvt_f32_u32_e32 v1, s16
	s_sub_co_i32 s7, 0, s16
	s_delay_alu instid0(VALU_DEP_1) | instskip(SKIP_1) | instid1(TRANS32_DEP_1)
	v_rcp_iflag_f32_e32 v1, v1
	v_nop
	v_mul_f32_e32 v1, 0x4f7ffffe, v1
	s_delay_alu instid0(VALU_DEP_1) | instskip(NEXT) | instid1(VALU_DEP_1)
	v_cvt_u32_f32_e32 v1, v1
	v_readfirstlane_b32 s3, v1
	s_mul_i32 s7, s7, s3
	s_delay_alu instid0(SALU_CYCLE_1) | instskip(NEXT) | instid1(SALU_CYCLE_1)
	s_mul_hi_u32 s7, s3, s7
	s_add_co_i32 s3, s3, s7
	s_delay_alu instid0(SALU_CYCLE_1) | instskip(NEXT) | instid1(SALU_CYCLE_1)
	s_mul_hi_u32 s3, s8, s3
	s_mul_i32 s7, s3, s16
	s_delay_alu instid0(SALU_CYCLE_1)
	s_sub_co_i32 s7, s8, s7
	s_add_co_i32 s8, s3, 1
	s_sub_co_i32 s9, s7, s16
	s_cmp_ge_u32 s7, s16
	s_cselect_b32 s3, s8, s3
	s_cselect_b32 s7, s9, s7
	s_add_co_i32 s8, s3, 1
	s_cmp_ge_u32 s7, s16
	s_cselect_b32 s24, s8, s3
.LBB55_6:
	s_delay_alu instid0(SALU_CYCLE_1)
	s_cmp_eq_u32 s20, s24
	s_mov_b64 s[8:9], 0xffffffff
	s_cselect_b32 s3, -1, 0
	s_and_b64 s[8:9], s[20:21], s[8:9]
	s_mov_b32 s23, 0
	s_wait_kmcnt 0x0
	s_mov_b32 s22, s12
	s_mov_b32 s25, s23
	s_mul_u64 s[10:11], s[8:9], s[22:23]
	s_delay_alu instid0(SALU_CYCLE_1) | instskip(SKIP_2) | instid1(SALU_CYCLE_1)
	s_add_co_i32 s7, s11, s20
	s_mul_u64 s[10:11], s[24:25], s[22:23]
	s_lshr_b32 s12, s7, s13
	s_mul_i32 s7, s12, s14
	s_delay_alu instid0(SALU_CYCLE_1) | instskip(SKIP_2) | instid1(SALU_CYCLE_1)
	s_cmp_eq_u32 s7, s20
	s_cselect_b32 s7, -1, 0
	s_add_co_i32 s10, s11, s24
	s_lshr_b32 s10, s10, s13
	s_delay_alu instid0(SALU_CYCLE_1)
	s_cmp_eq_u32 s12, s10
	s_mul_i32 s10, s10, s14
	s_cselect_b32 s11, -1, 0
	s_cmp_lg_u32 s10, s24
	s_cselect_b32 s10, -1, 0
	s_or_b32 s3, s3, s7
	s_and_b32 s10, s11, s10
	s_delay_alu instid0(SALU_CYCLE_1) | instskip(NEXT) | instid1(SALU_CYCLE_1)
	s_or_b32 s3, s3, s10
	s_and_b32 vcc_lo, exec_lo, s3
	s_cbranch_vccnz .LBB55_24
; %bb.7:
	s_load_b256 s[24:31], s[0:1], 0x20
	s_bfe_u32 s7, ttmp6, 0x40014
	s_bfe_u32 s33, ttmp6, 0x40010
	s_lshr_b32 s3, ttmp7, 16
	s_add_co_i32 s7, s7, 1
	s_and_b32 s21, ttmp7, 0xffff
	s_add_co_i32 s33, s33, 1
	s_bfe_u32 s10, ttmp6, 0x40008
	s_mul_i32 s7, s3, s7
	s_bfe_u32 s34, ttmp6, 0x40004
	s_mul_i32 s33, s21, s33
	s_mov_b32 s11, s23
	s_add_co_i32 s7, s10, s7
	s_add_co_i32 s34, s34, s33
	s_cmp_eq_u32 s15, 0
	s_cselect_b32 s15, s21, s34
	s_cselect_b32 s3, s3, s7
	s_wait_kmcnt 0x0
	s_mov_b32 s10, s24
	s_delay_alu instid0(SALU_CYCLE_1) | instskip(SKIP_2) | instid1(SALU_CYCLE_1)
	s_mul_u64 s[8:9], s[8:9], s[10:11]
	s_load_b32 s8, s[0:1], 0x40
	s_add_co_i32 s7, s9, s20
	s_lshr_b32 s7, s7, s25
	s_delay_alu instid0(SALU_CYCLE_1) | instskip(NEXT) | instid1(SALU_CYCLE_1)
	s_mul_i32 s9, s7, s26
	s_sub_co_i32 s9, s20, s9
	s_delay_alu instid0(SALU_CYCLE_1) | instskip(NEXT) | instid1(SALU_CYCLE_1)
	s_mul_hi_u32 s10, s9, s27
	s_add_co_i32 s10, s9, s10
	s_delay_alu instid0(SALU_CYCLE_1) | instskip(NEXT) | instid1(SALU_CYCLE_1)
	s_lshr_b32 s21, s10, s28
	s_mul_i32 s10, s21, s29
	s_delay_alu instid0(SALU_CYCLE_1) | instskip(NEXT) | instid1(SALU_CYCLE_1)
	s_sub_co_i32 s10, s9, s10
	s_mul_hi_u32 s9, s10, s30
	s_delay_alu instid0(SALU_CYCLE_1) | instskip(NEXT) | instid1(SALU_CYCLE_1)
	s_add_co_i32 s9, s10, s9
	s_lshr_b32 s24, s9, s31
	s_mov_b32 s9, s23
	s_wait_kmcnt 0x0
	s_mul_i32 s8, s24, s8
	s_delay_alu instid0(SALU_CYCLE_1) | instskip(NEXT) | instid1(SALU_CYCLE_1)
	s_sub_co_i32 s8, s10, s8
	s_mul_u64 s[10:11], s[8:9], s[22:23]
	s_delay_alu instid0(SALU_CYCLE_1) | instskip(NEXT) | instid1(SALU_CYCLE_1)
	s_add_co_i32 s8, s8, s11
	s_lshr_b32 s25, s8, s13
	s_delay_alu instid0(SALU_CYCLE_1) | instskip(NEXT) | instid1(SALU_CYCLE_1)
	s_lshl_b32 s8, s25, 6
	s_add_co_i32 s8, s8, s15
	s_delay_alu instid0(SALU_CYCLE_1) | instskip(SKIP_2) | instid1(SALU_CYCLE_1)
	s_cmp_lt_i32 s8, s4
	s_cselect_b32 s8, -1, 0
	s_add_co_i32 s9, s24, s3
	s_cmp_lt_i32 s9, s6
	s_cselect_b32 s9, -1, 0
	s_delay_alu instid0(SALU_CYCLE_1) | instskip(NEXT) | instid1(SALU_CYCLE_1)
	s_and_b32 s8, s8, s9
	s_and_not1_b32 vcc_lo, exec_lo, s8
	s_cbranch_vccnz .LBB55_24
; %bb.8:
	s_mul_i32 s4, s7, s4
	s_load_b128 s[8:11], s[0:1], 0x0
	s_wait_xcnt 0x0
	s_add_co_i32 s0, s4, s15
	s_mul_i32 s21, s21, s6
	s_mul_i32 s0, s0, s5
	;; [unrolled: 1-line block ×3, first 2 shown]
	s_add_co_i32 s0, s0, s3
	s_lshl_b32 s1, s1, 12
	s_add_co_i32 s0, s0, s21
	s_add_co_i32 s15, s15, s3
	;; [unrolled: 1-line block ×3, first 2 shown]
	v_lshl_or_b32 v6, s15, 6, v0
	s_lshl_b32 s0, s0, 6
	v_cvt_f32_u32_e32 v4, s16
	s_add_co_i32 s1, s1, s0
	s_lshl_b32 s24, s16, 8
	v_or_b32_e32 v2, s1, v0
	s_add_nc_u64 s[0:1], s[16:17], 0
	v_rcp_iflag_f32_e32 v4, v4
	s_xor_b64 s[6:7], s[0:1], 0
	s_lshl_b32 s0, s2, 6
	s_cvt_f32_u32 s3, s6
	s_add_co_i32 s0, s0, s15
	s_cvt_f32_u32 s4, s7
	s_ashr_i32 s1, s0, 31
	s_mov_b32 s25, 0
	s_lshl_b64 s[0:1], s[0:1], 3
	s_fmamk_f32 s3, s4, 0x4f800000, s3
	s_wait_kmcnt 0x0
	s_add_nc_u64 s[0:1], s[10:11], s[0:1]
	s_add_co_i32 s36, s2, -1
	s_load_b64 s[28:29], s[0:1], 0x0
	v_s_rcp_f32 s3, s3
	s_wait_xcnt 0x0
	s_lshl_b64 s[0:1], s[24:25], 2
	s_sub_nc_u64 s[34:35], 0, s[6:7]
	s_add_nc_u64 s[26:27], s[10:11], s[0:1]
	v_mul_f32_e32 v4, 0x4f7ffffe, v4
	s_delay_alu instid0(TRANS32_DEP_1) | instskip(NEXT) | instid1(VALU_DEP_1)
	s_mul_f32 s3, s3, 0x5f7ffffc
	v_cvt_u32_f32_e32 v7, v4
	s_delay_alu instid0(SALU_CYCLE_2) | instskip(NEXT) | instid1(SALU_CYCLE_3)
	s_mul_f32 s4, s3, 0x2f800000
	s_trunc_f32 s4, s4
	s_wait_kmcnt 0x0
	v_mov_b32_e32 v0, s29
	global_load_b32 v1, v2, s[8:9] scale_offset
	v_ashrrev_i32_e32 v3, 31, v2
	s_fmamk_f32 s0, s4, 0xcf800000, s3
	s_cvt_u32_f32 s31, s4
	s_wait_xcnt 0x0
	s_delay_alu instid0(VALU_DEP_1)
	v_lshl_add_u64 v[2:3], v[2:3], 2, s[8:9]
	s_cvt_u32_f32 s30, s0
	s_mov_b64 s[8:9], 0xffffffff
.LBB55_9:                               ; =>This Inner Loop Header: Depth=1
	s_ashr_i32 s37, s36, 31
                                        ; implicit-def: $sgpr40_sgpr41
	s_delay_alu instid0(SALU_CYCLE_1) | instskip(NEXT) | instid1(SALU_CYCLE_1)
	s_mul_u64 s[0:1], s[36:37], s[18:19]
	s_and_b64 s[2:3], s[0:1], 0xffffffff00000000
	s_delay_alu instid0(SALU_CYCLE_1)
	s_cmp_lg_u64 s[2:3], 0
	s_mov_b32 s2, -1
	s_cbranch_scc0 .LBB55_11
; %bb.10:                               ;   in Loop: Header=BB55_9 Depth=1
	s_mul_u64 s[2:3], s[34:35], s[30:31]
	s_delay_alu instid0(SALU_CYCLE_1)
	s_mul_hi_u32 s5, s30, s3
	s_mul_i32 s4, s30, s3
	s_mul_hi_u32 s24, s30, s2
	s_mul_hi_u32 s17, s31, s2
	s_add_nc_u64 s[4:5], s[24:25], s[4:5]
	s_mul_i32 s2, s31, s2
	s_mul_hi_u32 s21, s31, s3
	s_add_co_u32 s2, s4, s2
	s_add_co_ci_u32 s24, s5, s17
	s_add_co_ci_u32 s5, s21, 0
	s_mul_i32 s4, s31, s3
	s_delay_alu instid0(SALU_CYCLE_1) | instskip(NEXT) | instid1(SALU_CYCLE_1)
	s_add_nc_u64 s[2:3], s[24:25], s[4:5]
	s_add_co_u32 s2, s30, s2
	s_cselect_b32 s4, -1, 0
	s_delay_alu instid0(SALU_CYCLE_1) | instskip(SKIP_1) | instid1(SALU_CYCLE_1)
	s_cmp_lg_u32 s4, 0
	s_add_co_ci_u32 s3, s31, s3
	s_mul_u64 s[4:5], s[34:35], s[2:3]
	s_delay_alu instid0(SALU_CYCLE_1)
	s_mul_hi_u32 s39, s2, s5
	s_mul_i32 s38, s2, s5
	s_mul_hi_u32 s24, s2, s4
	s_mul_hi_u32 s17, s3, s4
	s_mul_i32 s4, s3, s4
	s_add_nc_u64 s[38:39], s[24:25], s[38:39]
	s_mul_hi_u32 s21, s3, s5
	s_add_co_u32 s4, s38, s4
	s_add_co_ci_u32 s24, s39, s17
	s_mul_i32 s4, s3, s5
	s_add_co_ci_u32 s5, s21, 0
	s_delay_alu instid0(SALU_CYCLE_1) | instskip(NEXT) | instid1(SALU_CYCLE_1)
	s_add_nc_u64 s[4:5], s[24:25], s[4:5]
	s_add_co_u32 s17, s2, s4
	s_cselect_b32 s2, -1, 0
	s_delay_alu instid0(SALU_CYCLE_1) | instskip(SKIP_2) | instid1(SALU_CYCLE_1)
	s_cmp_lg_u32 s2, 0
	s_add_co_ci_u32 s21, s3, s5
	s_ashr_i32 s2, s1, 31
	s_mov_b32 s3, s2
	s_delay_alu instid0(SALU_CYCLE_1) | instskip(NEXT) | instid1(SALU_CYCLE_1)
	s_add_nc_u64 s[4:5], s[0:1], s[2:3]
	s_xor_b64 s[4:5], s[4:5], s[2:3]
	s_delay_alu instid0(SALU_CYCLE_1)
	s_mul_hi_u32 s39, s4, s21
	s_mul_i32 s38, s4, s21
	s_mul_hi_u32 s24, s4, s17
	s_mul_hi_u32 s29, s5, s17
	s_mul_i32 s17, s5, s17
	s_add_nc_u64 s[38:39], s[24:25], s[38:39]
	s_mul_hi_u32 s1, s5, s21
	s_add_co_u32 s17, s38, s17
	s_add_co_ci_u32 s24, s39, s29
	s_mul_i32 s40, s5, s21
	s_add_co_ci_u32 s41, s1, 0
	s_delay_alu instid0(SALU_CYCLE_1) | instskip(NEXT) | instid1(SALU_CYCLE_1)
	s_add_nc_u64 s[38:39], s[24:25], s[40:41]
	s_and_b64 s[40:41], s[38:39], 0xffffffff00000000
	s_delay_alu instid0(SALU_CYCLE_1) | instskip(NEXT) | instid1(SALU_CYCLE_1)
	s_or_b32 s40, s40, s38
	s_mul_u64 s[38:39], s[6:7], s[40:41]
	s_add_nc_u64 s[42:43], s[40:41], 1
	s_sub_co_u32 s1, s4, s38
	s_cselect_b32 s4, -1, 0
	s_sub_co_i32 s17, s5, s39
	s_cmp_lg_u32 s4, 0
	s_add_nc_u64 s[44:45], s[40:41], 2
	s_sub_co_ci_u32 s17, s17, s7
	s_sub_co_u32 s21, s1, s6
	s_cselect_b32 s24, -1, 0
	s_delay_alu instid0(SALU_CYCLE_1) | instskip(SKIP_1) | instid1(SALU_CYCLE_1)
	s_cmp_lg_u32 s24, 0
	s_sub_co_ci_u32 s17, s17, 0
	s_cmp_ge_u32 s17, s7
	s_cselect_b32 s24, -1, 0
	s_cmp_ge_u32 s21, s6
	s_cselect_b32 s21, -1, 0
	s_cmp_eq_u32 s17, s7
	s_cselect_b32 s17, s21, s24
	s_delay_alu instid0(SALU_CYCLE_1) | instskip(SKIP_4) | instid1(SALU_CYCLE_1)
	s_cmp_lg_u32 s17, 0
	s_cselect_b32 s17, s44, s42
	s_cselect_b32 s21, s45, s43
	s_cmp_lg_u32 s4, 0
	s_sub_co_ci_u32 s4, s5, s39
	s_cmp_ge_u32 s4, s7
	s_cselect_b32 s5, -1, 0
	s_cmp_ge_u32 s1, s6
	s_cselect_b32 s1, -1, 0
	s_cmp_eq_u32 s4, s7
	s_cselect_b32 s1, s1, s5
	s_delay_alu instid0(SALU_CYCLE_1) | instskip(SKIP_3) | instid1(SALU_CYCLE_1)
	s_cmp_lg_u32 s1, 0
	s_cselect_b32 s5, s21, s41
	s_cselect_b32 s4, s17, s40
	s_xor_b64 s[2:3], s[2:3], 0
	s_xor_b64 s[4:5], s[4:5], s[2:3]
	s_delay_alu instid0(SALU_CYCLE_1)
	s_sub_nc_u64 s[40:41], s[4:5], s[2:3]
	s_mov_b32 s2, 0
.LBB55_11:                              ;   in Loop: Header=BB55_9 Depth=1
	s_delay_alu instid0(SALU_CYCLE_1)
	s_and_not1_b32 vcc_lo, exec_lo, s2
	s_cbranch_vccnz .LBB55_13
; %bb.12:                               ;   in Loop: Header=BB55_9 Depth=1
	v_readfirstlane_b32 s1, v7
	s_sub_co_i32 s2, 0, s16
	s_delay_alu instid0(SALU_CYCLE_1) | instskip(NEXT) | instid1(SALU_CYCLE_1)
	s_mul_i32 s2, s2, s1
	s_mul_hi_u32 s2, s1, s2
	s_delay_alu instid0(SALU_CYCLE_1) | instskip(NEXT) | instid1(SALU_CYCLE_1)
	s_add_co_i32 s1, s1, s2
	s_mul_hi_u32 s1, s0, s1
	s_delay_alu instid0(SALU_CYCLE_1) | instskip(NEXT) | instid1(SALU_CYCLE_1)
	s_mul_i32 s2, s1, s16
	s_sub_co_i32 s0, s0, s2
	s_add_co_i32 s2, s1, 1
	s_sub_co_i32 s3, s0, s16
	s_cmp_ge_u32 s0, s16
	s_cselect_b32 s1, s2, s1
	s_cselect_b32 s0, s3, s0
	s_add_co_i32 s2, s1, 1
	s_cmp_ge_u32 s0, s16
	s_cselect_b32 s24, s2, s1
	s_delay_alu instid0(SALU_CYCLE_1)
	s_mov_b64 s[40:41], s[24:25]
.LBB55_13:                              ;   in Loop: Header=BB55_9 Depth=1
	s_delay_alu instid0(SALU_CYCLE_1)
	s_cmp_lg_u32 s20, s40
	s_mov_b32 s0, -1
                                        ; implicit-def: $vgpr4_vgpr5
                                        ; implicit-def: $sgpr24
                                        ; implicit-def: $sgpr17
                                        ; implicit-def: $sgpr21
                                        ; implicit-def: $sgpr29
	s_cbranch_scc0 .LBB55_18
; %bb.14:                               ;   in Loop: Header=BB55_9 Depth=1
	s_add_co_i32 s0, s36, s16
	v_max_num_f32_e64 v4, s28, s28
	s_lshl_b32 s0, s0, 6
	s_mov_b32 s29, s20
	s_add_co_i32 s0, s0, s15
	s_load_b64 s[38:39], s[10:11], s0 offset:0x0 scale_offset
	s_wait_xcnt 0x0
	v_readfirstlane_b32 s0, v4
	s_wait_kmcnt 0x0
	v_max_num_f32_e64 v5, s38, s38
	s_delay_alu instid0(VALU_DEP_1) | instskip(SKIP_1) | instid1(SALU_CYCLE_3)
	v_readfirstlane_b32 s1, v5
	s_max_num_f32 s17, s0, s1
	s_sub_f32 s33, s28, s17
	s_sub_f32 s37, s38, s17
	s_delay_alu instid0(SALU_CYCLE_2)
	s_cmp_nlt_f32 s33, 0xc2ce8ed0
	s_cselect_b32 s1, -1, 0
	s_cmp_ngt_f32 s33, 0x42b17218
	s_cselect_b32 s2, -1, 0
	s_cmp_ge_f32 s33, 0xc1a00000
	s_cselect_b32 s0, -1, 0
	s_cmp_nlt_f32 s37, 0xc2ce8ed0
	s_cselect_b32 s3, -1, 0
	s_cmp_ngt_f32 s37, 0x42b17218
	s_cselect_b32 s4, -1, 0
	s_cmp_ge_f32 s37, 0xc1a00000
	s_cselect_b32 s5, -1, 0
	s_and_b64 s[42:43], s[40:41], s[8:9]
	s_delay_alu instid0(SALU_CYCLE_1) | instskip(NEXT) | instid1(SALU_CYCLE_1)
	s_mul_u64 s[42:43], s[42:43], s[22:23]
	s_add_co_i32 s21, s43, s40
	s_delay_alu instid0(SALU_CYCLE_1) | instskip(NEXT) | instid1(SALU_CYCLE_1)
	s_lshr_b32 s21, s21, s13
	s_mul_i32 s24, s21, s14
	s_delay_alu instid0(SALU_CYCLE_1) | instskip(SKIP_3) | instid1(SALU_CYCLE_1)
	s_cmp_eq_u32 s24, s40
	s_cselect_b32 s24, -1, 0
	s_cmp_lt_u32 s21, s12
	s_cselect_b32 s21, -1, 0
	s_or_b32 s21, s21, s24
	s_mov_b32 s24, -1
	s_and_b32 vcc_lo, exec_lo, s21
	s_mov_b32 s21, s36
	s_cbranch_vccnz .LBB55_16
; %bb.15:                               ;   in Loop: Header=BB55_9 Depth=1
	s_add_co_i32 s21, s36, -1
	s_mov_b32 s24, 0
	s_mov_b32 s29, s40
.LBB55_16:                              ;   in Loop: Header=BB55_9 Depth=1
	v_lshl_add_u32 v4, s36, 12, v6
	s_mul_f32 s40, s33, 0x3fb8aa3b
	s_mul_f32 s38, s37, 0x3fb8aa3b
	s_delay_alu instid0(SALU_CYCLE_2)
	s_xor_b32 s42, s40, 0x80000000
	global_load_b32 v5, v4, s[26:27] scale_offset
	s_fmamk_f32 s42, s33, 0x3fb8aa3b, s42
	s_rndne_f32 s44, s40
	s_xor_b32 s41, s38, 0x80000000
	s_rndne_f32 s43, s38
	s_fmamk_f32 s33, s33, 0x32a5705f, s42
	s_sub_f32 s40, s40, s44
	s_fmamk_f32 s41, s37, 0x3fb8aa3b, s41
	s_sub_f32 s38, s38, s43
	s_delay_alu instid0(SALU_CYCLE_1) | instskip(NEXT) | instid1(SALU_CYCLE_1)
	s_add_f32 s33, s40, s33
	s_fmamk_f32 s37, s37, 0x32a5705f, s41
	s_cvt_i32_f32 s40, s44
	s_delay_alu instid0(SALU_CYCLE_1) | instskip(NEXT) | instid1(SALU_CYCLE_1)
	v_s_exp_f32 s33, s33
	s_add_f32 s37, s38, s37
	s_cvt_i32_f32 s38, s43
	s_delay_alu instid0(SALU_CYCLE_2) | instskip(NEXT) | instid1(TRANS32_DEP_2)
	v_s_exp_f32 s37, s37
	v_ldexp_f32 v8, s33, s40
	s_wait_xcnt 0x0
	s_delay_alu instid0(TRANS32_DEP_1) | instskip(NEXT) | instid1(VALU_DEP_2)
	v_ldexp_f32 v4, s37, s38
	v_cndmask_b32_e64 v8, 0, v8, s1
	s_delay_alu instid0(VALU_DEP_1) | instskip(NEXT) | instid1(VALU_DEP_1)
	v_cndmask_b32_e64 v9, 0x7f800000, v8, s2
	v_dual_cndmask_b32 v4, 0, v4, s3 :: v_dual_cndmask_b32 v10, 0, v9, s0
	s_delay_alu instid0(VALU_DEP_1) | instskip(NEXT) | instid1(VALU_DEP_1)
	v_cndmask_b32_e64 v4, 0x7f800000, v4, s4
	v_dual_cndmask_b32 v8, 0, v4, s5 :: v_dual_mov_b32 v4, s39
	s_wait_loadcnt 0x0
	s_delay_alu instid0(VALU_DEP_1) | instskip(NEXT) | instid1(VALU_DEP_1)
	v_pk_mul_f32 v[4:5], v[4:5], v[8:9] op_sel_hi:[1,0]
	v_pk_fma_f32 v[4:5], v[0:1], v[10:11], v[4:5] op_sel_hi:[1,0,1]
	s_cbranch_execz .LBB55_19
.LBB55_17:                              ;   in Loop: Header=BB55_9 Depth=1
	s_and_not1_b32 vcc_lo, exec_lo, s24
	s_cbranch_vccnz .LBB55_20
	s_branch .LBB55_23
.LBB55_18:                              ;   in Loop: Header=BB55_9 Depth=1
	s_and_not1_b32 vcc_lo, exec_lo, s0
	s_cbranch_vccnz .LBB55_17
.LBB55_19:                              ;   in Loop: Header=BB55_9 Depth=1
	s_wait_loadcnt 0x0
	v_mov_b64_e32 v[4:5], v[0:1]
	s_add_co_i32 s21, s36, -1
	s_mov_b32 s29, s20
	s_mov_b32 s17, s28
	s_cbranch_execz .LBB55_23
.LBB55_20:                              ;   in Loop: Header=BB55_9 Depth=1
	s_wait_loadcnt 0x0
	s_delay_alu instid0(VALU_DEP_1)
	v_mov_b64_e32 v[0:1], v[4:5]
	s_mov_b32 s20, s29
	s_mov_b32 s36, s21
	;; [unrolled: 1-line block ×3, first 2 shown]
	s_branch .LBB55_9
.LBB55_21:
                                        ; implicit-def: $sgpr20_sgpr21
	s_branch .LBB55_2
.LBB55_22:
                                        ; implicit-def: $sgpr24_sgpr25
	s_load_b96 s[12:14], s[0:1], 0x44
	s_branch .LBB55_5
.LBB55_23:
	s_delay_alu instid0(VALU_DEP_1) | instskip(SKIP_1) | instid1(VALU_DEP_1)
	v_div_scale_f32 v0, null, v4, v4, v5
	s_wait_loadcnt 0x0
	v_rcp_f32_e32 v1, v0
	v_nop
	s_delay_alu instid0(TRANS32_DEP_1) | instskip(NEXT) | instid1(VALU_DEP_1)
	v_fma_f32 v6, -v0, v1, 1.0
	v_fmac_f32_e32 v1, v6, v1
	v_div_scale_f32 v6, vcc_lo, v5, v4, v5
	s_delay_alu instid0(VALU_DEP_1) | instskip(NEXT) | instid1(VALU_DEP_1)
	v_mul_f32_e32 v7, v6, v1
	v_fma_f32 v8, -v0, v7, v6
	s_delay_alu instid0(VALU_DEP_1) | instskip(NEXT) | instid1(VALU_DEP_1)
	v_fmac_f32_e32 v7, v8, v1
	v_fma_f32 v0, -v0, v7, v6
	s_delay_alu instid0(VALU_DEP_1) | instskip(NEXT) | instid1(VALU_DEP_1)
	v_div_fmas_f32 v0, v0, v1, v7
	v_div_fixup_f32 v0, v0, v4, v5
	global_store_b32 v[2:3], v0, off
.LBB55_24:
	s_endpgm
	.section	.rodata,"a",@progbits
	.p2align	6, 0x0
	.amdhsa_kernel _ZL33flash_attn_stream_k_fixup_generalILi64ELi64ELi1EEvPfPK15HIP_vector_typeIfLj2EEiiiiS1_IjLj3EES5_S5_S5_
		.amdhsa_group_segment_fixed_size 0
		.amdhsa_private_segment_fixed_size 0
		.amdhsa_kernarg_size 336
		.amdhsa_user_sgpr_count 2
		.amdhsa_user_sgpr_dispatch_ptr 0
		.amdhsa_user_sgpr_queue_ptr 0
		.amdhsa_user_sgpr_kernarg_segment_ptr 1
		.amdhsa_user_sgpr_dispatch_id 0
		.amdhsa_user_sgpr_kernarg_preload_length 0
		.amdhsa_user_sgpr_kernarg_preload_offset 0
		.amdhsa_user_sgpr_private_segment_size 0
		.amdhsa_wavefront_size32 1
		.amdhsa_uses_dynamic_stack 0
		.amdhsa_enable_private_segment 0
		.amdhsa_system_sgpr_workgroup_id_x 1
		.amdhsa_system_sgpr_workgroup_id_y 1
		.amdhsa_system_sgpr_workgroup_id_z 1
		.amdhsa_system_sgpr_workgroup_info 0
		.amdhsa_system_vgpr_workitem_id 0
		.amdhsa_next_free_vgpr 12
		.amdhsa_next_free_sgpr 46
		.amdhsa_named_barrier_count 0
		.amdhsa_reserve_vcc 1
		.amdhsa_float_round_mode_32 0
		.amdhsa_float_round_mode_16_64 0
		.amdhsa_float_denorm_mode_32 3
		.amdhsa_float_denorm_mode_16_64 3
		.amdhsa_fp16_overflow 0
		.amdhsa_memory_ordered 1
		.amdhsa_forward_progress 1
		.amdhsa_inst_pref_size 27
		.amdhsa_round_robin_scheduling 0
		.amdhsa_exception_fp_ieee_invalid_op 0
		.amdhsa_exception_fp_denorm_src 0
		.amdhsa_exception_fp_ieee_div_zero 0
		.amdhsa_exception_fp_ieee_overflow 0
		.amdhsa_exception_fp_ieee_underflow 0
		.amdhsa_exception_fp_ieee_inexact 0
		.amdhsa_exception_int_div_zero 0
	.end_amdhsa_kernel
	.section	.text._ZL33flash_attn_stream_k_fixup_generalILi64ELi64ELi1EEvPfPK15HIP_vector_typeIfLj2EEiiiiS1_IjLj3EES5_S5_S5_,"axG",@progbits,_ZL33flash_attn_stream_k_fixup_generalILi64ELi64ELi1EEvPfPK15HIP_vector_typeIfLj2EEiiiiS1_IjLj3EES5_S5_S5_,comdat
.Lfunc_end55:
	.size	_ZL33flash_attn_stream_k_fixup_generalILi64ELi64ELi1EEvPfPK15HIP_vector_typeIfLj2EEiiiiS1_IjLj3EES5_S5_S5_, .Lfunc_end55-_ZL33flash_attn_stream_k_fixup_generalILi64ELi64ELi1EEvPfPK15HIP_vector_typeIfLj2EEiiiiS1_IjLj3EES5_S5_S5_
                                        ; -- End function
	.set _ZL33flash_attn_stream_k_fixup_generalILi64ELi64ELi1EEvPfPK15HIP_vector_typeIfLj2EEiiiiS1_IjLj3EES5_S5_S5_.num_vgpr, 12
	.set _ZL33flash_attn_stream_k_fixup_generalILi64ELi64ELi1EEvPfPK15HIP_vector_typeIfLj2EEiiiiS1_IjLj3EES5_S5_S5_.num_agpr, 0
	.set _ZL33flash_attn_stream_k_fixup_generalILi64ELi64ELi1EEvPfPK15HIP_vector_typeIfLj2EEiiiiS1_IjLj3EES5_S5_S5_.numbered_sgpr, 46
	.set _ZL33flash_attn_stream_k_fixup_generalILi64ELi64ELi1EEvPfPK15HIP_vector_typeIfLj2EEiiiiS1_IjLj3EES5_S5_S5_.num_named_barrier, 0
	.set _ZL33flash_attn_stream_k_fixup_generalILi64ELi64ELi1EEvPfPK15HIP_vector_typeIfLj2EEiiiiS1_IjLj3EES5_S5_S5_.private_seg_size, 0
	.set _ZL33flash_attn_stream_k_fixup_generalILi64ELi64ELi1EEvPfPK15HIP_vector_typeIfLj2EEiiiiS1_IjLj3EES5_S5_S5_.uses_vcc, 1
	.set _ZL33flash_attn_stream_k_fixup_generalILi64ELi64ELi1EEvPfPK15HIP_vector_typeIfLj2EEiiiiS1_IjLj3EES5_S5_S5_.uses_flat_scratch, 0
	.set _ZL33flash_attn_stream_k_fixup_generalILi64ELi64ELi1EEvPfPK15HIP_vector_typeIfLj2EEiiiiS1_IjLj3EES5_S5_S5_.has_dyn_sized_stack, 0
	.set _ZL33flash_attn_stream_k_fixup_generalILi64ELi64ELi1EEvPfPK15HIP_vector_typeIfLj2EEiiiiS1_IjLj3EES5_S5_S5_.has_recursion, 0
	.set _ZL33flash_attn_stream_k_fixup_generalILi64ELi64ELi1EEvPfPK15HIP_vector_typeIfLj2EEiiiiS1_IjLj3EES5_S5_S5_.has_indirect_call, 0
	.section	.AMDGPU.csdata,"",@progbits
; Kernel info:
; codeLenInByte = 3352
; TotalNumSgprs: 48
; NumVgprs: 12
; ScratchSize: 0
; MemoryBound: 0
; FloatMode: 240
; IeeeMode: 1
; LDSByteSize: 0 bytes/workgroup (compile time only)
; SGPRBlocks: 0
; VGPRBlocks: 0
; NumSGPRsForWavesPerEU: 48
; NumVGPRsForWavesPerEU: 12
; NamedBarCnt: 0
; Occupancy: 16
; WaveLimiterHint : 0
; COMPUTE_PGM_RSRC2:SCRATCH_EN: 0
; COMPUTE_PGM_RSRC2:USER_SGPR: 2
; COMPUTE_PGM_RSRC2:TRAP_HANDLER: 0
; COMPUTE_PGM_RSRC2:TGID_X_EN: 1
; COMPUTE_PGM_RSRC2:TGID_Y_EN: 1
; COMPUTE_PGM_RSRC2:TGID_Z_EN: 1
; COMPUTE_PGM_RSRC2:TIDIG_COMP_CNT: 0
	.section	.text._ZL15flash_attn_tileILi64ELi64ELi32ELi1ELb0EEvPKcS1_S1_S1_S1_PKiPfP15HIP_vector_typeIfLj2EEffffjfiS5_IjLj3EEiiiiiiiiiiiliiliiiiil,"axG",@progbits,_ZL15flash_attn_tileILi64ELi64ELi32ELi1ELb0EEvPKcS1_S1_S1_S1_PKiPfP15HIP_vector_typeIfLj2EEffffjfiS5_IjLj3EEiiiiiiiiiiiliiliiiiil,comdat
	.globl	_ZL15flash_attn_tileILi64ELi64ELi32ELi1ELb0EEvPKcS1_S1_S1_S1_PKiPfP15HIP_vector_typeIfLj2EEffffjfiS5_IjLj3EEiiiiiiiiiiiliiliiiiil ; -- Begin function _ZL15flash_attn_tileILi64ELi64ELi32ELi1ELb0EEvPKcS1_S1_S1_S1_PKiPfP15HIP_vector_typeIfLj2EEffffjfiS5_IjLj3EEiiiiiiiiiiiliiliiiiil
	.p2align	8
	.type	_ZL15flash_attn_tileILi64ELi64ELi32ELi1ELb0EEvPKcS1_S1_S1_S1_PKiPfP15HIP_vector_typeIfLj2EEffffjfiS5_IjLj3EEiiiiiiiiiiiliiliiiiil,@function
_ZL15flash_attn_tileILi64ELi64ELi32ELi1ELb0EEvPKcS1_S1_S1_S1_PKiPfP15HIP_vector_typeIfLj2EEffffjfiS5_IjLj3EEiiiiiiiiiiiliiliiiiil: ; @_ZL15flash_attn_tileILi64ELi64ELi32ELi1ELb0EEvPKcS1_S1_S1_S1_PKiPfP15HIP_vector_typeIfLj2EEffffjfiS5_IjLj3EEiiiiiiiiiiiliiliiiiil
; %bb.0:
	s_clause 0x1
	s_load_b128 s[20:23], s[0:1], 0x5c
	s_load_b64 s[2:3], s[0:1], 0x80
	s_bfe_u32 s6, ttmp6, 0x40014
	s_lshr_b32 s5, ttmp7, 16
	s_add_co_i32 s6, s6, 1
	s_bfe_u32 s7, ttmp6, 0x40008
	s_mul_i32 s6, s5, s6
	s_getreg_b32 s43, hwreg(HW_REG_IB_STS2, 6, 4)
	s_add_co_i32 s7, s7, s6
	s_load_b64 s[30:31], s[0:1], 0xb8
	s_mov_b32 s39, 0
	s_mov_b64 s[36:37], 0
	s_wait_kmcnt 0x0
	s_cvt_f32_u32 s4, s23
	s_sub_co_i32 s8, 0, s23
	s_delay_alu instid0(SALU_CYCLE_2) | instskip(SKIP_1) | instid1(TRANS32_DEP_1)
	v_rcp_iflag_f32_e32 v1, s4
	v_nop
	v_readfirstlane_b32 s4, v1
	s_mul_f32 s4, s4, 0x4f7ffffe
	s_delay_alu instid0(SALU_CYCLE_3) | instskip(NEXT) | instid1(SALU_CYCLE_3)
	s_cvt_u32_f32 s4, s4
	s_mul_i32 s8, s8, s4
	s_delay_alu instid0(SALU_CYCLE_1) | instskip(NEXT) | instid1(SALU_CYCLE_1)
	s_mul_hi_u32 s8, s4, s8
	s_add_co_i32 s4, s4, s8
	s_cmp_eq_u32 s43, 0
	s_cselect_b32 s5, s5, s7
	s_delay_alu instid0(SALU_CYCLE_1) | instskip(NEXT) | instid1(SALU_CYCLE_1)
	s_mul_hi_u32 s4, s5, s4
	s_mul_i32 s6, s4, s23
	s_add_co_i32 s7, s4, 1
	s_sub_co_i32 s6, s5, s6
	s_delay_alu instid0(SALU_CYCLE_1)
	s_sub_co_i32 s8, s6, s23
	s_cmp_ge_u32 s6, s23
	s_cselect_b32 s4, s7, s4
	s_cselect_b32 s6, s8, s6
	s_add_co_i32 s7, s4, 1
	s_cmp_ge_u32 s6, s23
	s_cselect_b32 s34, s7, s4
	s_abs_i32 s4, s3
	s_mul_i32 s8, s34, s23
	s_cvt_f32_u32 s6, s4
	s_sub_co_i32 s7, 0, s4
	s_abs_i32 s9, s23
	s_sub_co_i32 s33, s5, s8
	v_rcp_iflag_f32_e32 v1, s6
	s_xor_b32 s3, s23, s3
	s_delay_alu instid0(SALU_CYCLE_1) | instskip(SKIP_1) | instid1(TRANS32_DEP_1)
	s_ashr_i32 s3, s3, 31
	v_nop
	v_readfirstlane_b32 s6, v1
	s_mul_f32 s6, s6, 0x4f7ffffe
	s_delay_alu instid0(SALU_CYCLE_3) | instskip(NEXT) | instid1(SALU_CYCLE_3)
	s_cvt_u32_f32 s6, s6
	s_mul_i32 s7, s7, s6
	s_delay_alu instid0(SALU_CYCLE_1) | instskip(NEXT) | instid1(SALU_CYCLE_1)
	s_mul_hi_u32 s7, s6, s7
	s_add_co_i32 s6, s6, s7
	s_delay_alu instid0(SALU_CYCLE_1) | instskip(NEXT) | instid1(SALU_CYCLE_1)
	s_mul_hi_u32 s5, s9, s6
	s_mul_i32 s6, s5, s4
	s_add_co_i32 s7, s5, 1
	s_sub_co_i32 s6, s9, s6
	s_delay_alu instid0(SALU_CYCLE_1)
	s_sub_co_i32 s8, s6, s4
	s_cmp_ge_u32 s6, s4
	s_cselect_b32 s5, s7, s5
	s_cselect_b32 s6, s8, s6
	s_add_co_i32 s7, s5, 1
	s_cmp_ge_u32 s6, s4
	s_cselect_b32 s4, s7, s5
	s_abs_i32 s38, s33
	s_xor_b32 s4, s4, s3
	s_delay_alu instid0(SALU_CYCLE_1) | instskip(NEXT) | instid1(SALU_CYCLE_1)
	s_sub_co_i32 s28, s4, s3
	s_abs_i32 s3, s28
	s_delay_alu instid0(SALU_CYCLE_1) | instskip(SKIP_1) | instid1(SALU_CYCLE_2)
	s_cvt_f32_u32 s4, s3
	s_sub_co_i32 s25, 0, s3
	v_rcp_iflag_f32_e32 v1, s4
	s_load_b512 s[4:19], s[0:1], 0x0
	v_nop
	s_delay_alu instid0(TRANS32_DEP_1) | instskip(SKIP_1) | instid1(SALU_CYCLE_3)
	v_readfirstlane_b32 s24, v1
	s_mul_f32 s24, s24, 0x4f7ffffe
	s_cvt_u32_f32 s24, s24
	s_delay_alu instid0(SALU_CYCLE_3) | instskip(NEXT) | instid1(SALU_CYCLE_1)
	s_mul_i32 s25, s25, s24
	s_mul_hi_u32 s25, s24, s25
	s_delay_alu instid0(SALU_CYCLE_1)
	s_add_co_i32 s40, s24, s25
	s_wait_kmcnt 0x0
	s_cmp_eq_u64 s[10:11], 0
	s_cbranch_scc1 .LBB56_2
; %bb.1:
	s_abs_i32 s26, s30
	s_abs_i32 s27, s34
	s_cvt_f32_u32 s24, s26
	s_sub_co_i32 s25, 0, s26
	s_delay_alu instid0(SALU_CYCLE_2) | instskip(SKIP_1) | instid1(TRANS32_DEP_1)
	v_rcp_iflag_f32_e32 v1, s24
	v_nop
	v_readfirstlane_b32 s24, v1
	s_mul_f32 s24, s24, 0x4f7ffffe
	s_delay_alu instid0(SALU_CYCLE_3) | instskip(NEXT) | instid1(SALU_CYCLE_3)
	s_cvt_u32_f32 s24, s24
	s_mul_i32 s25, s25, s24
	s_delay_alu instid0(SALU_CYCLE_1) | instskip(NEXT) | instid1(SALU_CYCLE_1)
	s_mul_hi_u32 s25, s24, s25
	s_add_co_i32 s24, s24, s25
	s_delay_alu instid0(SALU_CYCLE_1) | instskip(SKIP_2) | instid1(SALU_CYCLE_1)
	s_mul_hi_u32 s29, s27, s24
	s_load_b64 s[24:25], s[0:1], 0xc8
	s_mul_i32 s29, s29, s26
	s_sub_co_i32 s27, s27, s29
	s_ashr_i32 s29, s34, 31
	s_sub_co_i32 s30, s27, s26
	s_cmp_ge_u32 s27, s26
	s_cselect_b32 s27, s30, s27
	s_delay_alu instid0(SALU_CYCLE_1) | instskip(SKIP_2) | instid1(SALU_CYCLE_1)
	s_sub_co_i32 s30, s27, s26
	s_cmp_ge_u32 s27, s26
	s_cselect_b32 s26, s30, s27
	s_xor_b32 s26, s26, s29
	s_delay_alu instid0(SALU_CYCLE_1) | instskip(NEXT) | instid1(SALU_CYCLE_1)
	s_sub_co_i32 s26, s26, s29
	s_ashr_i32 s27, s26, 31
	s_wait_kmcnt 0x0
	s_mul_u64 s[24:25], s[24:25], s[26:27]
	s_delay_alu instid0(SALU_CYCLE_1)
	s_add_nc_u64 s[36:37], s[10:11], s[24:25]
.LBB56_2:
	s_clause 0x1
	s_load_b128 s[24:27], s[0:1], 0x40
	s_load_b32 s10, s[0:1], 0x50
	v_mov_b32_e32 v88, 1.0
	s_mov_b32 s41, s39
	s_wait_kmcnt 0x0
	s_cmp_le_f32 s25, 0
	s_cbranch_scc1 .LBB56_4
; %bb.3:
	v_sub_co_u32 v1, s10, s33, s10
	s_and_b32 s25, s10, exec_lo
	s_cselect_b32 s25, s26, s27
	s_add_co_i32 s26, s33, 1
	v_readfirstlane_b32 s11, v1
	s_lshl_b32 s11, s11, 1
	s_delay_alu instid0(SALU_CYCLE_1) | instskip(SKIP_4) | instid1(SALU_CYCLE_3)
	s_or_b32 s11, s11, 1
	s_and_b32 s10, s10, exec_lo
	s_cselect_b32 s10, s26, s11
	s_cmp_neq_f32 s25, 1.0
	s_cvt_f32_i32 s10, s10
	s_cselect_b32 s11, s10, 1.0
	s_delay_alu instid0(SALU_CYCLE_1) | instskip(SKIP_1) | instid1(SALU_CYCLE_1)
	s_cmp_neq_f32 s11, 0
	s_cselect_b32 s10, s25, 1.0
	v_cvt_f64_f32_e64 v[2:3], |s10|
	s_delay_alu instid0(VALU_DEP_1) | instskip(SKIP_1) | instid1(VALU_DEP_1)
	v_frexp_exp_i32_f64_e32 v1, v[2:3]
	v_frexp_mant_f32_e64 v2, |s10|
	v_readfirstlane_b32 s25, v2
	s_cmp_lt_f32 s25, 0x3f2aaaab
	s_cselect_b32 vcc_lo, -1, 0
	s_delay_alu instid0(SALU_CYCLE_1) | instskip(SKIP_1) | instid1(SALU_CYCLE_1)
	s_and_b32 s26, vcc_lo, exec_lo
	s_cselect_b32 s26, 2.0, 1.0
	s_mul_f32 s25, s25, s26
	s_delay_alu instid0(SALU_CYCLE_3) | instskip(SKIP_1) | instid1(SALU_CYCLE_2)
	s_add_f32 s26, s25, 1.0
	s_add_f32 s29, s25, -1.0
	v_s_rcp_f32 s27, s26
	s_add_f32 s42, s26, -1.0
	v_subrev_co_ci_u32_e64 v1, null, 0, v1, vcc_lo
	s_delay_alu instid0(SALU_CYCLE_2) | instskip(NEXT) | instid1(TRANS32_DEP_1)
	s_sub_f32 s25, s25, s42
	s_mul_f32 s30, s29, s27
	v_cvt_f32_i32_e32 v1, v1
	s_delay_alu instid0(SALU_CYCLE_2) | instskip(NEXT) | instid1(SALU_CYCLE_3)
	s_mul_f32 s35, s26, s30
	v_dual_mov_b32 v3, s29 :: v_dual_mov_b32 v4, s35
	s_xor_b32 s44, s35, 0x80000000
	s_delay_alu instid0(SALU_CYCLE_1) | instskip(NEXT) | instid1(SALU_CYCLE_3)
	s_fmac_f32 s44, s30, s26
	s_fmac_f32 s44, s30, s25
	s_delay_alu instid0(SALU_CYCLE_3) | instskip(NEXT) | instid1(SALU_CYCLE_3)
	s_add_f32 s25, s35, s44
	v_dual_mov_b32 v6, s44 :: v_dual_mov_b32 v7, s25
	s_sub_f32 s26, s29, s25
	s_delay_alu instid0(SALU_CYCLE_3) | instskip(NEXT) | instid1(VALU_DEP_1)
	v_dual_mov_b32 v2, s25 :: v_dual_mov_b32 v5, s26
	v_pk_add_f32 v[2:3], v[2:3], v[4:5] neg_lo:[0,1] neg_hi:[0,1]
	s_delay_alu instid0(VALU_DEP_1) | instskip(NEXT) | instid1(VALU_DEP_1)
	v_pk_add_f32 v[2:3], v[2:3], v[6:7] neg_lo:[0,1] neg_hi:[0,1]
	v_readfirstlane_b32 s25, v3
	s_delay_alu instid0(VALU_DEP_2) | instskip(SKIP_1) | instid1(SALU_CYCLE_3)
	v_readfirstlane_b32 s29, v2
	s_add_f32 s25, s29, s25
	s_add_f32 s25, s26, s25
	s_delay_alu instid0(SALU_CYCLE_3) | instskip(NEXT) | instid1(SALU_CYCLE_3)
	s_mul_f32 s25, s27, s25
	s_add_f32 s26, s30, s25
	s_delay_alu instid0(SALU_CYCLE_3) | instskip(SKIP_1) | instid1(SALU_CYCLE_2)
	s_sub_f32 s27, s26, s30
	s_mul_f32 s29, s26, s26
	s_sub_f32 s25, s25, s27
	s_delay_alu instid0(SALU_CYCLE_2) | instskip(NEXT) | instid1(SALU_CYCLE_1)
	s_xor_b32 s27, s29, 0x80000000
	s_fmac_f32 s27, s26, s26
	s_delay_alu instid0(SALU_CYCLE_1) | instskip(NEXT) | instid1(SALU_CYCLE_3)
	s_add_f32 s30, s25, s25
	s_fmac_f32 s27, s26, s30
	s_mov_b32 s30, 0x3e76c4e1
	s_delay_alu instid0(SALU_CYCLE_2) | instskip(NEXT) | instid1(SALU_CYCLE_3)
	s_add_f32 s44, s29, s27
	s_fmaak_f32 s30, s44, s30, 0x3e91f4c4
	s_sub_f32 s29, s44, s29
	s_delay_alu instid0(SALU_CYCLE_2) | instskip(NEXT) | instid1(SALU_CYCLE_2)
	s_fmaak_f32 s30, s44, s30, 0x3ecccdef
	s_sub_f32 s29, s27, s29
	s_delay_alu instid0(SALU_CYCLE_2) | instskip(NEXT) | instid1(SALU_CYCLE_3)
	s_mul_f32 s35, s44, s30
	s_xor_b32 s42, s35, 0x80000000
	s_delay_alu instid0(SALU_CYCLE_1) | instskip(NEXT) | instid1(SALU_CYCLE_3)
	s_fmac_f32 s42, s44, s30
	s_fmac_f32 s42, s29, s30
	s_delay_alu instid0(SALU_CYCLE_3) | instskip(NEXT) | instid1(SALU_CYCLE_3)
	s_add_f32 s30, s35, s42
	s_sub_f32 s27, s30, s35
	s_add_f32 s35, s30, 0x3f2aaaaa
	s_delay_alu instid0(SALU_CYCLE_2) | instskip(NEXT) | instid1(SALU_CYCLE_2)
	s_sub_f32 s27, s42, s27
	s_add_f32 s42, s35, 0xbf2aaaaa
	s_delay_alu instid0(SALU_CYCLE_2) | instskip(NEXT) | instid1(SALU_CYCLE_2)
	s_add_f32 s27, s27, 0x31739010
	s_sub_f32 s45, s30, s42
	s_delay_alu instid0(SALU_CYCLE_2) | instskip(NEXT) | instid1(SALU_CYCLE_2)
	v_mov_b64_e32 v[2:3], s[26:27]
	v_mov_b64_e32 v[4:5], s[44:45]
	s_delay_alu instid0(VALU_DEP_1) | instskip(SKIP_2) | instid1(VALU_DEP_3)
	v_pk_mul_f32 v[6:7], v[2:3], v[4:5]
	v_pk_add_f32 v[2:3], v[2:3], v[4:5]
	v_mov_b32_e32 v9, s35
	v_xor_b32_e32 v8, 0x80000000, v6
	s_delay_alu instid0(VALU_DEP_3) | instskip(NEXT) | instid1(VALU_DEP_2)
	v_mov_b32_e32 v7, v3
	v_fmac_f32_e64 v8, s44, s26
	s_delay_alu instid0(VALU_DEP_1) | instskip(NEXT) | instid1(VALU_DEP_1)
	v_fmac_f32_e64 v8, s44, s25
	v_fmac_f32_e64 v8, s29, s26
	s_delay_alu instid0(VALU_DEP_1) | instskip(NEXT) | instid1(VALU_DEP_1)
	v_pk_add_f32 v[4:5], v[6:7], v[8:9]
	v_dual_mov_b32 v2, v5 :: v_dual_sub_f32 v7, s35, v5
	v_mul_f32_e32 v12, 0x3f317218, v1
	s_delay_alu instid0(VALU_DEP_2) | instskip(NEXT) | instid1(VALU_DEP_3)
	v_pk_mul_f32 v[10:11], v[4:5], v[2:3]
	v_add_f32_e32 v3, v3, v7
	s_delay_alu instid0(VALU_DEP_3) | instskip(NEXT) | instid1(VALU_DEP_3)
	v_xor_b32_e32 v7, 0x80000000, v12
	v_xor_b32_e32 v2, 0x80000000, v10
	s_delay_alu instid0(VALU_DEP_2) | instskip(NEXT) | instid1(VALU_DEP_2)
	v_dual_sub_f32 v6, v4, v6 :: v_dual_fmac_f32 v7, 0x3f317218, v1
	v_fmac_f32_e32 v2, v4, v5
	s_delay_alu instid0(VALU_DEP_2) | instskip(NEXT) | instid1(VALU_DEP_2)
	v_sub_f32_e32 v6, v8, v6
	v_fmac_f32_e32 v2, v4, v3
	s_delay_alu instid0(VALU_DEP_1) | instskip(SKIP_3) | instid1(VALU_DEP_2)
	v_fmac_f32_e32 v2, v6, v5
	v_fmamk_f32 v4, v1, 0xb102e308, v7
	v_ldexp_f32 v5, s26, 1
	v_ldexp_f32 v1, s25, 1
	v_dual_add_f32 v13, v10, v2 :: v_dual_mov_b32 v11, v5
	s_delay_alu instid0(VALU_DEP_1) | instskip(SKIP_1) | instid1(VALU_DEP_2)
	v_pk_add_f32 v[6:7], v[12:13], v[4:5]
	v_dual_mov_b32 v8, v13 :: v_dual_mov_b32 v3, v13
	v_dual_mov_b32 v9, v7 :: v_dual_mov_b32 v5, v6
	v_mov_b32_e32 v14, v7
	s_delay_alu instid0(VALU_DEP_2) | instskip(NEXT) | instid1(VALU_DEP_1)
	v_pk_add_f32 v[8:9], v[8:9], v[10:11] neg_lo:[0,1] neg_hi:[0,1]
	v_pk_add_f32 v[2:3], v[2:3], v[8:9] neg_lo:[0,1] neg_hi:[0,1]
	s_delay_alu instid0(VALU_DEP_1) | instskip(NEXT) | instid1(VALU_DEP_1)
	v_add_f32_e32 v1, v1, v2
	v_add_f32_e32 v13, v1, v3
	s_delay_alu instid0(VALU_DEP_1) | instskip(SKIP_1) | instid1(VALU_DEP_2)
	v_pk_add_f32 v[2:3], v[6:7], v[12:13]
	v_pk_add_f32 v[8:9], v[6:7], v[12:13] neg_lo:[0,1] neg_hi:[0,1]
	v_mov_b32_e32 v9, v3
	s_delay_alu instid0(VALU_DEP_1) | instskip(SKIP_2) | instid1(VALU_DEP_3)
	v_pk_add_f32 v[10:11], v[4:5], v[8:9]
	v_pk_add_f32 v[4:5], v[4:5], v[8:9] neg_lo:[0,1] neg_hi:[0,1]
	v_dual_mov_b32 v16, v3 :: v_dual_mov_b32 v5, v6
	v_dual_mov_b32 v12, v11 :: v_dual_mov_b32 v17, v11
	s_delay_alu instid0(VALU_DEP_3) | instskip(NEXT) | instid1(VALU_DEP_2)
	v_readfirstlane_b32 s25, v4
	v_pk_add_f32 v[8:9], v[12:13], v[6:7] neg_lo:[0,1] neg_hi:[0,1]
	s_delay_alu instid0(VALU_DEP_2) | instskip(NEXT) | instid1(VALU_DEP_2)
	v_dual_mov_b32 v4, v13 :: v_dual_mov_b32 v10, s25
	v_dual_mov_b32 v15, v8 :: v_dual_mov_b32 v1, v8
	s_delay_alu instid0(VALU_DEP_1) | instskip(NEXT) | instid1(VALU_DEP_2)
	v_pk_add_f32 v[6:7], v[16:17], v[14:15] neg_lo:[0,1] neg_hi:[0,1]
	v_pk_add_f32 v[2:3], v[2:3], v[0:1] neg_lo:[0,1] neg_hi:[0,1]
	v_mov_b32_e32 v2, s25
	s_delay_alu instid0(VALU_DEP_3) | instskip(NEXT) | instid1(VALU_DEP_1)
	v_pk_add_f32 v[4:5], v[4:5], v[6:7] neg_lo:[0,1] neg_hi:[0,1]
	v_pk_add_f32 v[2:3], v[2:3], v[4:5]
	s_delay_alu instid0(VALU_DEP_1) | instskip(NEXT) | instid1(VALU_DEP_2)
	v_readfirstlane_b32 s26, v2
	v_mov_b32_e32 v6, v3
	s_delay_alu instid0(VALU_DEP_1) | instskip(NEXT) | instid1(VALU_DEP_3)
	v_pk_add_f32 v[6:7], v[2:3], v[6:7]
	v_mov_b32_e32 v2, s26
	s_delay_alu instid0(VALU_DEP_2) | instskip(SKIP_1) | instid1(VALU_DEP_2)
	v_pk_add_f32 v[8:9], v[12:13], v[6:7]
	v_mov_b32_e32 v5, v6
	v_readfirstlane_b32 s27, v8
	s_delay_alu instid0(VALU_DEP_1) | instskip(NEXT) | instid1(VALU_DEP_1)
	v_mov_b32_e32 v3, s27
	v_pk_add_f32 v[2:3], v[2:3], v[10:11] neg_lo:[0,1] neg_hi:[0,1]
	s_delay_alu instid0(VALU_DEP_1) | instskip(NEXT) | instid1(VALU_DEP_2)
	v_readfirstlane_b32 s29, v2
	v_pk_add_f32 v[2:3], v[4:5], v[2:3] neg_lo:[0,1] neg_hi:[0,1]
	s_sub_f32 s26, s26, s29
	s_delay_alu instid0(VALU_DEP_1) | instskip(NEXT) | instid1(SALU_CYCLE_2)
	v_readfirstlane_b32 s29, v2
	s_sub_f32 s25, s25, s26
	v_readfirstlane_b32 s26, v3
	s_delay_alu instid0(SALU_CYCLE_2) | instskip(NEXT) | instid1(SALU_CYCLE_3)
	s_add_f32 s25, s29, s25
	s_add_f32 s25, s25, s26
	s_delay_alu instid0(SALU_CYCLE_3) | instskip(NEXT) | instid1(SALU_CYCLE_3)
	s_add_f32 s26, s27, s25
	s_mul_f32 s29, s11, s26
	s_sub_f32 s27, s26, s27
	s_delay_alu instid0(SALU_CYCLE_2) | instskip(NEXT) | instid1(SALU_CYCLE_2)
	s_xor_b32 s30, s29, 0x80000000
	s_sub_f32 s25, s25, s27
	s_fmac_f32 s30, s11, s26
	s_delay_alu instid0(SALU_CYCLE_3) | instskip(SKIP_1) | instid1(SALU_CYCLE_2)
	s_fmac_f32 s30, s11, s25
	v_cmp_class_f32_e64 s25, s29, 0x204
	s_add_f32 s26, s29, s30
	s_and_b32 s25, s25, exec_lo
	s_delay_alu instid0(SALU_CYCLE_2) | instskip(SKIP_1) | instid1(SALU_CYCLE_1)
	s_sub_f32 s25, s26, s29
	s_cselect_b32 s26, s29, s26
	s_and_b32 s27, s26, 0x7fffffff
	s_delay_alu instid0(SALU_CYCLE_1) | instskip(SKIP_1) | instid1(SALU_CYCLE_2)
	s_sub_f32 s25, s30, s25
	s_cmp_neq_f32 s27, 0x7f800000
	s_cselect_b32 s25, s25, 0
	s_cmp_eq_f32 s26, 0x42b17218
	s_cselect_b32 s27, 0x37000000, 0
	s_delay_alu instid0(SALU_CYCLE_1) | instskip(SKIP_1) | instid1(SALU_CYCLE_2)
	s_sub_f32 s26, s26, s27
	s_add_f32 s25, s27, s25
	s_mul_f32 s29, s26, 0x3fb8aa3b
	s_delay_alu instid0(SALU_CYCLE_3) | instskip(SKIP_3) | instid1(SALU_CYCLE_1)
	s_xor_b32 s30, s29, 0x80000000
	s_rndne_f32 s35, s29
	s_fmamk_f32 s30, s26, 0x3fb8aa3b, s30
	s_cmp_nlt_f32 s26, 0xc2ce8ed0
	s_sub_f32 s29, s29, s35
	s_delay_alu instid0(SALU_CYCLE_1)
	s_fmamk_f32 s30, s26, 0x32a5705f, s30
	s_cselect_b32 vcc_lo, -1, 0
	s_cmp_ngt_f32 s26, 0x42b17218
	s_trunc_f32 s26, s11
	s_add_f32 s29, s29, s30
	s_cvt_i32_f32 s30, s35
	s_delay_alu instid0(SALU_CYCLE_2)
	v_s_exp_f32 s29, s29
	v_nop
	s_delay_alu instid0(TRANS32_DEP_1) | instid1(SALU_CYCLE_1)
	v_ldexp_f32 v1, s29, s30
	s_mul_f32 s29, s11, 0.5
	s_delay_alu instid0(VALU_DEP_1) | instskip(SKIP_3) | instid1(VALU_DEP_1)
	v_cndmask_b32_e32 v1, 0, v1, vcc_lo
	s_cselect_b32 vcc_lo, -1, 0
	s_cmp_eq_f32 s26, s11
	s_trunc_f32 s30, s29
	v_cndmask_b32_e32 v1, 0x7f800000, v1, vcc_lo
	s_cselect_b32 s35, -1, 0
	s_delay_alu instid0(SALU_CYCLE_1) | instskip(NEXT) | instid1(VALU_DEP_1)
	s_cmp_neq_f32 s30, s29
	v_fma_f32 v2, s25, v1, v1
	v_cmp_class_f32_e64 vcc_lo, v1, 0x204
	s_cselect_b32 s27, -1, 0
	s_delay_alu instid0(SALU_CYCLE_1)
	s_and_b32 s25, s35, s27
	v_cndmask_b32_e32 v1, v2, v1, vcc_lo
	s_and_b32 s27, s25, exec_lo
	s_cselect_b32 s27, s10, 1.0
	s_cmp_eq_f32 s26, s11
	v_cmp_class_f32_e64 s26, s10, 0x204
	v_bfi_b32 v1, 0x7fffffff, v1, s27
	s_cselect_b32 vcc_lo, -1, 0
	s_cmp_lt_f32 s10, 0
	s_delay_alu instid0(VALU_DEP_1) | instskip(SKIP_2) | instid1(VALU_DEP_1)
	v_cndmask_b32_e32 v2, 0x7fc00000, v1, vcc_lo
	s_cselect_b32 vcc_lo, -1, 0
	s_cmp_eq_f32 s10, 0
	v_cndmask_b32_e32 v1, v1, v2, vcc_lo
	s_cselect_b32 s27, -1, 0
	s_delay_alu instid0(SALU_CYCLE_1) | instskip(SKIP_2) | instid1(SALU_CYCLE_1)
	s_or_b32 vcc_lo, s27, s26
	s_cmp_lt_f32 s11, 0
	s_cselect_b32 s11, -1, 0
	s_xor_b32 s11, s11, s27
	s_delay_alu instid0(SALU_CYCLE_1)
	s_and_b32 s11, s11, exec_lo
	s_cselect_b32 s11, 0, 0x7f800000
	s_and_b32 s25, s25, exec_lo
	s_cselect_b32 s25, s10, 0
	s_cmp_o_f32 s10, s10
	v_mov_b32_e32 v2, s25
	s_delay_alu instid0(VALU_DEP_1) | instskip(NEXT) | instid1(VALU_DEP_1)
	v_bfi_b32 v2, 0x7fffffff, s11, v2
	v_cndmask_b32_e32 v1, v1, v2, vcc_lo
	s_cselect_b32 vcc_lo, -1, 0
	s_delay_alu instid0(VALU_DEP_1)
	v_cndmask_b32_e32 v88, 0x7fc00000, v1, vcc_lo
.LBB56_4:
	s_bfe_u32 s11, ttmp6, 0x4000c
	v_bfe_u32 v41, v0, 10, 10
	s_add_co_i32 s11, s11, 1
	s_and_b32 s25, ttmp6, 15
	s_mul_i32 s26, ttmp9, s11
	s_ashr_i32 s10, s33, 31
	s_ashr_i32 s11, s28, 31
	s_add_co_i32 s25, s25, s26
	s_cmp_eq_u32 s43, 0
	v_dual_mov_b32 v23, 0 :: v_dual_lshlrev_b32 v80, 3, v41
	s_cselect_b32 s25, ttmp9, s25
	v_and_b32_e32 v40, 0x3ff, v0
	s_lshl_b32 s42, s25, 5
	s_delay_alu instid0(VALU_DEP_2) | instid1(SALU_CYCLE_1)
	v_dual_add_nc_u32 v83, s42, v80 :: v_dual_bitop2_b32 v78, 1, v80 bitop3:0x54
	v_or_b32_e32 v77, 2, v80
	s_load_b96 s[28:30], s[0:1], 0x70
	v_dual_mov_b32 v29, v23 :: v_dual_lshlrev_b32 v22, 3, v40
	s_delay_alu instid0(VALU_DEP_3) | instskip(SKIP_3) | instid1(VALU_DEP_3)
	v_mul_hi_u32 v0, v83, s20
	v_dual_add_nc_u32 v82, s42, v78 :: v_dual_bitop2_b32 v75, 3, v80 bitop3:0x54
	v_dual_add_nc_u32 v81, s42, v77 :: v_dual_bitop2_b32 v73, 4, v80 bitop3:0x54
	v_or_b32_e32 v68, 7, v80
	v_mul_hi_u32 v1, v82, s20
	s_delay_alu instid0(VALU_DEP_4) | instskip(NEXT) | instid1(VALU_DEP_4)
	v_add_nc_u32_e32 v79, s42, v75
	v_mul_hi_u32 v2, v81, s20
	v_dual_add_nc_u32 v76, s42, v73 :: v_dual_bitop2_b32 v71, 5, v80 bitop3:0x54
	v_add_nc_u32_e32 v0, v83, v0
	s_delay_alu instid0(VALU_DEP_4) | instskip(NEXT) | instid1(VALU_DEP_3)
	v_mul_hi_u32 v3, v79, s20
	v_dual_add_nc_u32 v74, s42, v71 :: v_dual_bitop2_b32 v69, 6, v80 bitop3:0x54
	s_delay_alu instid0(VALU_DEP_4)
	v_mul_hi_u32 v5, v76, s20
	v_lshlrev_b32_e32 v85, 10, v41
	v_dual_add_nc_u32 v1, v82, v1 :: v_dual_lshrrev_b32 v0, s21, v0
	s_wait_kmcnt 0x0
	s_mul_i32 s26, s34, s30
	v_add_nc_u32_e32 v72, s42, v69
	s_mul_i32 s44, s33, s29
	v_lshrrev_b32_e32 v6, s21, v1
	v_mul_lo_u32 v4, v0, s22
	v_dual_add_nc_u32 v2, v81, v2 :: v_dual_add_nc_u32 v3, v79, v3
	s_ashr_i32 s27, s26, 31
	s_delay_alu instid0(VALU_DEP_3)
	v_mul_lo_u32 v6, v6, s22
	s_ashr_i32 s45, s44, 31
	s_add_nc_u64 s[4:5], s[4:5], s[26:27]
	v_add_nc_u32_e32 v70, s42, v68
	s_add_nc_u64 s[4:5], s[4:5], s[44:45]
	s_ashr_i32 s29, s28, 31
	v_add_nc_u64_e32 v[0:1], s[4:5], v[22:23]
	v_dual_sub_nc_u32 v28, v83, v4 :: v_dual_lshrrev_b32 v2, s21, v2
	v_mul_hi_u32 v4, v74, s20
	s_lshr_b64 s[26:27], s[28:29], 2
	v_sub_nc_u32_e32 v22, v82, v6
	v_mul_hi_u32 v9, v70, s20
	v_mul_lo_u32 v7, v2, s22
	v_dual_lshrrev_b32 v2, s21, v3 :: v_dual_add_nc_u32 v3, v76, v5
	v_mul_hi_u32 v5, v72, s20
	s_mul_u64 s[4:5], s[38:39], s[40:41]
	s_mov_b32 s29, 0
	s_delay_alu instid0(VALU_DEP_2) | instskip(SKIP_4) | instid1(VALU_DEP_3)
	v_mul_lo_u32 v8, v2, s22
	v_dual_lshrrev_b32 v6, s21, v3 :: v_dual_add_nc_u32 v4, v74, v4
	v_mul_u64_e32 v[2:3], s[26:27], v[22:23]
	s_cmp_eq_u64 s[14:15], 0
	v_sub_nc_u32_e32 v22, v81, v7
	v_mul_lo_u32 v10, v6, s22
	v_dual_lshrrev_b32 v11, s21, v4 :: v_dual_add_nc_u32 v12, v72, v5
	v_mul_u64_e32 v[4:5], s[26:27], v[28:29]
	s_delay_alu instid0(VALU_DEP_4) | instskip(SKIP_1) | instid1(VALU_DEP_4)
	v_mul_u64_e32 v[6:7], s[26:27], v[22:23]
	v_sub_nc_u32_e32 v22, v79, v8
	v_mul_lo_u32 v13, v11, s22
	v_dual_lshrrev_b32 v11, s21, v12 :: v_dual_add_nc_u32 v12, v70, v9
	s_delay_alu instid0(VALU_DEP_3) | instskip(SKIP_1) | instid1(VALU_DEP_3)
	v_mul_u64_e32 v[8:9], s[26:27], v[22:23]
	v_sub_nc_u32_e32 v22, v76, v10
	v_mul_lo_u32 v14, v11, s22
	s_delay_alu instid0(VALU_DEP_4) | instskip(NEXT) | instid1(VALU_DEP_3)
	v_lshrrev_b32_e32 v12, s21, v12
	v_mul_u64_e32 v[10:11], s[26:27], v[22:23]
	s_delay_alu instid0(VALU_DEP_2)
	v_mul_lo_u32 v16, v12, s22
	v_lshl_add_u64 v[2:3], v[2:3], 2, v[0:1]
	v_lshl_add_u64 v[4:5], v[4:5], 2, v[0:1]
	;; [unrolled: 1-line block ×3, first 2 shown]
	s_clause 0x2
	global_load_b64 v[4:5], v[4:5], off
	global_load_b64 v[18:19], v[2:3], off
	;; [unrolled: 1-line block ×3, first 2 shown]
	s_wait_xcnt 0x1
	v_lshl_add_u64 v[2:3], v[8:9], 2, v[0:1]
	global_load_b64 v[2:3], v[2:3], off
	s_wait_xcnt 0x1
	v_lshl_add_u64 v[6:7], v[10:11], 2, v[0:1]
	s_wait_loadcnt 0x2
	v_fma_mixlo_f16 v19, s24, v19, 0
	v_sub_nc_u32_e32 v22, v74, v13
	v_fma_mixlo_f16 v5, s24, v5, 0
	v_fma_mixlo_f16 v4, s24, v4, 0
	;; [unrolled: 1-line block ×3, first 2 shown]
	v_lshlrev_b32_e32 v19, 16, v19
	v_mul_u64_e32 v[12:13], s[26:27], v[22:23]
	v_sub_nc_u32_e32 v22, v72, v14
	s_wait_loadcnt 0x1
	v_fma_mixlo_f16 v21, s24, v21, 0
	v_fma_mixlo_f16 v20, s24, v20, 0
	v_and_b32_e32 v4, 0xffff, v4
	v_and_b32_e32 v18, 0xffff, v18
	v_mul_u64_e32 v[14:15], s[26:27], v[22:23]
	v_dual_sub_nc_u32 v22, v70, v16 :: v_dual_lshlrev_b32 v21, 16, v21
	v_and_b32_e32 v20, 0xffff, v20
	v_lshlrev_b32_e32 v5, 16, v5
	s_wait_loadcnt 0x0
	v_fma_mixlo_f16 v3, s24, v3, 0
	v_mul_u64_e32 v[16:17], s[26:27], v[22:23]
	v_fma_mixlo_f16 v2, s24, v2, 0
	v_or_b32_e32 v4, v5, v4
	s_delay_alu instid0(VALU_DEP_4) | instskip(NEXT) | instid1(VALU_DEP_3)
	v_dual_lshlrev_b32 v3, 16, v3 :: v_dual_bitop2_b32 v5, v19, v18 bitop3:0x54
	v_and_b32_e32 v2, 0xffff, v2
	v_or_b32_e32 v18, v21, v20
	s_delay_alu instid0(VALU_DEP_2)
	v_or_b32_e32 v2, v3, v2
	v_lshl_add_u64 v[8:9], v[12:13], 2, v[0:1]
	s_clause 0x1
	global_load_b64 v[10:11], v[6:7], off
	global_load_b64 v[12:13], v[8:9], off
	s_wait_xcnt 0x1
	v_lshl_add_u64 v[6:7], v[14:15], 2, v[0:1]
	v_lshl_add_u64 v[0:1], v[16:17], 2, v[0:1]
	s_clause 0x1
	global_load_b64 v[8:9], v[6:7], off
	global_load_b64 v[14:15], v[0:1], off
	s_wait_xcnt 0x0
	v_lshl_add_u32 v0, v40, 2, 0x3400
	s_delay_alu instid0(VALU_DEP_1)
	v_add_nc_u32_e32 v1, v0, v85
	v_lshl_add_u32 v6, v78, 7, v0
	v_lshl_add_u32 v7, v77, 7, v0
	;; [unrolled: 1-line block ×7, first 2 shown]
	s_wait_loadcnt 0x3
	v_fma_mixlo_f16 v11, s24, v11, 0
	v_fma_mixlo_f16 v10, s24, v10, 0
	s_wait_loadcnt 0x2
	v_fma_mixlo_f16 v13, s24, v13, 0
	v_fma_mixlo_f16 v12, s24, v12, 0
	v_lshlrev_b32_e32 v11, 16, v11
	v_and_b32_e32 v10, 0xffff, v10
	s_delay_alu instid0(VALU_DEP_4) | instskip(NEXT) | instid1(VALU_DEP_4)
	v_lshlrev_b32_e32 v13, 16, v13
	v_and_b32_e32 v12, 0xffff, v12
	s_delay_alu instid0(VALU_DEP_3)
	v_or_b32_e32 v3, v11, v10
	s_wait_loadcnt 0x1
	v_fma_mixlo_f16 v9, s24, v9, 0
	v_fma_mixlo_f16 v8, s24, v8, 0
	s_wait_loadcnt 0x0
	v_fma_mixlo_f16 v15, s24, v15, 0
	v_fma_mixlo_f16 v14, s24, v14, 0
	v_dual_lshlrev_b32 v9, 16, v9 :: v_dual_bitop2_b32 v10, v13, v12 bitop3:0x54
	v_and_b32_e32 v8, 0xffff, v8
	s_delay_alu instid0(VALU_DEP_4) | instskip(NEXT) | instid1(VALU_DEP_4)
	v_lshlrev_b32_e32 v15, 16, v15
	v_and_b32_e32 v14, 0xffff, v14
	s_delay_alu instid0(VALU_DEP_3) | instskip(NEXT) | instid1(VALU_DEP_2)
	v_or_b32_e32 v8, v9, v8
	v_or_b32_e32 v9, v15, v14
	ds_store_b32 v1, v4
	ds_store_b32 v6, v5
	;; [unrolled: 1-line block ×8, first 2 shown]
	s_wait_dscnt 0x0
	s_barrier_signal -1
	s_barrier_wait -1
	s_cbranch_scc1 .LBB56_6
; %bb.5:
	s_load_b32 s2, s[0:1], 0xd0
	s_wait_kmcnt 0x0
	s_mul_i32 s2, s2, s34
	s_delay_alu instid0(SALU_CYCLE_1)
	s_add_co_i32 s2, s2, s25
	s_load_b32 s2, s[14:15], s2 offset:0x0 scale_offset
.LBB56_6:
	s_wait_xcnt 0x0
	s_clause 0x2
	s_load_b64 s[14:15], s[0:1], 0x8c
	s_load_b128 s[24:27], s[0:1], 0x98
	s_load_b64 s[40:41], s[0:1], 0xa8
	s_mul_i32 s4, s5, s3
	s_ashr_i32 s30, s31, 1
	s_sub_co_i32 s31, s38, s4
	s_mov_b32 s28, s20
	s_ashr_i32 s35, s34, 31
	s_xor_b32 s11, s10, s11
	s_add_co_i32 s20, s5, 1
	s_sub_co_i32 s44, s31, s3
	v_dual_lshrrev_b32 v92, 3, v40 :: v_dual_lshlrev_b32 v86, 2, v40
	v_mul_u32_u24_e32 v29, 0x90, v40
	v_or_b32_e32 v54, 1, v83
	v_or_b32_e32 v52, 2, v83
	;; [unrolled: 1-line block ×6, first 2 shown]
	s_wait_kmcnt 0x0
	s_ashr_i32 s4, s14, 2
	s_ashr_i32 s10, s26, 2
	s_cmp_ge_u32 s31, s3
	s_mul_u64 s[24:25], s[24:25], s[34:35]
	s_cselect_b32 s5, s20, s5
	s_cselect_b32 s14, s44, s31
	s_add_co_i32 s20, s5, 1
	s_cmp_ge_u32 s14, s3
	s_add_nc_u64 s[6:7], s[6:7], s[24:25]
	s_cselect_b32 s3, s20, s5
	s_bfe_u32 s14, ttmp6, 0x40010
	s_xor_b32 s3, s3, s11
	s_and_b32 s5, ttmp7, 0xffff
	s_add_co_i32 s14, s14, 1
	s_sub_co_i32 s3, s3, s11
	s_bfe_u32 s20, ttmp6, 0x40004
	s_mul_i32 s11, s5, s14
	s_mul_i32 s14, s3, s15
	;; [unrolled: 1-line block ×3, first 2 shown]
	s_add_co_i32 s20, s20, s11
	s_ashr_i32 s15, s14, 31
	s_ashr_i32 s25, s24, 31
	s_cmp_eq_u32 s43, 0
	s_mul_u64 s[38:39], s[40:41], s[34:35]
	s_cselect_b32 s20, s5, s20
	v_or_b32_e32 v42, 7, v83
	v_add_nc_u32_e32 v87, 0x2400, v85
	v_mbcnt_lo_u32_b32 v84, -1, 0
	s_add_nc_u64 s[6:7], s[6:7], s[14:15]
	s_sub_co_i32 s3, s2, 64
	s_lshl_b32 s14, s20, 6
	s_add_nc_u64 s[8:9], s[8:9], s[38:39]
	s_cmp_ge_i32 s14, s3
	s_add_nc_u64 s[24:25], s[8:9], s[24:25]
	s_cbranch_scc1 .LBB56_43
; %bb.7:
	v_mov_b32_e32 v25, 0
	v_lshl_add_u32 v14, v41, 2, v92
	s_lshl_b32 s8, s4, 4
	s_ashr_i32 s5, s4, 31
	s_cmp_lg_u64 s[36:37], 0
	v_mov_b32_e32 v55, v25
	v_mul_lo_u32 v26, s4, v14
	v_mul_lo_u32 v30, s10, v14
	s_cselect_b32 s26, -1, 0
	s_lshl_b32 s9, s10, 4
	v_mul_u64_e32 v[0:1], s[28:29], v[54:55]
	v_dual_mov_b32 v53, v25 :: v_dual_bitop2_b32 v0, 28, v86 bitop3:0x40
	v_dual_mov_b32 v51, v25 :: v_dual_mov_b32 v49, v25
	v_dual_mov_b32 v47, v25 :: v_dual_mov_b32 v45, v25
	v_mov_b32_e32 v43, v25
	s_delay_alu instid0(VALU_DEP_4) | instskip(NEXT) | instid1(VALU_DEP_4)
	v_mul_u64_e32 v[2:3], s[28:29], v[52:53]
	v_mul_u64_e32 v[4:5], s[28:29], v[50:51]
	;; [unrolled: 1-line block ×5, first 2 shown]
	v_lshlrev_b32_e32 v2, 2, v0
	v_mul_u64_e32 v[12:13], s[28:29], v[42:43]
	v_dual_add_nc_u32 v56, s8, v26 :: v_dual_ashrrev_i32 v27, 31, v26
	v_add_nc_u32_e32 v60, s9, v30
	v_mul_lo_u32 v101, v28, s30
	v_mad_u32_u24 v43, 0x90, v14, v2
	s_delay_alu instid0(VALU_DEP_4) | instskip(SKIP_2) | instid1(VALU_DEP_3)
	v_add_nc_u32_e32 v58, s8, v56
	v_lshl_or_b32 v96, v14, 7, v2
	v_dual_mov_b32 v16, v25 :: v_dual_mov_b32 v17, v25
	v_dual_mov_b32 v18, v25 :: v_dual_add_nc_u32 v62, s8, v58
	v_add_nc_u32_e32 v45, 0x900, v43
	v_dual_mov_b32 v19, v25 :: v_dual_mov_b32 v20, v25
	v_dual_mov_b32 v21, v25 :: v_dual_mov_b32 v22, v25
	v_dual_mov_b32 v23, v25 :: v_dual_add_nc_u32 v98, 0x1200, v43
	v_dual_add_nc_u32 v1, v54, v1 :: v_dual_ashrrev_i32 v57, 31, v56
	v_ashrrev_i32_e32 v63, 31, v62
	v_dual_mov_b32 v90, v25 :: v_dual_add_nc_u32 v99, 0x1b00, v43
	v_dual_mov_b32 v89, v25 :: v_dual_add_nc_u32 v100, 0x3400, v85
	v_dual_add_nc_u32 v3, v52, v3 :: v_dual_add_nc_u32 v4, v50, v5
	v_dual_add_nc_u32 v5, v48, v7 :: v_dual_add_nc_u32 v6, v46, v9
	v_dual_add_nc_u32 v7, v44, v11 :: v_dual_lshrrev_b32 v1, s21, v1
	s_delay_alu instid0(VALU_DEP_3) | instskip(NEXT) | instid1(VALU_DEP_3)
	v_dual_lshrrev_b32 v3, s21, v3 :: v_dual_add_nc_u32 v8, v42, v13
	v_dual_lshrrev_b32 v4, s21, v4 :: v_dual_lshrrev_b32 v5, s21, v5
	s_delay_alu instid0(VALU_DEP_3) | instskip(NEXT) | instid1(VALU_DEP_3)
	v_dual_lshrrev_b32 v6, s21, v6 :: v_dual_lshrrev_b32 v7, s21, v7
	v_dual_lshrrev_b32 v8, s21, v8 :: v_dual_ashrrev_i32 v59, 31, v58
	v_mul_lo_u32 v1, v1, s22
	v_mul_lo_u32 v3, v3, s22
	v_mul_lo_u32 v4, v4, s22
	v_mul_lo_u32 v5, v5, s22
	v_mul_lo_u32 v6, v6, s22
	v_mul_lo_u32 v7, v7, s22
	v_mul_lo_u32 v8, v8, s22
	v_dual_add_nc_u32 v64, s9, v60 :: v_dual_ashrrev_i32 v31, 31, v30
	v_dual_mov_b32 v91, v25 :: v_dual_add_nc_u32 v102, 0x800, v96
	v_dual_sub_nc_u32 v1, v54, v1 :: v_dual_sub_nc_u32 v3, v52, v3
	v_dual_sub_nc_u32 v4, v50, v4 :: v_dual_sub_nc_u32 v5, v48, v5
	;; [unrolled: 1-line block ×3, first 2 shown]
	v_sub_nc_u32_e32 v8, v42, v8
	s_delay_alu instid0(VALU_DEP_4)
	v_mul_lo_u32 v47, v1, s30
	v_mul_lo_u32 v49, v3, s30
	;; [unrolled: 1-line block ×7, first 2 shown]
	v_lshlrev_b32_e32 v1, 4, v40
	v_dual_add_nc_u32 v66, s9, v64 :: v_dual_ashrrev_i32 v65, 31, v64
	v_ashrrev_i32_e32 v61, 31, v60
	s_delay_alu instid0(VALU_DEP_3) | instskip(NEXT) | instid1(VALU_DEP_3)
	v_dual_lshlrev_b32 v24, 2, v0 :: v_dual_add_nc_u32 v97, v87, v1
	v_ashrrev_i32_e32 v67, 31, v66
	v_dual_mov_b32 v106, v25 :: v_dual_add_nc_u32 v103, 0x1000, v96
	v_dual_mov_b32 v93, v25 :: v_dual_add_nc_u32 v104, 0x1800, v96
	v_dual_mov_b32 v117, 0xfeffffff :: v_dual_mov_b32 v108, v25
	v_mbcnt_lo_u32_b32 v105, -1, 0
	v_dual_mov_b32 v107, v25 :: v_dual_mov_b32 v109, v25
	v_dual_mov_b32 v116, 0xfeffffff :: v_dual_mov_b32 v115, 0xfeffffff
	;; [unrolled: 1-line block ×4, first 2 shown]
	v_mov_b32_e32 v110, 0xfeffffff
	s_ashr_i32 s11, s10, 31
	s_add_nc_u64 s[8:9], s[0:1], 0xd0
.LBB56_8:                               ; =>This Inner Loop Header: Depth=1
	s_ashr_i32 s15, s14, 31
	v_dual_mov_b32 v121, 0 :: v_dual_mov_b32 v130, 0
	s_mul_u64 s[38:39], s[14:15], s[4:5]
	v_dual_mov_b32 v123, 0 :: v_dual_mov_b32 v122, 0
	s_lshl_b64 s[38:39], s[38:39], 2
	v_mov_b32_e32 v119, 0
	s_add_nc_u64 s[38:39], s[6:7], s[38:39]
	v_dual_mov_b32 v118, 0 :: v_dual_mov_b32 v126, 0
	v_lshl_add_u64 v[0:1], v[26:27], 2, s[38:39]
	v_lshl_add_u64 v[2:3], v[56:57], 2, s[38:39]
	;; [unrolled: 1-line block ×4, first 2 shown]
	v_dual_mov_b32 v129, 0 :: v_dual_mov_b32 v131, 0
	v_add_nc_u64_e32 v[32:33], v[0:1], v[24:25]
	v_add_nc_u64_e32 v[34:35], v[2:3], v[24:25]
	v_add_nc_u64_e32 v[36:37], v[4:5], v[24:25]
	v_add_nc_u64_e32 v[38:39], v[6:7], v[24:25]
	s_clause 0x3
	global_load_b128 v[0:3], v[32:33], off
	global_load_b128 v[4:7], v[34:35], off
	;; [unrolled: 1-line block ×4, first 2 shown]
	s_wait_xcnt 0x0
	v_dual_mov_b32 v39, 0 :: v_dual_mov_b32 v36, 0
	v_dual_mov_b32 v34, 0 :: v_dual_mov_b32 v35, 0
	;; [unrolled: 1-line block ×3, first 2 shown]
	v_dual_mov_b32 v37, 0 :: v_dual_add_nc_u32 v32, s14, v40
	v_mov_b32_e32 v124, 0
	s_and_not1_b32 vcc_lo, exec_lo, s26
	s_wait_loadcnt 0x3
	ds_store_b128 v43, v[0:3]
	s_wait_loadcnt 0x2
	ds_store_b128 v45, v[4:7]
	;; [unrolled: 2-line block ×4, first 2 shown]
	s_wait_dscnt 0x0
	s_barrier_signal -1
	s_barrier_wait -1
	ds_load_b128 v[0:3], v29
	ds_load_b128 v[4:7], v100
	ds_load_b128 v[8:11], v100 offset:128
	ds_load_b128 v[12:15], v100 offset:256
	;; [unrolled: 1-line block ×8, first 2 shown]
	v_add_nc_u32_e32 v33, v32, v101
	s_wait_dscnt 0x8
	;;#ASMSTART
	v_dot2_f32_f16 v39, v0, v4, v39
	;;#ASMEND
	;;#ASMSTART
	v_dot2_f32_f16 v39, v1, v5, v39
	;;#ASMEND
	;;#ASMSTART
	v_dot2_f32_f16 v39, v2, v6, v39
	;;#ASMEND
	;;#ASMSTART
	v_dot2_f32_f16 v39, v3, v7, v39
	;;#ASMEND
	s_wait_dscnt 0x7
	;;#ASMSTART
	v_dot2_f32_f16 v36, v0, v8, v36
	;;#ASMEND
	;;#ASMSTART
	v_dot2_f32_f16 v36, v1, v9, v36
	;;#ASMEND
	;;#ASMSTART
	v_dot2_f32_f16 v36, v2, v10, v36
	;;#ASMEND
	;;#ASMSTART
	v_dot2_f32_f16 v36, v3, v11, v36
	;;#ASMEND
	;; [unrolled: 13-line block ×8, first 2 shown]
	;;#ASMSTART
	v_dot2_f32_f16 v123, v136, v4, v123
	;;#ASMEND
	;;#ASMSTART
	v_dot2_f32_f16 v123, v137, v5, v123
	;;#ASMEND
	;; [unrolled: 3-line block ×32, first 2 shown]
	ds_load_b128 v[0:3], v29 offset:16
	ds_load_b128 v[4:7], v100 offset:16
	;; [unrolled: 1-line block ×10, first 2 shown]
	s_wait_dscnt 0x8
	;;#ASMSTART
	v_dot2_f32_f16 v39, v0, v4, v39
	;;#ASMEND
	;;#ASMSTART
	v_dot2_f32_f16 v39, v1, v5, v39
	;;#ASMEND
	;;#ASMSTART
	v_dot2_f32_f16 v39, v2, v6, v39
	;;#ASMEND
	;;#ASMSTART
	v_dot2_f32_f16 v39, v3, v7, v39
	;;#ASMEND
	s_wait_dscnt 0x7
	;;#ASMSTART
	v_dot2_f32_f16 v36, v0, v8, v36
	;;#ASMEND
	;;#ASMSTART
	v_dot2_f32_f16 v36, v1, v9, v36
	;;#ASMEND
	;;#ASMSTART
	v_dot2_f32_f16 v36, v2, v10, v36
	;;#ASMEND
	;;#ASMSTART
	v_dot2_f32_f16 v36, v3, v11, v36
	;;#ASMEND
	;; [unrolled: 13-line block ×8, first 2 shown]
	;;#ASMSTART
	v_dot2_f32_f16 v123, v136, v4, v123
	;;#ASMEND
	;;#ASMSTART
	v_dot2_f32_f16 v123, v137, v5, v123
	;;#ASMEND
	;;#ASMSTART
	v_dot2_f32_f16 v123, v138, v6, v123
	;;#ASMEND
	;;#ASMSTART
	v_dot2_f32_f16 v123, v139, v7, v123
	;;#ASMEND
	;;#ASMSTART
	v_dot2_f32_f16 v122, v136, v8, v122
	;;#ASMEND
	;;#ASMSTART
	v_dot2_f32_f16 v122, v137, v9, v122
	;;#ASMEND
	;;#ASMSTART
	v_dot2_f32_f16 v122, v138, v10, v122
	;;#ASMEND
	;;#ASMSTART
	v_dot2_f32_f16 v122, v139, v11, v122
	;;#ASMEND
	;;#ASMSTART
	v_dot2_f32_f16 v119, v136, v12, v119
	;;#ASMEND
	;;#ASMSTART
	v_dot2_f32_f16 v119, v137, v13, v119
	;;#ASMEND
	;;#ASMSTART
	v_dot2_f32_f16 v119, v138, v14, v119
	;;#ASMEND
	;;#ASMSTART
	v_dot2_f32_f16 v119, v139, v15, v119
	;;#ASMEND
	;;#ASMSTART
	v_dot2_f32_f16 v37, v136, v132, v37
	;;#ASMEND
	;;#ASMSTART
	v_dot2_f32_f16 v37, v137, v133, v37
	;;#ASMEND
	;;#ASMSTART
	v_dot2_f32_f16 v37, v138, v134, v37
	;;#ASMEND
	;;#ASMSTART
	v_dot2_f32_f16 v37, v139, v135, v37
	;;#ASMEND
	;;#ASMSTART
	v_dot2_f32_f16 v118, v136, v140, v118
	;;#ASMEND
	;;#ASMSTART
	v_dot2_f32_f16 v118, v137, v141, v118
	;;#ASMEND
	;;#ASMSTART
	v_dot2_f32_f16 v118, v138, v142, v118
	;;#ASMEND
	;;#ASMSTART
	v_dot2_f32_f16 v118, v139, v143, v118
	;;#ASMEND
	;;#ASMSTART
	v_dot2_f32_f16 v126, v136, v144, v126
	;;#ASMEND
	;;#ASMSTART
	v_dot2_f32_f16 v126, v137, v145, v126
	;;#ASMEND
	;;#ASMSTART
	v_dot2_f32_f16 v126, v138, v146, v126
	;;#ASMEND
	;;#ASMSTART
	v_dot2_f32_f16 v126, v139, v147, v126
	;;#ASMEND
	;;#ASMSTART
	v_dot2_f32_f16 v129, v136, v148, v129
	;;#ASMEND
	;;#ASMSTART
	v_dot2_f32_f16 v129, v137, v149, v129
	;;#ASMEND
	;;#ASMSTART
	v_dot2_f32_f16 v129, v138, v150, v129
	;;#ASMEND
	;;#ASMSTART
	v_dot2_f32_f16 v129, v139, v151, v129
	;;#ASMEND
	;;#ASMSTART
	v_dot2_f32_f16 v131, v136, v152, v131
	;;#ASMEND
	;;#ASMSTART
	v_dot2_f32_f16 v131, v137, v153, v131
	;;#ASMEND
	;;#ASMSTART
	v_dot2_f32_f16 v131, v138, v154, v131
	;;#ASMEND
	;;#ASMSTART
	v_dot2_f32_f16 v131, v139, v155, v131
	;;#ASMEND
	ds_load_b128 v[0:3], v29 offset:32
	ds_load_b128 v[4:7], v100 offset:32
	;; [unrolled: 1-line block ×10, first 2 shown]
	s_wait_dscnt 0x8
	;;#ASMSTART
	v_dot2_f32_f16 v39, v0, v4, v39
	;;#ASMEND
	;;#ASMSTART
	v_dot2_f32_f16 v39, v1, v5, v39
	;;#ASMEND
	;;#ASMSTART
	v_dot2_f32_f16 v39, v2, v6, v39
	;;#ASMEND
	;;#ASMSTART
	v_dot2_f32_f16 v39, v3, v7, v39
	;;#ASMEND
	s_wait_dscnt 0x7
	;;#ASMSTART
	v_dot2_f32_f16 v36, v0, v8, v36
	;;#ASMEND
	;;#ASMSTART
	v_dot2_f32_f16 v36, v1, v9, v36
	;;#ASMEND
	;;#ASMSTART
	v_dot2_f32_f16 v36, v2, v10, v36
	;;#ASMEND
	;;#ASMSTART
	v_dot2_f32_f16 v36, v3, v11, v36
	;;#ASMEND
	;; [unrolled: 13-line block ×8, first 2 shown]
	;;#ASMSTART
	v_dot2_f32_f16 v123, v136, v4, v123
	;;#ASMEND
	;;#ASMSTART
	v_dot2_f32_f16 v123, v137, v5, v123
	;;#ASMEND
	;; [unrolled: 3-line block ×32, first 2 shown]
	ds_load_b128 v[0:3], v29 offset:48
	ds_load_b128 v[4:7], v100 offset:48
	;; [unrolled: 1-line block ×10, first 2 shown]
	s_wait_dscnt 0x8
	;;#ASMSTART
	v_dot2_f32_f16 v39, v0, v4, v39
	;;#ASMEND
	;;#ASMSTART
	v_dot2_f32_f16 v39, v1, v5, v39
	;;#ASMEND
	;;#ASMSTART
	v_dot2_f32_f16 v39, v2, v6, v39
	;;#ASMEND
	;;#ASMSTART
	v_dot2_f32_f16 v39, v3, v7, v39
	;;#ASMEND
	s_wait_dscnt 0x7
	;;#ASMSTART
	v_dot2_f32_f16 v36, v0, v8, v36
	;;#ASMEND
	;;#ASMSTART
	v_dot2_f32_f16 v36, v1, v9, v36
	;;#ASMEND
	;;#ASMSTART
	v_dot2_f32_f16 v36, v2, v10, v36
	;;#ASMEND
	;;#ASMSTART
	v_dot2_f32_f16 v36, v3, v11, v36
	;;#ASMEND
	s_wait_dscnt 0x6
	;;#ASMSTART
	v_dot2_f32_f16 v34, v0, v12, v34
	;;#ASMEND
	;;#ASMSTART
	v_dot2_f32_f16 v34, v1, v13, v34
	;;#ASMEND
	;;#ASMSTART
	v_dot2_f32_f16 v34, v2, v14, v34
	;;#ASMEND
	;;#ASMSTART
	v_dot2_f32_f16 v34, v3, v15, v34
	;;#ASMEND
	s_wait_dscnt 0x5
	;;#ASMSTART
	v_dot2_f32_f16 v35, v0, v132, v35
	;;#ASMEND
	;;#ASMSTART
	v_dot2_f32_f16 v35, v1, v133, v35
	;;#ASMEND
	;;#ASMSTART
	v_dot2_f32_f16 v35, v2, v134, v35
	;;#ASMEND
	;;#ASMSTART
	v_dot2_f32_f16 v35, v3, v135, v35
	;;#ASMEND
	s_wait_dscnt 0x3
	;;#ASMSTART
	v_dot2_f32_f16 v38, v0, v140, v38
	;;#ASMEND
	;;#ASMSTART
	v_dot2_f32_f16 v38, v1, v141, v38
	;;#ASMEND
	;;#ASMSTART
	v_dot2_f32_f16 v38, v2, v142, v38
	;;#ASMEND
	;;#ASMSTART
	v_dot2_f32_f16 v38, v3, v143, v38
	;;#ASMEND
	s_wait_dscnt 0x2
	;;#ASMSTART
	v_dot2_f32_f16 v120, v0, v144, v120
	;;#ASMEND
	;;#ASMSTART
	v_dot2_f32_f16 v120, v1, v145, v120
	;;#ASMEND
	;;#ASMSTART
	v_dot2_f32_f16 v120, v2, v146, v120
	;;#ASMEND
	;;#ASMSTART
	v_dot2_f32_f16 v120, v3, v147, v120
	;;#ASMEND
	s_wait_dscnt 0x1
	;;#ASMSTART
	v_dot2_f32_f16 v121, v0, v148, v121
	;;#ASMEND
	;;#ASMSTART
	v_dot2_f32_f16 v121, v1, v149, v121
	;;#ASMEND
	;;#ASMSTART
	v_dot2_f32_f16 v121, v2, v150, v121
	;;#ASMEND
	;;#ASMSTART
	v_dot2_f32_f16 v121, v3, v151, v121
	;;#ASMEND
	s_wait_dscnt 0x0
	;;#ASMSTART
	v_dot2_f32_f16 v130, v0, v152, v130
	;;#ASMEND
	;;#ASMSTART
	v_dot2_f32_f16 v130, v1, v153, v130
	;;#ASMEND
	;;#ASMSTART
	v_dot2_f32_f16 v130, v2, v154, v130
	;;#ASMEND
	;;#ASMSTART
	v_dot2_f32_f16 v130, v3, v155, v130
	;;#ASMEND
	;;#ASMSTART
	v_dot2_f32_f16 v123, v136, v4, v123
	;;#ASMEND
	;;#ASMSTART
	v_dot2_f32_f16 v123, v137, v5, v123
	;;#ASMEND
	;; [unrolled: 3-line block ×32, first 2 shown]
	ds_load_b128 v[0:3], v29 offset:64
	ds_load_b128 v[4:7], v100 offset:64
	;; [unrolled: 1-line block ×10, first 2 shown]
	s_wait_dscnt 0x8
	;;#ASMSTART
	v_dot2_f32_f16 v39, v0, v4, v39
	;;#ASMEND
	;;#ASMSTART
	v_dot2_f32_f16 v39, v1, v5, v39
	;;#ASMEND
	;;#ASMSTART
	v_dot2_f32_f16 v39, v2, v6, v39
	;;#ASMEND
	;;#ASMSTART
	v_dot2_f32_f16 v39, v3, v7, v39
	;;#ASMEND
	s_wait_dscnt 0x7
	;;#ASMSTART
	v_dot2_f32_f16 v36, v0, v8, v36
	;;#ASMEND
	;;#ASMSTART
	v_dot2_f32_f16 v36, v1, v9, v36
	;;#ASMEND
	;;#ASMSTART
	v_dot2_f32_f16 v36, v2, v10, v36
	;;#ASMEND
	;;#ASMSTART
	v_dot2_f32_f16 v36, v3, v11, v36
	;;#ASMEND
	;; [unrolled: 13-line block ×8, first 2 shown]
	;;#ASMSTART
	v_dot2_f32_f16 v123, v136, v4, v123
	;;#ASMEND
	;;#ASMSTART
	v_dot2_f32_f16 v123, v137, v5, v123
	;;#ASMEND
	;; [unrolled: 3-line block ×32, first 2 shown]
	ds_load_b128 v[0:3], v29 offset:80
	ds_load_b128 v[4:7], v100 offset:80
	;; [unrolled: 1-line block ×10, first 2 shown]
	s_wait_dscnt 0x8
	;;#ASMSTART
	v_dot2_f32_f16 v39, v0, v4, v39
	;;#ASMEND
	;;#ASMSTART
	v_dot2_f32_f16 v39, v1, v5, v39
	;;#ASMEND
	;;#ASMSTART
	v_dot2_f32_f16 v39, v2, v6, v39
	;;#ASMEND
	;;#ASMSTART
	v_dot2_f32_f16 v39, v3, v7, v39
	;;#ASMEND
	s_wait_dscnt 0x7
	;;#ASMSTART
	v_dot2_f32_f16 v36, v0, v8, v36
	;;#ASMEND
	;;#ASMSTART
	v_dot2_f32_f16 v36, v1, v9, v36
	;;#ASMEND
	;;#ASMSTART
	v_dot2_f32_f16 v36, v2, v10, v36
	;;#ASMEND
	;;#ASMSTART
	v_dot2_f32_f16 v36, v3, v11, v36
	;;#ASMEND
	;; [unrolled: 13-line block ×8, first 2 shown]
	;;#ASMSTART
	v_dot2_f32_f16 v123, v136, v4, v123
	;;#ASMEND
	;;#ASMSTART
	v_dot2_f32_f16 v123, v137, v5, v123
	;;#ASMEND
	;; [unrolled: 3-line block ×32, first 2 shown]
	ds_load_b128 v[0:3], v29 offset:96
	ds_load_b128 v[4:7], v100 offset:96
	;; [unrolled: 1-line block ×10, first 2 shown]
	s_wait_dscnt 0x8
	;;#ASMSTART
	v_dot2_f32_f16 v39, v0, v4, v39
	;;#ASMEND
	;;#ASMSTART
	v_dot2_f32_f16 v39, v1, v5, v39
	;;#ASMEND
	;;#ASMSTART
	v_dot2_f32_f16 v39, v2, v6, v39
	;;#ASMEND
	;;#ASMSTART
	v_dot2_f32_f16 v39, v3, v7, v39
	;;#ASMEND
	s_wait_dscnt 0x7
	;;#ASMSTART
	v_dot2_f32_f16 v36, v0, v8, v36
	;;#ASMEND
	;;#ASMSTART
	v_dot2_f32_f16 v36, v1, v9, v36
	;;#ASMEND
	;;#ASMSTART
	v_dot2_f32_f16 v36, v2, v10, v36
	;;#ASMEND
	;;#ASMSTART
	v_dot2_f32_f16 v36, v3, v11, v36
	;;#ASMEND
	;; [unrolled: 13-line block ×8, first 2 shown]
	;;#ASMSTART
	v_dot2_f32_f16 v123, v136, v4, v123
	;;#ASMEND
	;;#ASMSTART
	v_dot2_f32_f16 v123, v137, v5, v123
	;;#ASMEND
	;; [unrolled: 3-line block ×32, first 2 shown]
	ds_load_b128 v[0:3], v29 offset:112
	ds_load_b128 v[4:7], v100 offset:112
	;; [unrolled: 1-line block ×10, first 2 shown]
	s_wait_dscnt 0x8
	;;#ASMSTART
	v_dot2_f32_f16 v39, v0, v4, v39
	;;#ASMEND
	;;#ASMSTART
	v_dot2_f32_f16 v39, v1, v5, v39
	;;#ASMEND
	;;#ASMSTART
	v_dot2_f32_f16 v39, v2, v6, v39
	;;#ASMEND
	;;#ASMSTART
	v_dot2_f32_f16 v39, v3, v7, v39
	;;#ASMEND
	s_wait_dscnt 0x7
	;;#ASMSTART
	v_dot2_f32_f16 v36, v0, v8, v36
	;;#ASMEND
	;;#ASMSTART
	v_dot2_f32_f16 v36, v1, v9, v36
	;;#ASMEND
	;;#ASMSTART
	v_dot2_f32_f16 v36, v2, v10, v36
	;;#ASMEND
	;;#ASMSTART
	v_dot2_f32_f16 v36, v3, v11, v36
	;;#ASMEND
	s_wait_dscnt 0x6
	;;#ASMSTART
	v_dot2_f32_f16 v34, v0, v12, v34
	;;#ASMEND
	;;#ASMSTART
	v_dot2_f32_f16 v34, v1, v13, v34
	;;#ASMEND
	;;#ASMSTART
	v_dot2_f32_f16 v34, v2, v14, v34
	;;#ASMEND
	;;#ASMSTART
	v_dot2_f32_f16 v34, v3, v15, v34
	;;#ASMEND
	s_wait_dscnt 0x5
	;;#ASMSTART
	v_dot2_f32_f16 v35, v0, v132, v35
	;;#ASMEND
	;;#ASMSTART
	v_dot2_f32_f16 v35, v1, v133, v35
	;;#ASMEND
	;;#ASMSTART
	v_dot2_f32_f16 v35, v2, v134, v35
	;;#ASMEND
	;;#ASMSTART
	v_dot2_f32_f16 v35, v3, v135, v35
	;;#ASMEND
	s_wait_dscnt 0x3
	;;#ASMSTART
	v_dot2_f32_f16 v38, v0, v140, v38
	;;#ASMEND
	;;#ASMSTART
	v_dot2_f32_f16 v38, v1, v141, v38
	;;#ASMEND
	;;#ASMSTART
	v_dot2_f32_f16 v38, v2, v142, v38
	;;#ASMEND
	;;#ASMSTART
	v_dot2_f32_f16 v38, v3, v143, v38
	;;#ASMEND
	s_wait_dscnt 0x2
	;;#ASMSTART
	v_dot2_f32_f16 v120, v0, v144, v120
	;;#ASMEND
	;;#ASMSTART
	v_dot2_f32_f16 v120, v1, v145, v120
	;;#ASMEND
	;;#ASMSTART
	v_dot2_f32_f16 v120, v2, v146, v120
	;;#ASMEND
	;;#ASMSTART
	v_dot2_f32_f16 v120, v3, v147, v120
	;;#ASMEND
	s_wait_dscnt 0x1
	;;#ASMSTART
	v_dot2_f32_f16 v121, v0, v148, v121
	;;#ASMEND
	;;#ASMSTART
	v_dot2_f32_f16 v121, v1, v149, v121
	;;#ASMEND
	;;#ASMSTART
	v_dot2_f32_f16 v121, v2, v150, v121
	;;#ASMEND
	;;#ASMSTART
	v_dot2_f32_f16 v121, v3, v151, v121
	;;#ASMEND
	s_wait_dscnt 0x0
	;;#ASMSTART
	v_dot2_f32_f16 v130, v0, v152, v130
	;;#ASMEND
	;;#ASMSTART
	v_dot2_f32_f16 v130, v1, v153, v130
	;;#ASMEND
	;;#ASMSTART
	v_dot2_f32_f16 v130, v2, v154, v130
	;;#ASMEND
	;;#ASMSTART
	v_dot2_f32_f16 v130, v3, v155, v130
	;;#ASMEND
	;;#ASMSTART
	v_dot2_f32_f16 v123, v136, v4, v123
	;;#ASMEND
	;;#ASMSTART
	v_dot2_f32_f16 v123, v137, v5, v123
	;;#ASMEND
	;; [unrolled: 3-line block ×32, first 2 shown]
	s_cbranch_vccnz .LBB56_10
; %bb.9:                                ;   in Loop: Header=BB56_8 Depth=1
	global_load_u16 v0, v33, s[36:37] scale_offset
	s_wait_loadcnt 0x0
	v_cvt_f32_f16_e32 v0, v0
	s_delay_alu instid0(VALU_DEP_1)
	v_mul_f32_e32 v124, v88, v0
.LBB56_10:                              ;   in Loop: Header=BB56_8 Depth=1
	v_dual_mov_b32 v3, 0 :: v_dual_mov_b32 v1, 0
	s_and_not1_b32 vcc_lo, exec_lo, s26
	s_cbranch_vccnz .LBB56_12
; %bb.11:                               ;   in Loop: Header=BB56_8 Depth=1
	global_load_u16 v0, v33, s[36:37] offset:64 scale_offset
	s_wait_loadcnt 0x0
	v_cvt_f32_f16_e32 v0, v0
	s_delay_alu instid0(VALU_DEP_1)
	v_mul_f32_e32 v1, v88, v0
.LBB56_12:                              ;   in Loop: Header=BB56_8 Depth=1
	s_delay_alu instid0(VALU_DEP_2) | instskip(NEXT) | instid1(VALU_DEP_2)
	v_dual_add_f32 v0, v39, v124 :: v_dual_bitop2_b32 v2, 16, v105 bitop3:0x14
	v_add_f32_e32 v1, v123, v1
	v_xor_b32_e32 v6, 8, v105
	s_delay_alu instid0(VALU_DEP_3) | instskip(NEXT) | instid1(VALU_DEP_4)
	v_add_f32_e32 v4, 0x40051340, v0
	v_cmp_gt_i32_e32 vcc_lo, 32, v2
	s_delay_alu instid0(VALU_DEP_4) | instskip(NEXT) | instid1(VALU_DEP_1)
	v_dual_add_f32 v5, 0x40051340, v1 :: v_dual_cndmask_b32 v2, v105, v2
	v_max3_num_f32 v5, v117, v4, v5
	v_cmp_gt_i32_e32 vcc_lo, 32, v6
	s_delay_alu instid0(VALU_DEP_3) | instskip(SKIP_3) | instid1(VALU_DEP_1)
	v_lshlrev_b32_e32 v2, 2, v2
	ds_bpermute_b32 v4, v2, v5
	s_wait_dscnt 0x0
	v_dual_cndmask_b32 v6, v105, v6 :: v_dual_max_num_f32 v7, v4, v4
	v_dual_max_num_f32 v5, v5, v7 :: v_dual_lshlrev_b32 v4, 2, v6
	ds_bpermute_b32 v6, v4, v5
	s_wait_dscnt 0x0
	v_dual_max_num_f32 v6, v6, v6 :: v_dual_bitop2_b32 v7, 4, v105 bitop3:0x14
	s_delay_alu instid0(VALU_DEP_1) | instskip(NEXT) | instid1(VALU_DEP_2)
	v_cmp_gt_i32_e32 vcc_lo, 32, v7
	v_max_num_f32_e32 v5, v5, v6
	v_cndmask_b32_e32 v7, v105, v7, vcc_lo
	s_delay_alu instid0(VALU_DEP_1) | instskip(SKIP_3) | instid1(VALU_DEP_1)
	v_lshlrev_b32_e32 v8, 2, v7
	ds_bpermute_b32 v6, v8, v5
	s_wait_dscnt 0x0
	v_dual_max_num_f32 v6, v6, v6 :: v_dual_bitop2_b32 v7, 2, v105 bitop3:0x14
	v_max_num_f32_e32 v5, v5, v6
	s_delay_alu instid0(VALU_DEP_2) | instskip(SKIP_1) | instid1(VALU_DEP_1)
	v_cmp_gt_i32_e32 vcc_lo, 32, v7
	v_cndmask_b32_e32 v7, v105, v7, vcc_lo
	v_dual_lshlrev_b32 v10, 2, v7 :: v_dual_bitop2_b32 v7, 1, v105 bitop3:0x14
	ds_bpermute_b32 v6, v10, v5
	v_cmp_gt_i32_e32 vcc_lo, 32, v7
	v_cndmask_b32_e32 v7, v105, v7, vcc_lo
	s_and_not1_b32 vcc_lo, exec_lo, s26
	s_wait_dscnt 0x0
	s_delay_alu instid0(VALU_DEP_1) | instskip(NEXT) | instid1(VALU_DEP_1)
	v_dual_max_num_f32 v6, v6, v6 :: v_dual_lshlrev_b32 v11, 2, v7
	v_dual_max_num_f32 v12, v5, v6 :: v_dual_add_nc_u32 v5, v32, v47
	ds_bpermute_b32 v39, v11, v12
	s_cbranch_vccnz .LBB56_14
; %bb.13:                               ;   in Loop: Header=BB56_8 Depth=1
	global_load_u16 v3, v5, s[36:37] scale_offset
	s_wait_loadcnt 0x0
	v_cvt_f32_f16_e32 v3, v3
	s_delay_alu instid0(VALU_DEP_1)
	v_mul_f32_e32 v3, v88, v3
.LBB56_14:                              ;   in Loop: Header=BB56_8 Depth=1
	v_dual_mov_b32 v6, 0 :: v_dual_mov_b32 v7, 0
	s_and_not1_b32 vcc_lo, exec_lo, s26
	s_cbranch_vccnz .LBB56_16
; %bb.15:                               ;   in Loop: Header=BB56_8 Depth=1
	global_load_u16 v5, v5, s[36:37] offset:64 scale_offset
	s_wait_loadcnt 0x0
	v_cvt_f32_f16_e32 v5, v5
	s_delay_alu instid0(VALU_DEP_1)
	v_mul_f32_e32 v7, v88, v5
.LBB56_16:                              ;   in Loop: Header=BB56_8 Depth=1
	s_delay_alu instid0(VALU_DEP_2) | instskip(NEXT) | instid1(VALU_DEP_2)
	v_add_f32_e32 v5, v36, v3
	v_add_f32_e32 v3, v122, v7
	s_and_not1_b32 vcc_lo, exec_lo, s26
	s_delay_alu instid0(VALU_DEP_2) | instskip(NEXT) | instid1(VALU_DEP_2)
	v_add_f32_e32 v7, 0x40051340, v5
	v_add_f32_e32 v9, 0x40051340, v3
	s_delay_alu instid0(VALU_DEP_1) | instskip(SKIP_3) | instid1(VALU_DEP_1)
	v_max3_num_f32 v7, v116, v7, v9
	ds_bpermute_b32 v9, v2, v7
	s_wait_dscnt 0x0
	v_max_num_f32_e32 v9, v9, v9
	v_max_num_f32_e32 v7, v7, v9
	ds_bpermute_b32 v9, v4, v7
	s_wait_dscnt 0x0
	v_max_num_f32_e32 v9, v9, v9
	s_delay_alu instid0(VALU_DEP_1) | instskip(SKIP_3) | instid1(VALU_DEP_1)
	v_max_num_f32_e32 v7, v7, v9
	ds_bpermute_b32 v9, v8, v7
	s_wait_dscnt 0x0
	v_max_num_f32_e32 v9, v9, v9
	v_max_num_f32_e32 v7, v7, v9
	ds_bpermute_b32 v9, v10, v7
	s_wait_dscnt 0x0
	v_max_num_f32_e32 v9, v9, v9
	s_delay_alu instid0(VALU_DEP_1)
	v_max_num_f32_e32 v33, v7, v9
	v_add_nc_u32_e32 v7, v32, v49
	ds_bpermute_b32 v122, v11, v33
	s_cbranch_vccnz .LBB56_18
; %bb.17:                               ;   in Loop: Header=BB56_8 Depth=1
	global_load_u16 v6, v7, s[36:37] scale_offset
	s_wait_loadcnt 0x0
	v_cvt_f32_f16_e32 v6, v6
	s_delay_alu instid0(VALU_DEP_1)
	v_mul_f32_e32 v6, v88, v6
.LBB56_18:                              ;   in Loop: Header=BB56_8 Depth=1
	v_dual_mov_b32 v9, 0 :: v_dual_mov_b32 v13, 0
	s_and_not1_b32 vcc_lo, exec_lo, s26
	s_cbranch_vccnz .LBB56_20
; %bb.19:                               ;   in Loop: Header=BB56_8 Depth=1
	global_load_u16 v7, v7, s[36:37] offset:64 scale_offset
	s_wait_loadcnt 0x0
	v_cvt_f32_f16_e32 v7, v7
	s_delay_alu instid0(VALU_DEP_1)
	v_mul_f32_e32 v13, v88, v7
.LBB56_20:                              ;   in Loop: Header=BB56_8 Depth=1
	s_delay_alu instid0(VALU_DEP_1) | instskip(SKIP_1) | instid1(VALU_DEP_1)
	v_dual_add_f32 v6, v34, v6 :: v_dual_add_f32 v7, v119, v13
	s_and_not1_b32 vcc_lo, exec_lo, s26
	v_dual_add_f32 v13, 0x40051340, v6 :: v_dual_add_f32 v14, 0x40051340, v7
	s_delay_alu instid0(VALU_DEP_1) | instskip(SKIP_3) | instid1(VALU_DEP_1)
	v_max3_num_f32 v13, v115, v13, v14
	ds_bpermute_b32 v14, v2, v13
	s_wait_dscnt 0x0
	v_max_num_f32_e32 v14, v14, v14
	v_max_num_f32_e32 v13, v13, v14
	ds_bpermute_b32 v14, v4, v13
	s_wait_dscnt 0x0
	v_max_num_f32_e32 v14, v14, v14
	s_delay_alu instid0(VALU_DEP_1) | instskip(SKIP_3) | instid1(VALU_DEP_1)
	v_max_num_f32_e32 v13, v13, v14
	ds_bpermute_b32 v14, v8, v13
	s_wait_dscnt 0x0
	v_max_num_f32_e32 v14, v14, v14
	v_max_num_f32_e32 v13, v13, v14
	ds_bpermute_b32 v14, v10, v13
	s_wait_dscnt 0x0
	v_max_num_f32_e32 v14, v14, v14
	s_delay_alu instid0(VALU_DEP_1)
	v_dual_max_num_f32 v34, v13, v14 :: v_dual_add_nc_u32 v13, v32, v51
	ds_bpermute_b32 v123, v11, v34
	s_cbranch_vccnz .LBB56_22
; %bb.21:                               ;   in Loop: Header=BB56_8 Depth=1
	global_load_u16 v9, v13, s[36:37] scale_offset
	s_wait_loadcnt 0x0
	v_cvt_f32_f16_e32 v9, v9
	s_delay_alu instid0(VALU_DEP_1)
	v_mul_f32_e32 v9, v88, v9
.LBB56_22:                              ;   in Loop: Header=BB56_8 Depth=1
	v_dual_mov_b32 v14, 0 :: v_dual_mov_b32 v15, 0
	s_and_not1_b32 vcc_lo, exec_lo, s26
	s_cbranch_vccnz .LBB56_24
; %bb.23:                               ;   in Loop: Header=BB56_8 Depth=1
	global_load_u16 v13, v13, s[36:37] offset:64 scale_offset
	s_wait_loadcnt 0x0
	v_cvt_f32_f16_e32 v13, v13
	s_delay_alu instid0(VALU_DEP_1)
	v_mul_f32_e32 v15, v88, v13
.LBB56_24:                              ;   in Loop: Header=BB56_8 Depth=1
	s_delay_alu instid0(VALU_DEP_1) | instskip(SKIP_2) | instid1(VALU_DEP_2)
	v_dual_add_f32 v13, v35, v9 :: v_dual_add_f32 v9, v37, v15
	s_and_not1_b32 vcc_lo, exec_lo, s26
	v_add_nc_u32_e32 v36, v32, v53
	v_add_f32_e32 v15, 0x40051340, v13
	s_delay_alu instid0(VALU_DEP_3) | instskip(NEXT) | instid1(VALU_DEP_1)
	v_add_f32_e32 v35, 0x40051340, v9
	v_max3_num_f32 v15, v114, v15, v35
	ds_bpermute_b32 v35, v2, v15
	s_wait_dscnt 0x0
	v_max_num_f32_e32 v35, v35, v35
	s_delay_alu instid0(VALU_DEP_1) | instskip(SKIP_3) | instid1(VALU_DEP_1)
	v_max_num_f32_e32 v15, v15, v35
	ds_bpermute_b32 v35, v4, v15
	s_wait_dscnt 0x0
	v_max_num_f32_e32 v35, v35, v35
	v_max_num_f32_e32 v15, v15, v35
	ds_bpermute_b32 v35, v8, v15
	s_wait_dscnt 0x0
	v_max_num_f32_e32 v35, v35, v35
	s_delay_alu instid0(VALU_DEP_1) | instskip(SKIP_3) | instid1(VALU_DEP_1)
	v_max_num_f32_e32 v15, v15, v35
	ds_bpermute_b32 v35, v10, v15
	s_wait_dscnt 0x0
	v_max_num_f32_e32 v35, v35, v35
	v_max_num_f32_e32 v35, v15, v35
	ds_bpermute_b32 v124, v11, v35
	s_cbranch_vccnz .LBB56_26
; %bb.25:                               ;   in Loop: Header=BB56_8 Depth=1
	global_load_u16 v14, v36, s[36:37] scale_offset
	s_wait_loadcnt 0x0
	v_cvt_f32_f16_e32 v14, v14
	s_delay_alu instid0(VALU_DEP_1)
	v_mul_f32_e32 v14, v88, v14
.LBB56_26:                              ;   in Loop: Header=BB56_8 Depth=1
	v_dual_mov_b32 v15, 0 :: v_dual_mov_b32 v37, 0
	s_and_not1_b32 vcc_lo, exec_lo, s26
	s_cbranch_vccnz .LBB56_28
; %bb.27:                               ;   in Loop: Header=BB56_8 Depth=1
	global_load_u16 v36, v36, s[36:37] offset:64 scale_offset
	s_wait_loadcnt 0x0
	v_cvt_f32_f16_e32 v36, v36
	s_delay_alu instid0(VALU_DEP_1)
	v_mul_f32_e32 v37, v88, v36
.LBB56_28:                              ;   in Loop: Header=BB56_8 Depth=1
	s_delay_alu instid0(VALU_DEP_2) | instskip(NEXT) | instid1(VALU_DEP_2)
	v_add_f32_e32 v119, v38, v14
	v_add_f32_e32 v14, v118, v37
	s_and_not1_b32 vcc_lo, exec_lo, s26
	s_delay_alu instid0(VALU_DEP_1) | instskip(NEXT) | instid1(VALU_DEP_1)
	v_dual_add_f32 v36, 0x40051340, v119 :: v_dual_add_f32 v37, 0x40051340, v14
	v_max3_num_f32 v36, v113, v36, v37
	ds_bpermute_b32 v37, v2, v36
	s_wait_dscnt 0x0
	v_max_num_f32_e32 v37, v37, v37
	s_delay_alu instid0(VALU_DEP_1) | instskip(SKIP_3) | instid1(VALU_DEP_1)
	v_max_num_f32_e32 v36, v36, v37
	ds_bpermute_b32 v37, v4, v36
	s_wait_dscnt 0x0
	v_max_num_f32_e32 v37, v37, v37
	v_max_num_f32_e32 v36, v36, v37
	ds_bpermute_b32 v37, v8, v36
	s_wait_dscnt 0x0
	v_max_num_f32_e32 v37, v37, v37
	s_delay_alu instid0(VALU_DEP_1) | instskip(SKIP_3) | instid1(VALU_DEP_1)
	v_max_num_f32_e32 v36, v36, v37
	ds_bpermute_b32 v37, v10, v36
	s_wait_dscnt 0x0
	v_max_num_f32_e32 v37, v37, v37
	v_max_num_f32_e32 v36, v36, v37
	v_add_nc_u32_e32 v37, v32, v55
	ds_bpermute_b32 v125, v11, v36
	s_cbranch_vccnz .LBB56_30
; %bb.29:                               ;   in Loop: Header=BB56_8 Depth=1
	global_load_u16 v15, v37, s[36:37] scale_offset
	s_wait_loadcnt 0x0
	v_cvt_f32_f16_e32 v15, v15
	s_delay_alu instid0(VALU_DEP_1)
	v_mul_f32_e32 v15, v88, v15
.LBB56_30:                              ;   in Loop: Header=BB56_8 Depth=1
	v_dual_mov_b32 v38, 0 :: v_dual_mov_b32 v118, 0
	s_and_not1_b32 vcc_lo, exec_lo, s26
	s_cbranch_vccnz .LBB56_32
; %bb.31:                               ;   in Loop: Header=BB56_8 Depth=1
	global_load_u16 v37, v37, s[36:37] offset:64 scale_offset
	s_wait_loadcnt 0x0
	v_cvt_f32_f16_e32 v37, v37
	s_delay_alu instid0(VALU_DEP_1)
	v_mul_f32_e32 v118, v88, v37
.LBB56_32:                              ;   in Loop: Header=BB56_8 Depth=1
	s_delay_alu instid0(VALU_DEP_1) | instskip(SKIP_1) | instid1(VALU_DEP_1)
	v_dual_add_f32 v120, v120, v15 :: v_dual_add_f32 v15, v126, v118
	s_and_not1_b32 vcc_lo, exec_lo, s26
	v_dual_add_f32 v37, 0x40051340, v120 :: v_dual_add_f32 v118, 0x40051340, v15
	s_delay_alu instid0(VALU_DEP_1) | instskip(SKIP_3) | instid1(VALU_DEP_1)
	v_max3_num_f32 v37, v112, v37, v118
	ds_bpermute_b32 v118, v2, v37
	s_wait_dscnt 0x0
	v_max_num_f32_e32 v118, v118, v118
	v_max_num_f32_e32 v37, v37, v118
	ds_bpermute_b32 v118, v4, v37
	s_wait_dscnt 0x0
	v_max_num_f32_e32 v118, v118, v118
	s_delay_alu instid0(VALU_DEP_1) | instskip(SKIP_3) | instid1(VALU_DEP_1)
	v_max_num_f32_e32 v37, v37, v118
	ds_bpermute_b32 v118, v8, v37
	s_wait_dscnt 0x0
	v_max_num_f32_e32 v118, v118, v118
	v_max_num_f32_e32 v37, v37, v118
	ds_bpermute_b32 v118, v10, v37
	s_wait_dscnt 0x0
	v_max_num_f32_e32 v118, v118, v118
	s_delay_alu instid0(VALU_DEP_1)
	v_max_num_f32_e32 v37, v37, v118
	v_add_nc_u32_e32 v118, v32, v94
	ds_bpermute_b32 v126, v11, v37
	s_cbranch_vccnz .LBB56_34
; %bb.33:                               ;   in Loop: Header=BB56_8 Depth=1
	global_load_u16 v38, v118, s[36:37] scale_offset
	s_wait_loadcnt 0x0
	v_cvt_f32_f16_e32 v38, v38
	s_delay_alu instid0(VALU_DEP_1)
	v_mul_f32_e32 v38, v88, v38
.LBB56_34:                              ;   in Loop: Header=BB56_8 Depth=1
	v_dual_mov_b32 v127, 0 :: v_dual_mov_b32 v128, 0
	s_and_not1_b32 vcc_lo, exec_lo, s26
	s_cbranch_vccnz .LBB56_36
; %bb.35:                               ;   in Loop: Header=BB56_8 Depth=1
	global_load_u16 v118, v118, s[36:37] offset:64 scale_offset
	s_wait_loadcnt 0x0
	v_cvt_f32_f16_e32 v118, v118
	s_delay_alu instid0(VALU_DEP_1)
	v_mul_f32_e32 v128, v88, v118
.LBB56_36:                              ;   in Loop: Header=BB56_8 Depth=1
	s_delay_alu instid0(VALU_DEP_2) | instskip(NEXT) | instid1(VALU_DEP_2)
	v_add_f32_e32 v121, v121, v38
	v_add_f32_e32 v118, v129, v128
	s_and_not1_b32 vcc_lo, exec_lo, s26
	v_add_nc_u32_e32 v32, v32, v95
	s_delay_alu instid0(VALU_DEP_3) | instskip(NEXT) | instid1(VALU_DEP_3)
	v_add_f32_e32 v38, 0x40051340, v121
	v_add_f32_e32 v128, 0x40051340, v118
	s_delay_alu instid0(VALU_DEP_1) | instskip(SKIP_3) | instid1(VALU_DEP_1)
	v_max3_num_f32 v38, v111, v38, v128
	ds_bpermute_b32 v128, v2, v38
	s_wait_dscnt 0x0
	v_max_num_f32_e32 v128, v128, v128
	v_max_num_f32_e32 v38, v38, v128
	ds_bpermute_b32 v128, v4, v38
	s_wait_dscnt 0x0
	v_max_num_f32_e32 v128, v128, v128
	s_delay_alu instid0(VALU_DEP_1) | instskip(SKIP_3) | instid1(VALU_DEP_1)
	v_max_num_f32_e32 v38, v38, v128
	ds_bpermute_b32 v128, v8, v38
	s_wait_dscnt 0x0
	v_max_num_f32_e32 v128, v128, v128
	v_max_num_f32_e32 v38, v38, v128
	ds_bpermute_b32 v128, v10, v38
	s_wait_dscnt 0x0
	v_max_num_f32_e32 v128, v128, v128
	s_delay_alu instid0(VALU_DEP_1)
	v_max_num_f32_e32 v38, v38, v128
	ds_bpermute_b32 v129, v11, v38
	s_cbranch_vccnz .LBB56_38
; %bb.37:                               ;   in Loop: Header=BB56_8 Depth=1
	global_load_u16 v127, v32, s[36:37] scale_offset
	s_wait_loadcnt 0x0
	v_cvt_f32_f16_e32 v127, v127
	s_delay_alu instid0(VALU_DEP_1)
	v_mul_f32_e32 v127, v88, v127
.LBB56_38:                              ;   in Loop: Header=BB56_8 Depth=1
	s_and_not1_b32 vcc_lo, exec_lo, s26
	s_cbranch_vccnz .LBB56_40
; %bb.39:                               ;   in Loop: Header=BB56_8 Depth=1
	global_load_u16 v32, v32, s[36:37] offset:64 scale_offset
	s_wait_loadcnt 0x0
	v_cvt_f32_f16_e32 v32, v32
	s_delay_alu instid0(VALU_DEP_1)
	v_mul_f32_e32 v128, v88, v32
	s_branch .LBB56_41
.LBB56_40:                              ;   in Loop: Header=BB56_8 Depth=1
	v_mov_b32_e32 v128, 0
.LBB56_41:                              ;   in Loop: Header=BB56_8 Depth=1
	s_wait_dscnt 0x0
	v_dual_add_f32 v127, v130, v127 :: v_dual_max_num_f32 v32, v129, v129
	s_mul_u64 s[38:39], s[14:15], s[10:11]
	s_delay_alu instid0(SALU_CYCLE_1) | instskip(NEXT) | instid1(VALU_DEP_1)
	s_lshl_b64 s[38:39], s[38:39], 2
	v_dual_add_f32 v130, 0x40051340, v127 :: v_dual_max_num_f32 v37, v37, v37
	v_max_num_f32_e32 v38, v38, v38
	s_add_nc_u64 s[38:39], s[24:25], s[38:39]
	s_barrier_signal -1
	v_max_num_f32_e32 v36, v36, v36
	s_barrier_wait -1
	v_max_num_f32_e32 v38, v38, v32
	v_max_num_f32_e32 v32, v126, v126
	v_dual_max_num_f32 v35, v35, v35 :: v_dual_max_num_f32 v34, v34, v34
	v_max_num_f32_e32 v33, v33, v33
	s_delay_alu instid0(VALU_DEP_3) | instskip(SKIP_1) | instid1(VALU_DEP_1)
	v_max_num_f32_e32 v37, v37, v32
	v_dual_max_num_f32 v32, v125, v125 :: v_dual_max_num_f32 v12, v12, v12
	v_dual_sub_f32 v15, v15, v37 :: v_dual_max_num_f32 v36, v36, v32
	v_max_num_f32_e32 v32, v124, v124
	s_delay_alu instid0(VALU_DEP_2) | instskip(NEXT) | instid1(VALU_DEP_2)
	v_sub_f32_e32 v14, v14, v36
	v_max_num_f32_e32 v35, v35, v32
	v_max_num_f32_e32 v32, v123, v123
	s_delay_alu instid0(VALU_DEP_1) | instskip(SKIP_1) | instid1(VALU_DEP_2)
	v_max_num_f32_e32 v34, v34, v32
	v_dual_max_num_f32 v32, v122, v122 :: v_dual_add_f32 v122, v131, v128
	v_dual_sub_f32 v9, v9, v35 :: v_dual_sub_f32 v6, v6, v34
	s_delay_alu instid0(VALU_DEP_2) | instskip(SKIP_1) | instid1(VALU_DEP_2)
	v_dual_max_num_f32 v33, v33, v32 :: v_dual_max_num_f32 v32, v39, v39
	v_sub_f32_e32 v7, v7, v34
	v_dual_sub_f32 v3, v3, v33 :: v_dual_max_num_f32 v32, v12, v32
	v_add_f32_e32 v12, 0x40051340, v122
	s_delay_alu instid0(VALU_DEP_1) | instskip(SKIP_3) | instid1(VALU_DEP_1)
	v_max3_num_f32 v12, v110, v130, v12
	ds_bpermute_b32 v2, v2, v12
	s_wait_dscnt 0x0
	v_dual_max_num_f32 v2, v2, v2 :: v_dual_sub_f32 v0, v0, v32
	v_dual_sub_f32 v1, v1, v32 :: v_dual_max_num_f32 v2, v12, v2
	s_delay_alu instid0(VALU_DEP_2) | instskip(SKIP_3) | instid1(VALU_DEP_1)
	v_cmp_ngt_f32_e32 vcc_lo, 0xc2ce8ed0, v0
	ds_bpermute_b32 v4, v4, v2
	s_wait_dscnt 0x0
	v_max_num_f32_e32 v4, v4, v4
	v_max_num_f32_e32 v2, v2, v4
	ds_bpermute_b32 v4, v8, v2
	s_wait_dscnt 0x0
	v_max_num_f32_e32 v4, v4, v4
	s_delay_alu instid0(VALU_DEP_1) | instskip(SKIP_3) | instid1(VALU_DEP_1)
	v_max_num_f32_e32 v2, v2, v4
	ds_bpermute_b32 v4, v10, v2
	s_wait_dscnt 0x0
	v_max_num_f32_e32 v4, v4, v4
	v_max_num_f32_e32 v2, v2, v4
	ds_bpermute_b32 v4, v11, v2
	s_wait_dscnt 0x0
	v_max_num_f32_e32 v4, v4, v4
	s_delay_alu instid0(VALU_DEP_1) | instskip(SKIP_2) | instid1(VALU_DEP_1)
	v_max_num_f32_e32 v39, v2, v4
	v_sub_f32_e32 v4, v117, v32
	v_mul_f32_e32 v2, 0x3fb8aa3b, v0
	v_fma_f32 v8, 0x3fb8aa3b, v0, -v2
	v_rndne_f32_e32 v10, v2
	s_delay_alu instid0(VALU_DEP_2) | instskip(NEXT) | instid1(VALU_DEP_2)
	v_fmac_f32_e32 v8, 0x32a5705f, v0
	v_sub_f32_e32 v2, v2, v10
	s_delay_alu instid0(VALU_DEP_1) | instskip(SKIP_1) | instid1(VALU_DEP_2)
	v_add_f32_e32 v2, v2, v8
	v_cvt_i32_f32_e32 v8, v10
	v_exp_f32_e32 v2, v2
	v_nop
	s_delay_alu instid0(TRANS32_DEP_1) | instskip(NEXT) | instid1(VALU_DEP_1)
	v_ldexp_f32 v2, v2, v8
	v_cndmask_b32_e32 v2, 0, v2, vcc_lo
	v_cmp_nlt_f32_e32 vcc_lo, 0x42b17218, v0
	s_delay_alu instid0(VALU_DEP_2) | instskip(SKIP_2) | instid1(VALU_DEP_2)
	v_cndmask_b32_e32 v0, 0x7f800000, v2, vcc_lo
	v_mul_f32_e32 v2, 0x3fb8aa3b, v1
	v_cmp_ngt_f32_e32 vcc_lo, 0xc2ce8ed0, v1
	v_fma_f32 v8, 0x3fb8aa3b, v1, -v2
	v_rndne_f32_e32 v10, v2
	s_delay_alu instid0(VALU_DEP_2) | instskip(NEXT) | instid1(VALU_DEP_2)
	v_fmac_f32_e32 v8, 0x32a5705f, v1
	v_sub_f32_e32 v2, v2, v10
	s_delay_alu instid0(VALU_DEP_1) | instskip(SKIP_1) | instid1(VALU_DEP_2)
	v_add_f32_e32 v2, v2, v8
	v_cvt_i32_f32_e32 v8, v10
	v_exp_f32_e32 v2, v2
	v_nop
	s_delay_alu instid0(TRANS32_DEP_1) | instskip(NEXT) | instid1(VALU_DEP_1)
	v_ldexp_f32 v2, v2, v8
	v_cndmask_b32_e32 v2, 0, v2, vcc_lo
	v_cmp_nlt_f32_e32 vcc_lo, 0x42b17218, v1
	v_mul_f32_e32 v1, 0x3fb8aa3b, v4
	s_delay_alu instid0(VALU_DEP_3) | instskip(NEXT) | instid1(VALU_DEP_2)
	v_cndmask_b32_e32 v2, 0x7f800000, v2, vcc_lo
	v_fma_f32 v8, 0x3fb8aa3b, v4, -v1
	v_rndne_f32_e32 v10, v1
	v_cmp_ngt_f32_e32 vcc_lo, 0xc2ce8ed0, v4
	s_delay_alu instid0(VALU_DEP_2) | instskip(NEXT) | instid1(VALU_DEP_1)
	v_dual_fmac_f32 v8, 0x32a5705f, v4 :: v_dual_sub_f32 v1, v1, v10
	v_add_f32_e32 v1, v1, v8
	v_cvt_i32_f32_e32 v8, v10
	s_delay_alu instid0(VALU_DEP_2) | instskip(SKIP_1) | instid1(TRANS32_DEP_1)
	v_exp_f32_e32 v1, v1
	v_nop
	v_ldexp_f32 v1, v1, v8
	v_sub_f32_e32 v8, v116, v33
	s_delay_alu instid0(VALU_DEP_2) | instskip(SKIP_1) | instid1(VALU_DEP_2)
	v_cndmask_b32_e32 v1, 0, v1, vcc_lo
	v_cmp_nlt_f32_e32 vcc_lo, 0x42b17218, v4
	v_cndmask_b32_e32 v4, 0x7f800000, v1, vcc_lo
	s_delay_alu instid0(VALU_DEP_1) | instskip(NEXT) | instid1(VALU_DEP_1)
	v_cvt_f16_f32_e32 v1, v4
	v_and_b32_e32 v1, 0xffff, v1
	s_delay_alu instid0(VALU_DEP_1) | instskip(NEXT) | instid1(VALU_DEP_1)
	v_mul_u32_u24_e32 v1, 0x10001, v1
	v_pk_mul_f16 v10, v109, v1
	v_sub_f32_e32 v1, v5, v33
	s_delay_alu instid0(VALU_DEP_1) | instskip(SKIP_1) | instid1(VALU_DEP_2)
	v_mul_f32_e32 v5, 0x3fb8aa3b, v1
	v_cmp_ngt_f32_e32 vcc_lo, 0xc2ce8ed0, v1
	v_fma_f32 v11, 0x3fb8aa3b, v1, -v5
	v_rndne_f32_e32 v12, v5
	s_delay_alu instid0(VALU_DEP_2) | instskip(NEXT) | instid1(VALU_DEP_2)
	v_fmac_f32_e32 v11, 0x32a5705f, v1
	v_sub_f32_e32 v5, v5, v12
	s_delay_alu instid0(VALU_DEP_1) | instskip(SKIP_1) | instid1(VALU_DEP_2)
	v_add_f32_e32 v5, v5, v11
	v_cvt_i32_f32_e32 v11, v12
	v_exp_f32_e32 v5, v5
	v_nop
	s_delay_alu instid0(TRANS32_DEP_1) | instskip(NEXT) | instid1(VALU_DEP_1)
	v_ldexp_f32 v5, v5, v11
	v_cndmask_b32_e32 v5, 0, v5, vcc_lo
	v_cmp_nlt_f32_e32 vcc_lo, 0x42b17218, v1
	s_delay_alu instid0(VALU_DEP_2) | instskip(SKIP_1) | instid1(VALU_DEP_1)
	v_cndmask_b32_e32 v1, 0x7f800000, v5, vcc_lo
	v_mul_f32_e32 v5, 0x3fb8aa3b, v3
	v_fma_f32 v11, 0x3fb8aa3b, v3, -v5
	v_rndne_f32_e32 v12, v5
	s_delay_alu instid0(VALU_DEP_2) | instskip(NEXT) | instid1(VALU_DEP_2)
	v_fmac_f32_e32 v11, 0x32a5705f, v3
	v_sub_f32_e32 v5, v5, v12
	s_delay_alu instid0(VALU_DEP_1) | instskip(SKIP_2) | instid1(VALU_DEP_3)
	v_add_f32_e32 v5, v5, v11
	v_cvt_i32_f32_e32 v11, v12
	v_cmp_ngt_f32_e32 vcc_lo, 0xc2ce8ed0, v3
	v_exp_f32_e32 v5, v5
	v_nop
	s_delay_alu instid0(TRANS32_DEP_1) | instskip(NEXT) | instid1(VALU_DEP_1)
	v_ldexp_f32 v5, v5, v11
	v_cndmask_b32_e32 v5, 0, v5, vcc_lo
	v_cmp_nlt_f32_e32 vcc_lo, 0x42b17218, v3
	s_delay_alu instid0(VALU_DEP_2) | instskip(SKIP_2) | instid1(VALU_DEP_2)
	v_cndmask_b32_e32 v3, 0x7f800000, v5, vcc_lo
	v_mul_f32_e32 v5, 0x3fb8aa3b, v8
	v_cmp_ngt_f32_e32 vcc_lo, 0xc2ce8ed0, v8
	v_fma_f32 v11, 0x3fb8aa3b, v8, -v5
	v_rndne_f32_e32 v12, v5
	s_delay_alu instid0(VALU_DEP_2) | instskip(NEXT) | instid1(VALU_DEP_2)
	v_fmac_f32_e32 v11, 0x32a5705f, v8
	v_sub_f32_e32 v5, v5, v12
	s_delay_alu instid0(VALU_DEP_1) | instskip(SKIP_2) | instid1(VALU_DEP_3)
	v_add_f32_e32 v5, v5, v11
	v_cvt_i32_f32_e32 v11, v12
	v_sub_f32_e32 v12, v115, v34
	v_exp_f32_e32 v5, v5
	v_nop
	s_delay_alu instid0(TRANS32_DEP_1) | instskip(NEXT) | instid1(VALU_DEP_1)
	v_ldexp_f32 v5, v5, v11
	v_cndmask_b32_e32 v5, 0, v5, vcc_lo
	v_cmp_nlt_f32_e32 vcc_lo, 0x42b17218, v8
	s_delay_alu instid0(VALU_DEP_2) | instskip(SKIP_1) | instid1(VALU_DEP_2)
	v_cndmask_b32_e32 v5, 0x7f800000, v5, vcc_lo
	v_cmp_ngt_f32_e32 vcc_lo, 0xc2ce8ed0, v6
	v_cvt_f16_f32_e32 v8, v5
	s_delay_alu instid0(VALU_DEP_1) | instskip(NEXT) | instid1(VALU_DEP_1)
	v_and_b32_e32 v8, 0xffff, v8
	v_mul_u32_u24_e32 v8, 0x10001, v8
	s_delay_alu instid0(VALU_DEP_1) | instskip(SKIP_1) | instid1(VALU_DEP_1)
	v_pk_mul_f16 v11, v108, v8
	v_mul_f32_e32 v8, 0x3fb8aa3b, v6
	v_fma_f32 v108, 0x3fb8aa3b, v6, -v8
	v_rndne_f32_e32 v109, v8
	s_delay_alu instid0(VALU_DEP_2) | instskip(NEXT) | instid1(VALU_DEP_2)
	v_fmac_f32_e32 v108, 0x32a5705f, v6
	v_sub_f32_e32 v8, v8, v109
	s_delay_alu instid0(VALU_DEP_1) | instskip(SKIP_1) | instid1(VALU_DEP_2)
	v_add_f32_e32 v8, v8, v108
	v_cvt_i32_f32_e32 v108, v109
	v_exp_f32_e32 v8, v8
	v_nop
	s_delay_alu instid0(TRANS32_DEP_1) | instskip(NEXT) | instid1(VALU_DEP_1)
	v_ldexp_f32 v8, v8, v108
	v_cndmask_b32_e32 v8, 0, v8, vcc_lo
	v_cmp_nlt_f32_e32 vcc_lo, 0x42b17218, v6
	s_delay_alu instid0(VALU_DEP_2) | instskip(SKIP_2) | instid1(VALU_DEP_2)
	v_cndmask_b32_e32 v6, 0x7f800000, v8, vcc_lo
	v_mul_f32_e32 v8, 0x3fb8aa3b, v7
	v_cmp_ngt_f32_e32 vcc_lo, 0xc2ce8ed0, v7
	v_fma_f32 v108, 0x3fb8aa3b, v7, -v8
	v_rndne_f32_e32 v109, v8
	s_delay_alu instid0(VALU_DEP_2) | instskip(NEXT) | instid1(VALU_DEP_2)
	v_fmac_f32_e32 v108, 0x32a5705f, v7
	v_sub_f32_e32 v8, v8, v109
	s_delay_alu instid0(VALU_DEP_1) | instskip(SKIP_1) | instid1(VALU_DEP_2)
	v_add_f32_e32 v8, v8, v108
	v_cvt_i32_f32_e32 v108, v109
	v_exp_f32_e32 v8, v8
	v_nop
	s_delay_alu instid0(TRANS32_DEP_1) | instskip(NEXT) | instid1(VALU_DEP_1)
	v_ldexp_f32 v8, v8, v108
	v_cndmask_b32_e32 v8, 0, v8, vcc_lo
	v_cmp_nlt_f32_e32 vcc_lo, 0x42b17218, v7
	v_mul_f32_e32 v7, 0x3fb8aa3b, v12
	s_delay_alu instid0(VALU_DEP_3) | instskip(NEXT) | instid1(VALU_DEP_2)
	v_cndmask_b32_e32 v8, 0x7f800000, v8, vcc_lo
	v_fma_f32 v108, 0x3fb8aa3b, v12, -v7
	v_rndne_f32_e32 v109, v7
	v_cmp_ngt_f32_e32 vcc_lo, 0xc2ce8ed0, v12
	s_delay_alu instid0(VALU_DEP_2) | instskip(NEXT) | instid1(VALU_DEP_1)
	v_dual_fmac_f32 v108, 0x32a5705f, v12 :: v_dual_sub_f32 v7, v7, v109
	v_add_f32_e32 v7, v7, v108
	v_cvt_i32_f32_e32 v108, v109
	s_delay_alu instid0(VALU_DEP_2) | instskip(SKIP_1) | instid1(TRANS32_DEP_1)
	v_exp_f32_e32 v7, v7
	v_nop
	v_ldexp_f32 v7, v7, v108
	s_delay_alu instid0(VALU_DEP_1) | instskip(SKIP_1) | instid1(VALU_DEP_2)
	v_cndmask_b32_e32 v7, 0, v7, vcc_lo
	v_cmp_nlt_f32_e32 vcc_lo, 0x42b17218, v12
	v_cndmask_b32_e32 v108, 0x7f800000, v7, vcc_lo
	s_delay_alu instid0(VALU_DEP_1) | instskip(NEXT) | instid1(VALU_DEP_1)
	v_cvt_f16_f32_e32 v7, v108
	v_and_b32_e32 v7, 0xffff, v7
	s_delay_alu instid0(VALU_DEP_1) | instskip(NEXT) | instid1(VALU_DEP_1)
	v_mul_u32_u24_e32 v7, 0x10001, v7
	v_pk_mul_f16 v12, v107, v7
	v_dual_sub_f32 v7, v13, v35 :: v_dual_sub_f32 v107, v114, v35
	s_delay_alu instid0(VALU_DEP_1) | instskip(SKIP_1) | instid1(VALU_DEP_2)
	v_mul_f32_e32 v13, 0x3fb8aa3b, v7
	v_cmp_ngt_f32_e32 vcc_lo, 0xc2ce8ed0, v7
	v_fma_f32 v109, 0x3fb8aa3b, v7, -v13
	v_rndne_f32_e32 v114, v13
	s_delay_alu instid0(VALU_DEP_2) | instskip(NEXT) | instid1(VALU_DEP_2)
	v_fmac_f32_e32 v109, 0x32a5705f, v7
	v_sub_f32_e32 v13, v13, v114
	s_delay_alu instid0(VALU_DEP_1) | instskip(SKIP_1) | instid1(VALU_DEP_2)
	v_add_f32_e32 v13, v13, v109
	v_cvt_i32_f32_e32 v109, v114
	v_exp_f32_e32 v13, v13
	v_nop
	s_delay_alu instid0(TRANS32_DEP_1) | instskip(NEXT) | instid1(VALU_DEP_1)
	v_ldexp_f32 v13, v13, v109
	v_cndmask_b32_e32 v13, 0, v13, vcc_lo
	v_cmp_nlt_f32_e32 vcc_lo, 0x42b17218, v7
	s_delay_alu instid0(VALU_DEP_2) | instskip(SKIP_2) | instid1(VALU_DEP_2)
	v_cndmask_b32_e32 v7, 0x7f800000, v13, vcc_lo
	v_mul_f32_e32 v13, 0x3fb8aa3b, v9
	v_cmp_ngt_f32_e32 vcc_lo, 0xc2ce8ed0, v9
	v_fma_f32 v109, 0x3fb8aa3b, v9, -v13
	v_rndne_f32_e32 v114, v13
	s_delay_alu instid0(VALU_DEP_2) | instskip(NEXT) | instid1(VALU_DEP_2)
	v_fmac_f32_e32 v109, 0x32a5705f, v9
	v_sub_f32_e32 v13, v13, v114
	s_delay_alu instid0(VALU_DEP_1) | instskip(SKIP_1) | instid1(VALU_DEP_2)
	v_add_f32_e32 v13, v13, v109
	v_cvt_i32_f32_e32 v109, v114
	v_exp_f32_e32 v13, v13
	v_nop
	s_delay_alu instid0(TRANS32_DEP_1) | instskip(NEXT) | instid1(VALU_DEP_1)
	v_ldexp_f32 v13, v13, v109
	v_cndmask_b32_e32 v13, 0, v13, vcc_lo
	v_cmp_nlt_f32_e32 vcc_lo, 0x42b17218, v9
	s_delay_alu instid0(VALU_DEP_2) | instskip(SKIP_2) | instid1(VALU_DEP_2)
	v_cndmask_b32_e32 v9, 0x7f800000, v13, vcc_lo
	v_mul_f32_e32 v13, 0x3fb8aa3b, v107
	v_cmp_ngt_f32_e32 vcc_lo, 0xc2ce8ed0, v107
	v_fma_f32 v109, 0x3fb8aa3b, v107, -v13
	v_rndne_f32_e32 v114, v13
	s_delay_alu instid0(VALU_DEP_2) | instskip(NEXT) | instid1(VALU_DEP_2)
	v_fmac_f32_e32 v109, 0x32a5705f, v107
	v_sub_f32_e32 v13, v13, v114
	s_delay_alu instid0(VALU_DEP_1) | instskip(SKIP_1) | instid1(VALU_DEP_2)
	v_add_f32_e32 v13, v13, v109
	v_cvt_i32_f32_e32 v109, v114
	v_exp_f32_e32 v13, v13
	v_nop
	s_delay_alu instid0(TRANS32_DEP_1) | instskip(NEXT) | instid1(VALU_DEP_1)
	v_ldexp_f32 v13, v13, v109
	v_cndmask_b32_e32 v13, 0, v13, vcc_lo
	v_cmp_nlt_f32_e32 vcc_lo, 0x42b17218, v107
	v_sub_f32_e32 v107, v113, v36
	s_delay_alu instid0(VALU_DEP_3) | instskip(NEXT) | instid1(VALU_DEP_1)
	v_cndmask_b32_e32 v109, 0x7f800000, v13, vcc_lo
	v_cvt_f16_f32_e32 v13, v109
	s_delay_alu instid0(VALU_DEP_1) | instskip(NEXT) | instid1(VALU_DEP_1)
	v_and_b32_e32 v13, 0xffff, v13
	v_mul_u32_u24_e32 v13, 0x10001, v13
	s_delay_alu instid0(VALU_DEP_1) | instskip(SKIP_1) | instid1(VALU_DEP_1)
	v_pk_mul_f16 v13, v106, v13
	v_sub_f32_e32 v106, v119, v36
	v_mul_f32_e32 v113, 0x3fb8aa3b, v106
	v_cmp_ngt_f32_e32 vcc_lo, 0xc2ce8ed0, v106
	s_delay_alu instid0(VALU_DEP_2) | instskip(SKIP_1) | instid1(VALU_DEP_1)
	v_fma_f32 v114, 0x3fb8aa3b, v106, -v113
	v_rndne_f32_e32 v115, v113
	v_dual_fmac_f32 v114, 0x32a5705f, v106 :: v_dual_sub_f32 v113, v113, v115
	s_delay_alu instid0(VALU_DEP_1) | instskip(SKIP_1) | instid1(VALU_DEP_2)
	v_add_f32_e32 v113, v113, v114
	v_cvt_i32_f32_e32 v114, v115
	v_exp_f32_e32 v113, v113
	v_nop
	s_delay_alu instid0(TRANS32_DEP_1) | instskip(NEXT) | instid1(VALU_DEP_1)
	v_ldexp_f32 v113, v113, v114
	v_cndmask_b32_e32 v113, 0, v113, vcc_lo
	v_cmp_nlt_f32_e32 vcc_lo, 0x42b17218, v106
	s_delay_alu instid0(VALU_DEP_2) | instskip(SKIP_2) | instid1(VALU_DEP_2)
	v_cndmask_b32_e32 v106, 0x7f800000, v113, vcc_lo
	v_mul_f32_e32 v113, 0x3fb8aa3b, v14
	v_cmp_ngt_f32_e32 vcc_lo, 0xc2ce8ed0, v14
	v_fma_f32 v114, 0x3fb8aa3b, v14, -v113
	v_rndne_f32_e32 v115, v113
	s_delay_alu instid0(VALU_DEP_1) | instskip(NEXT) | instid1(VALU_DEP_1)
	v_dual_fmac_f32 v114, 0x32a5705f, v14 :: v_dual_sub_f32 v113, v113, v115
	v_add_f32_e32 v113, v113, v114
	v_cvt_i32_f32_e32 v114, v115
	s_delay_alu instid0(VALU_DEP_2) | instskip(SKIP_1) | instid1(TRANS32_DEP_1)
	v_exp_f32_e32 v113, v113
	v_nop
	v_ldexp_f32 v113, v113, v114
	s_delay_alu instid0(VALU_DEP_1) | instskip(SKIP_2) | instid1(VALU_DEP_3)
	v_cndmask_b32_e32 v113, 0, v113, vcc_lo
	v_cmp_nlt_f32_e32 vcc_lo, 0x42b17218, v14
	v_mul_f32_e32 v14, 0x3fb8aa3b, v107
	v_cndmask_b32_e32 v114, 0x7f800000, v113, vcc_lo
	s_delay_alu instid0(VALU_DEP_2) | instskip(SKIP_2) | instid1(VALU_DEP_3)
	v_fma_f32 v113, 0x3fb8aa3b, v107, -v14
	v_rndne_f32_e32 v115, v14
	v_cmp_ngt_f32_e32 vcc_lo, 0xc2ce8ed0, v107
	v_fmac_f32_e32 v113, 0x32a5705f, v107
	s_delay_alu instid0(VALU_DEP_3) | instskip(NEXT) | instid1(VALU_DEP_1)
	v_sub_f32_e32 v14, v14, v115
	v_add_f32_e32 v14, v14, v113
	v_cvt_i32_f32_e32 v113, v115
	s_delay_alu instid0(VALU_DEP_2) | instskip(SKIP_1) | instid1(TRANS32_DEP_1)
	v_exp_f32_e32 v14, v14
	v_nop
	v_ldexp_f32 v14, v14, v113
	s_delay_alu instid0(VALU_DEP_1) | instskip(SKIP_1) | instid1(VALU_DEP_2)
	v_cndmask_b32_e32 v14, 0, v14, vcc_lo
	v_cmp_nlt_f32_e32 vcc_lo, 0x42b17218, v107
	v_dual_sub_f32 v107, v120, v37 :: v_dual_cndmask_b32 v116, 0x7f800000, v14
	s_delay_alu instid0(VALU_DEP_1) | instskip(NEXT) | instid1(VALU_DEP_2)
	v_cmp_ngt_f32_e32 vcc_lo, 0xc2ce8ed0, v107
	v_cvt_f16_f32_e32 v14, v116
	s_delay_alu instid0(VALU_DEP_1) | instskip(NEXT) | instid1(VALU_DEP_1)
	v_and_b32_e32 v14, 0xffff, v14
	v_mul_u32_u24_e32 v14, 0x10001, v14
	s_delay_alu instid0(VALU_DEP_1) | instskip(SKIP_1) | instid1(VALU_DEP_1)
	v_pk_mul_f16 v14, v93, v14
	v_dual_sub_f32 v93, v112, v37 :: v_dual_mul_f32 v112, 0x3fb8aa3b, v107
	v_fma_f32 v113, 0x3fb8aa3b, v107, -v112
	v_rndne_f32_e32 v115, v112
	s_delay_alu instid0(VALU_DEP_2) | instskip(NEXT) | instid1(VALU_DEP_2)
	v_fmac_f32_e32 v113, 0x32a5705f, v107
	v_sub_f32_e32 v112, v112, v115
	s_delay_alu instid0(VALU_DEP_1) | instskip(SKIP_1) | instid1(VALU_DEP_2)
	v_add_f32_e32 v112, v112, v113
	v_cvt_i32_f32_e32 v113, v115
	v_exp_f32_e32 v112, v112
	v_nop
	s_delay_alu instid0(TRANS32_DEP_1) | instskip(NEXT) | instid1(VALU_DEP_1)
	v_ldexp_f32 v112, v112, v113
	v_cndmask_b32_e32 v112, 0, v112, vcc_lo
	v_cmp_nlt_f32_e32 vcc_lo, 0x42b17218, v107
	s_delay_alu instid0(VALU_DEP_2) | instskip(SKIP_2) | instid1(VALU_DEP_2)
	v_cndmask_b32_e32 v107, 0x7f800000, v112, vcc_lo
	v_mul_f32_e32 v112, 0x3fb8aa3b, v15
	v_cmp_ngt_f32_e32 vcc_lo, 0xc2ce8ed0, v15
	v_fma_f32 v113, 0x3fb8aa3b, v15, -v112
	v_rndne_f32_e32 v115, v112
	s_delay_alu instid0(VALU_DEP_2) | instskip(NEXT) | instid1(VALU_DEP_2)
	v_fmac_f32_e32 v113, 0x32a5705f, v15
	v_sub_f32_e32 v112, v112, v115
	s_delay_alu instid0(VALU_DEP_1) | instskip(SKIP_1) | instid1(VALU_DEP_2)
	v_add_f32_e32 v112, v112, v113
	v_cvt_i32_f32_e32 v113, v115
	v_exp_f32_e32 v112, v112
	v_nop
	s_delay_alu instid0(TRANS32_DEP_1) | instskip(NEXT) | instid1(VALU_DEP_1)
	v_ldexp_f32 v112, v112, v113
	v_cndmask_b32_e32 v112, 0, v112, vcc_lo
	v_cmp_nlt_f32_e32 vcc_lo, 0x42b17218, v15
	v_mul_f32_e32 v15, 0x3fb8aa3b, v93
	s_delay_alu instid0(VALU_DEP_3) | instskip(NEXT) | instid1(VALU_DEP_2)
	v_cndmask_b32_e32 v115, 0x7f800000, v112, vcc_lo
	v_fma_f32 v112, 0x3fb8aa3b, v93, -v15
	v_rndne_f32_e32 v113, v15
	v_cmp_ngt_f32_e32 vcc_lo, 0xc2ce8ed0, v93
	s_delay_alu instid0(VALU_DEP_3) | instskip(NEXT) | instid1(VALU_DEP_3)
	v_fmac_f32_e32 v112, 0x32a5705f, v93
	v_sub_f32_e32 v15, v15, v113
	s_delay_alu instid0(VALU_DEP_1) | instskip(SKIP_1) | instid1(VALU_DEP_2)
	v_add_f32_e32 v15, v15, v112
	v_cvt_i32_f32_e32 v112, v113
	v_exp_f32_e32 v15, v15
	v_nop
	s_delay_alu instid0(TRANS32_DEP_1) | instskip(NEXT) | instid1(VALU_DEP_1)
	v_ldexp_f32 v15, v15, v112
	v_cndmask_b32_e32 v15, 0, v15, vcc_lo
	v_cmp_nlt_f32_e32 vcc_lo, 0x42b17218, v93
	v_sub_f32_e32 v93, v121, v38
	s_delay_alu instid0(VALU_DEP_3) | instskip(NEXT) | instid1(VALU_DEP_2)
	v_cndmask_b32_e32 v117, 0x7f800000, v15, vcc_lo
	v_cmp_ngt_f32_e32 vcc_lo, 0xc2ce8ed0, v93
	s_delay_alu instid0(VALU_DEP_2) | instskip(NEXT) | instid1(VALU_DEP_1)
	v_cvt_f16_f32_e32 v15, v117
	v_and_b32_e32 v15, 0xffff, v15
	s_delay_alu instid0(VALU_DEP_1) | instskip(NEXT) | instid1(VALU_DEP_1)
	v_mul_u32_u24_e32 v15, 0x10001, v15
	v_pk_mul_f16 v15, v91, v15
	v_sub_f32_e32 v91, v111, v38
	v_mul_f32_e32 v111, 0x3fb8aa3b, v93
	s_delay_alu instid0(VALU_DEP_1) | instskip(SKIP_1) | instid1(VALU_DEP_2)
	v_fma_f32 v112, 0x3fb8aa3b, v93, -v111
	v_rndne_f32_e32 v113, v111
	v_fmac_f32_e32 v112, 0x32a5705f, v93
	s_delay_alu instid0(VALU_DEP_2) | instskip(NEXT) | instid1(VALU_DEP_1)
	v_sub_f32_e32 v111, v111, v113
	v_add_f32_e32 v111, v111, v112
	v_cvt_i32_f32_e32 v112, v113
	s_delay_alu instid0(VALU_DEP_2) | instskip(SKIP_1) | instid1(TRANS32_DEP_1)
	v_exp_f32_e32 v111, v111
	v_nop
	v_ldexp_f32 v111, v111, v112
	s_delay_alu instid0(VALU_DEP_1) | instskip(SKIP_1) | instid1(VALU_DEP_2)
	v_cndmask_b32_e32 v111, 0, v111, vcc_lo
	v_cmp_nlt_f32_e32 vcc_lo, 0x42b17218, v93
	v_dual_sub_f32 v93, v118, v38 :: v_dual_cndmask_b32 v112, 0x7f800000, v111
	s_delay_alu instid0(VALU_DEP_1) | instskip(SKIP_1) | instid1(VALU_DEP_2)
	v_mul_f32_e32 v111, 0x3fb8aa3b, v93
	v_cmp_ngt_f32_e32 vcc_lo, 0xc2ce8ed0, v93
	v_fma_f32 v113, 0x3fb8aa3b, v93, -v111
	v_rndne_f32_e32 v118, v111
	s_delay_alu instid0(VALU_DEP_2) | instskip(NEXT) | instid1(VALU_DEP_2)
	v_fmac_f32_e32 v113, 0x32a5705f, v93
	v_sub_f32_e32 v111, v111, v118
	s_delay_alu instid0(VALU_DEP_1) | instskip(SKIP_1) | instid1(VALU_DEP_2)
	v_add_f32_e32 v111, v111, v113
	v_cvt_i32_f32_e32 v113, v118
	v_exp_f32_e32 v111, v111
	v_nop
	s_delay_alu instid0(TRANS32_DEP_1) | instskip(NEXT) | instid1(VALU_DEP_1)
	v_ldexp_f32 v111, v111, v113
	v_cndmask_b32_e32 v111, 0, v111, vcc_lo
	v_cmp_nlt_f32_e32 vcc_lo, 0x42b17218, v93
	v_mul_f32_e32 v93, 0x3fb8aa3b, v91
	s_delay_alu instid0(VALU_DEP_3) | instskip(NEXT) | instid1(VALU_DEP_2)
	v_cndmask_b32_e32 v118, 0x7f800000, v111, vcc_lo
	v_fma_f32 v111, 0x3fb8aa3b, v91, -v93
	v_rndne_f32_e32 v113, v93
	v_cmp_ngt_f32_e32 vcc_lo, 0xc2ce8ed0, v91
	s_delay_alu instid0(VALU_DEP_3) | instskip(NEXT) | instid1(VALU_DEP_3)
	v_fmac_f32_e32 v111, 0x32a5705f, v91
	v_sub_f32_e32 v93, v93, v113
	s_delay_alu instid0(VALU_DEP_1) | instskip(SKIP_1) | instid1(VALU_DEP_2)
	v_add_f32_e32 v93, v93, v111
	v_cvt_i32_f32_e32 v111, v113
	v_exp_f32_e32 v93, v93
	v_nop
	s_delay_alu instid0(TRANS32_DEP_1) | instskip(NEXT) | instid1(VALU_DEP_1)
	v_ldexp_f32 v93, v93, v111
	v_cndmask_b32_e32 v93, 0, v93, vcc_lo
	v_cmp_nlt_f32_e32 vcc_lo, 0x42b17218, v91
	s_delay_alu instid0(VALU_DEP_2) | instskip(NEXT) | instid1(VALU_DEP_1)
	v_dual_cndmask_b32 v120, 0x7f800000, v93 :: v_dual_sub_f32 v93, v127, v39
	v_cvt_f16_f32_e32 v91, v120
	s_delay_alu instid0(VALU_DEP_2) | instskip(NEXT) | instid1(VALU_DEP_2)
	v_cmp_ngt_f32_e32 vcc_lo, 0xc2ce8ed0, v93
	v_and_b32_e32 v91, 0xffff, v91
	s_delay_alu instid0(VALU_DEP_1) | instskip(NEXT) | instid1(VALU_DEP_1)
	v_mul_u32_u24_e32 v91, 0x10001, v91
	v_pk_mul_f16 v90, v90, v91
	v_dual_sub_f32 v91, v110, v39 :: v_dual_mul_f32 v110, 0x3fb8aa3b, v93
	s_delay_alu instid0(VALU_DEP_1) | instskip(SKIP_1) | instid1(VALU_DEP_2)
	v_fma_f32 v111, 0x3fb8aa3b, v93, -v110
	v_rndne_f32_e32 v113, v110
	v_fmac_f32_e32 v111, 0x32a5705f, v93
	s_delay_alu instid0(VALU_DEP_2) | instskip(SKIP_1) | instid1(VALU_DEP_2)
	v_sub_f32_e32 v110, v110, v113
	v_pk_add_f32 v[124:125], v[106:107], v[114:115]
	v_add_f32_e32 v110, v110, v111
	v_cvt_i32_f32_e32 v111, v113
	s_delay_alu instid0(VALU_DEP_2) | instskip(SKIP_1) | instid1(TRANS32_DEP_1)
	v_exp_f32_e32 v110, v110
	v_nop
	v_ldexp_f32 v110, v110, v111
	s_delay_alu instid0(VALU_DEP_1) | instskip(SKIP_3) | instid1(VALU_DEP_4)
	v_cndmask_b32_e32 v110, 0, v110, vcc_lo
	v_cmp_nlt_f32_e32 vcc_lo, 0x42b17218, v93
	v_sub_f32_e32 v93, v122, v39
	v_pk_add_f32 v[122:123], v[6:7], v[8:9]
	v_cndmask_b32_e32 v113, 0x7f800000, v110, vcc_lo
	s_delay_alu instid0(VALU_DEP_3) | instskip(SKIP_1) | instid1(VALU_DEP_4)
	v_mul_f32_e32 v110, 0x3fb8aa3b, v93
	v_cmp_ngt_f32_e32 vcc_lo, 0xc2ce8ed0, v93
	v_pk_fma_f32 v[18:19], v[18:19], v[108:109], v[122:123]
	v_cvt_pk_f16_f32 v108, v106, v107
	v_cvt_pk_f16_f32 v107, v6, v7
	v_fma_f32 v111, 0x3fb8aa3b, v93, -v110
	v_rndne_f32_e32 v119, v110
	v_cvt_pk_f16_f32 v106, v0, v1
	s_delay_alu instid0(VALU_DEP_2) | instskip(NEXT) | instid1(VALU_DEP_1)
	v_dual_fmac_f32 v111, 0x32a5705f, v93 :: v_dual_sub_f32 v110, v110, v119
	v_add_f32_e32 v110, v110, v111
	v_cvt_i32_f32_e32 v111, v119
	v_cvt_pk_f16_f32 v109, v112, v113
	s_delay_alu instid0(VALU_DEP_3)
	v_exp_f32_e32 v110, v110
	ds_store_b128 v97, v[106:109]
	v_cvt_pk_f16_f32 v106, v2, v3
	v_cvt_pk_f16_f32 v108, v114, v115
	;; [unrolled: 1-line block ×3, first 2 shown]
	v_ldexp_f32 v110, v110, v111
	s_delay_alu instid0(VALU_DEP_1) | instskip(SKIP_2) | instid1(VALU_DEP_3)
	v_cndmask_b32_e32 v110, 0, v110, vcc_lo
	v_cmp_nlt_f32_e32 vcc_lo, 0x42b17218, v93
	v_mul_f32_e32 v93, 0x3fb8aa3b, v91
	v_cndmask_b32_e32 v119, 0x7f800000, v110, vcc_lo
	s_delay_alu instid0(VALU_DEP_2) | instskip(SKIP_2) | instid1(VALU_DEP_4)
	v_fma_f32 v110, 0x3fb8aa3b, v91, -v93
	v_rndne_f32_e32 v111, v93
	v_cmp_ngt_f32_e32 vcc_lo, 0xc2ce8ed0, v91
	v_cvt_pk_f16_f32 v109, v118, v119
	s_delay_alu instid0(VALU_DEP_4) | instskip(NEXT) | instid1(VALU_DEP_4)
	v_fmac_f32_e32 v110, 0x32a5705f, v91
	v_sub_f32_e32 v93, v93, v111
	v_pk_add_f32 v[126:127], v[112:113], v[118:119]
	ds_store_b128 v97, v[106:109] offset:512
	v_add_f32_e32 v93, v93, v110
	v_cvt_i32_f32_e32 v110, v111
	s_delay_alu instid0(VALU_DEP_2) | instskip(SKIP_1) | instid1(TRANS32_DEP_1)
	v_exp_f32_e32 v93, v93
	v_nop
	v_ldexp_f32 v93, v93, v110
	v_pk_add_f32 v[110:111], v[0:1], v[2:3]
	v_lshl_add_u64 v[2:3], v[60:61], 2, s[38:39]
	v_lshl_add_u64 v[0:1], v[30:31], 2, s[38:39]
	s_delay_alu instid0(VALU_DEP_3) | instskip(NEXT) | instid1(VALU_DEP_3)
	v_pk_fma_f32 v[16:17], v[16:17], v[4:5], v[110:111]
	v_add_nc_u64_e32 v[6:7], v[2:3], v[24:25]
	v_lshl_add_u64 v[2:3], v[64:65], 2, s[38:39]
	s_delay_alu instid0(VALU_DEP_4) | instskip(NEXT) | instid1(VALU_DEP_2)
	v_add_nc_u64_e32 v[0:1], v[0:1], v[24:25]
	v_add_nc_u64_e32 v[8:9], v[2:3], v[24:25]
	v_lshl_add_u64 v[2:3], v[66:67], 2, s[38:39]
	s_delay_alu instid0(VALU_DEP_1)
	v_add_nc_u64_e32 v[106:107], v[2:3], v[24:25]
	global_load_b128 v[0:3], v[0:1], off
	s_wait_loadcnt 0x0
	ds_store_b128 v96, v[0:3]
	global_load_b128 v[0:3], v[6:7], off
	s_wait_loadcnt 0x0
	ds_store_b128 v102, v[0:3]
	;; [unrolled: 3-line block ×4, first 2 shown]
	s_wait_dscnt 0x0
	s_barrier_signal -1
	s_barrier_wait -1
	ds_load_2addr_b32 v[114:115], v86 offset1:32
	ds_load_b128 v[0:3], v87
	ds_load_b128 v[6:9], v87 offset:16
	ds_load_b128 v[106:109], v87 offset:32
	;; [unrolled: 1-line block ×3, first 2 shown]
	v_cndmask_b32_e32 v93, 0, v93, vcc_lo
	v_cmp_nlt_f32_e32 vcc_lo, 0x42b17218, v91
	s_wait_dscnt 0x3
	v_lshrrev_b32_e32 v91, 16, v2
	s_delay_alu instid0(VALU_DEP_3)
	v_cndmask_b32_e32 v121, 0x7f800000, v93, vcc_lo
	v_lshrrev_b32_e32 v5, 16, v0
	v_and_b32_e32 v0, 0xffff, v0
	v_and_b32_e32 v2, 0xffff, v2
	v_lshrrev_b32_e32 v93, 16, v3
	v_cvt_f16_f32_e32 v4, v121
	v_mul_u32_u24_e32 v5, 0x10001, v5
	v_mul_u32_u24_e32 v0, 0x10001, v0
	;; [unrolled: 1-line block ×4, first 2 shown]
	v_and_b32_e32 v4, 0xffff, v4
	v_and_b32_e32 v3, 0xffff, v3
	v_pk_fma_f16 v0, v114, v0, v10
	v_pk_fma_f16 v5, v114, v5, v11
	;; [unrolled: 1-line block ×3, first 2 shown]
	v_mul_u32_u24_e32 v4, 0x10001, v4
	v_mul_u32_u24_e32 v3, 0x10001, v3
	v_pk_fma_f16 v11, v114, v91, v15
	s_wait_dscnt 0x2
	v_dual_lshrrev_b32 v14, 16, v8 :: v_dual_lshrrev_b32 v15, 16, v9
	v_pk_mul_f16 v4, v89, v4
	v_lshrrev_b32_e32 v89, 16, v1
	v_and_b32_e32 v1, 0xffff, v1
	v_and_b32_e32 v8, 0xffff, v8
	;; [unrolled: 1-line block ×3, first 2 shown]
	v_mul_u32_u24_e32 v93, 0x10001, v93
	v_mul_u32_u24_e32 v89, 0x10001, v89
	;; [unrolled: 1-line block ×3, first 2 shown]
	v_pk_fma_f16 v3, v114, v3, v90
	v_mul_u32_u24_e32 v8, 0x10001, v8
	v_mul_u32_u24_e32 v14, 0x10001, v14
	v_pk_fma_f16 v10, v114, v89, v13
	v_pk_fma_f16 v1, v114, v1, v12
	v_dual_lshrrev_b32 v12, 16, v6 :: v_dual_lshrrev_b32 v13, 16, v7
	v_and_b32_e32 v6, 0xffff, v6
	v_and_b32_e32 v7, 0xffff, v7
	v_mul_u32_u24_e32 v9, 0x10001, v9
	v_pk_fma_f16 v4, v114, v93, v4
	v_mul_u32_u24_e32 v12, 0x10001, v12
	v_mul_u32_u24_e32 v6, 0x10001, v6
	;; [unrolled: 1-line block ×5, first 2 shown]
	v_pk_fma_f16 v2, v115, v8, v2
	v_pk_fma_f16 v6, v115, v6, v0
	;; [unrolled: 1-line block ×3, first 2 shown]
	ds_load_2addr_b32 v[0:1], v86 offset0:64 offset1:96
	v_pk_fma_f16 v8, v115, v14, v11
	v_pk_fma_f16 v3, v115, v9, v3
	s_wait_dscnt 0x2
	v_dual_lshrrev_b32 v9, 16, v106 :: v_dual_lshrrev_b32 v11, 16, v107
	v_pk_fma_f16 v5, v115, v12, v5
	v_pk_fma_f16 v10, v115, v13, v10
	;; [unrolled: 1-line block ×3, first 2 shown]
	v_dual_lshrrev_b32 v12, 16, v108 :: v_dual_lshrrev_b32 v13, 16, v109
	v_and_b32_e32 v14, 0xffff, v106
	v_mul_u32_u24_e32 v9, 0x10001, v9
	v_and_b32_e32 v15, 0xffff, v107
	v_mul_u32_u24_e32 v11, 0x10001, v11
	v_and_b32_e32 v89, 0xffff, v108
	v_and_b32_e32 v90, 0xffff, v109
	v_mul_u32_u24_e32 v14, 0x10001, v14
	v_mul_u32_u24_e32 v15, 0x10001, v15
	;; [unrolled: 1-line block ×5, first 2 shown]
	s_wait_dscnt 0x0
	v_pk_fma_f16 v5, v0, v9, v5
	v_pk_fma_f16 v9, v0, v11, v10
	v_lshrrev_b32_e32 v11, 16, v112
	v_mul_u32_u24_e32 v13, 0x10001, v13
	v_pk_fma_f16 v6, v0, v14, v6
	v_pk_fma_f16 v7, v0, v15, v7
	;; [unrolled: 1-line block ×6, first 2 shown]
	v_dual_lshrrev_b32 v4, 16, v110 :: v_dual_lshrrev_b32 v10, 16, v111
	v_lshrrev_b32_e32 v12, 16, v113
	v_and_b32_e32 v13, 0xffff, v110
	v_and_b32_e32 v14, 0xffff, v111
	;; [unrolled: 1-line block ×4, first 2 shown]
	v_mul_u32_u24_e32 v4, 0x10001, v4
	v_mul_u32_u24_e32 v13, 0x10001, v13
	;; [unrolled: 1-line block ×8, first 2 shown]
	v_pk_fma_f16 v6, v1, v13, v6
	v_pk_fma_f16 v13, v1, v4, v5
	v_pk_fma_f16 v7, v1, v14, v7
	v_pk_fma_f16 v9, v1, v10, v9
	v_pk_fma_f16 v10, v1, v15, v2
	v_pk_fma_f16 v8, v1, v11, v8
	v_pk_fma_f16 v11, v1, v89, v3
	v_pk_fma_f16 v12, v1, v12, v0
	ds_load_2addr_b32 v[4:5], v86 offset0:128 offset1:160
	ds_load_b128 v[0:3], v87 offset:64
	v_pk_fma_f32 v[22:23], v[22:23], v[120:121], v[126:127]
	v_pk_fma_f32 v[20:21], v[20:21], v[116:117], v[124:125]
	s_wait_dscnt 0x0
	v_dual_lshrrev_b32 v14, 16, v0 :: v_dual_lshrrev_b32 v15, 16, v1
	v_dual_lshrrev_b32 v89, 16, v2 :: v_dual_lshrrev_b32 v90, 16, v3
	v_and_b32_e32 v0, 0xffff, v0
	v_and_b32_e32 v1, 0xffff, v1
	;; [unrolled: 1-line block ×4, first 2 shown]
	v_mul_u32_u24_e32 v14, 0x10001, v14
	v_mul_u32_u24_e32 v0, 0x10001, v0
	;; [unrolled: 1-line block ×6, first 2 shown]
	v_pk_fma_f16 v6, v4, v0, v6
	v_pk_fma_f16 v7, v4, v1, v7
	;; [unrolled: 1-line block ×4, first 2 shown]
	ds_load_b128 v[0:3], v87 offset:80
	v_mul_u32_u24_e32 v89, 0x10001, v89
	v_mul_u32_u24_e32 v90, 0x10001, v90
	v_pk_fma_f16 v13, v4, v14, v13
	v_pk_fma_f16 v9, v4, v15, v9
	s_delay_alu instid0(VALU_DEP_4) | instskip(NEXT) | instid1(VALU_DEP_4)
	v_pk_fma_f16 v8, v4, v89, v8
	v_pk_fma_f16 v4, v4, v90, v12
	s_wait_dscnt 0x0
	v_dual_lshrrev_b32 v12, 16, v0 :: v_dual_lshrrev_b32 v14, 16, v1
	v_dual_lshrrev_b32 v15, 16, v2 :: v_dual_lshrrev_b32 v89, 16, v3
	v_and_b32_e32 v0, 0xffff, v0
	v_and_b32_e32 v1, 0xffff, v1
	;; [unrolled: 1-line block ×4, first 2 shown]
	v_mul_u32_u24_e32 v12, 0x10001, v12
	v_mul_u32_u24_e32 v0, 0x10001, v0
	v_mul_u32_u24_e32 v1, 0x10001, v1
	v_mul_u32_u24_e32 v14, 0x10001, v14
	v_mul_u32_u24_e32 v2, 0x10001, v2
	v_mul_u32_u24_e32 v15, 0x10001, v15
	v_mul_u32_u24_e32 v3, 0x10001, v3
	v_mul_u32_u24_e32 v89, 0x10001, v89
	v_pk_fma_f16 v6, v5, v0, v6
	v_pk_fma_f16 v12, v5, v12, v13
	;; [unrolled: 1-line block ×8, first 2 shown]
	ds_load_2addr_b32 v[4:5], v86 offset0:192 offset1:224
	ds_load_b128 v[0:3], v87 offset:96
	s_wait_dscnt 0x0
	v_dual_lshrrev_b32 v14, 16, v0 :: v_dual_lshrrev_b32 v15, 16, v1
	v_dual_lshrrev_b32 v89, 16, v2 :: v_dual_lshrrev_b32 v90, 16, v3
	v_and_b32_e32 v0, 0xffff, v0
	v_and_b32_e32 v1, 0xffff, v1
	v_and_b32_e32 v2, 0xffff, v2
	v_and_b32_e32 v3, 0xffff, v3
	v_mul_u32_u24_e32 v14, 0x10001, v14
	v_mul_u32_u24_e32 v0, 0x10001, v0
	;; [unrolled: 1-line block ×6, first 2 shown]
	v_pk_fma_f16 v6, v4, v0, v6
	v_pk_fma_f16 v7, v4, v1, v7
	;; [unrolled: 1-line block ×4, first 2 shown]
	ds_load_b128 v[0:3], v87 offset:112
	v_mul_u32_u24_e32 v89, 0x10001, v89
	v_mul_u32_u24_e32 v90, 0x10001, v90
	v_pk_fma_f16 v12, v4, v14, v12
	v_pk_fma_f16 v9, v4, v15, v9
	s_delay_alu instid0(VALU_DEP_4) | instskip(NEXT) | instid1(VALU_DEP_4)
	v_pk_fma_f16 v8, v4, v89, v8
	v_pk_fma_f16 v4, v4, v90, v13
	s_wait_dscnt 0x0
	v_dual_lshrrev_b32 v14, 16, v1 :: v_dual_lshrrev_b32 v15, 16, v2
	v_dual_lshrrev_b32 v13, 16, v0 :: v_dual_lshrrev_b32 v89, 16, v3
	v_and_b32_e32 v0, 0xffff, v0
	v_and_b32_e32 v1, 0xffff, v1
	s_delay_alu instid0(VALU_DEP_4)
	v_mul_u32_u24_e32 v14, 0x10001, v14
	v_and_b32_e32 v2, 0xffff, v2
	v_and_b32_e32 v3, 0xffff, v3
	v_mul_u32_u24_e32 v0, 0x10001, v0
	v_mul_u32_u24_e32 v13, 0x10001, v13
	;; [unrolled: 1-line block ×7, first 2 shown]
	v_pk_fma_f16 v9, v5, v14, v9
	v_add_nc_u32_e32 v14, 0x400, v86
	v_pk_fma_f16 v6, v5, v0, v6
	v_pk_fma_f16 v12, v5, v13, v12
	;; [unrolled: 1-line block ×7, first 2 shown]
	ds_load_2addr_b32 v[4:5], v14 offset1:32
	ds_load_b128 v[0:3], v87 offset:128
	s_wait_dscnt 0x0
	v_dual_lshrrev_b32 v15, 16, v0 :: v_dual_lshrrev_b32 v89, 16, v1
	v_dual_lshrrev_b32 v90, 16, v2 :: v_dual_lshrrev_b32 v91, 16, v3
	v_and_b32_e32 v0, 0xffff, v0
	v_and_b32_e32 v1, 0xffff, v1
	v_and_b32_e32 v2, 0xffff, v2
	v_and_b32_e32 v3, 0xffff, v3
	v_mul_u32_u24_e32 v15, 0x10001, v15
	v_mul_u32_u24_e32 v0, 0x10001, v0
	v_mul_u32_u24_e32 v1, 0x10001, v1
	v_mul_u32_u24_e32 v2, 0x10001, v2
	v_mul_u32_u24_e32 v3, 0x10001, v3
	v_mul_u32_u24_e32 v89, 0x10001, v89
	v_pk_fma_f16 v6, v4, v0, v6
	v_pk_fma_f16 v7, v4, v1, v7
	v_pk_fma_f16 v10, v4, v2, v10
	v_pk_fma_f16 v11, v4, v3, v11
	ds_load_b128 v[0:3], v87 offset:144
	v_mul_u32_u24_e32 v90, 0x10001, v90
	v_mul_u32_u24_e32 v91, 0x10001, v91
	v_pk_fma_f16 v12, v4, v15, v12
	v_pk_fma_f16 v9, v4, v89, v9
	s_delay_alu instid0(VALU_DEP_4) | instskip(NEXT) | instid1(VALU_DEP_4)
	v_pk_fma_f16 v8, v4, v90, v8
	v_pk_fma_f16 v4, v4, v91, v13
	s_wait_dscnt 0x0
	v_dual_lshrrev_b32 v13, 16, v0 :: v_dual_lshrrev_b32 v15, 16, v1
	v_dual_lshrrev_b32 v89, 16, v2 :: v_dual_lshrrev_b32 v90, 16, v3
	v_and_b32_e32 v0, 0xffff, v0
	v_and_b32_e32 v1, 0xffff, v1
	v_and_b32_e32 v2, 0xffff, v2
	v_and_b32_e32 v3, 0xffff, v3
	v_mul_u32_u24_e32 v13, 0x10001, v13
	v_mul_u32_u24_e32 v0, 0x10001, v0
	v_mul_u32_u24_e32 v1, 0x10001, v1
	v_mul_u32_u24_e32 v15, 0x10001, v15
	v_mul_u32_u24_e32 v2, 0x10001, v2
	v_mul_u32_u24_e32 v89, 0x10001, v89
	v_mul_u32_u24_e32 v3, 0x10001, v3
	v_mul_u32_u24_e32 v90, 0x10001, v90
	v_pk_fma_f16 v6, v5, v0, v6
	v_pk_fma_f16 v12, v5, v13, v12
	v_pk_fma_f16 v7, v5, v1, v7
	v_pk_fma_f16 v9, v5, v15, v9
	v_pk_fma_f16 v10, v5, v2, v10
	v_pk_fma_f16 v8, v5, v89, v8
	v_pk_fma_f16 v11, v5, v3, v11
	v_pk_fma_f16 v13, v5, v90, v4
	ds_load_2addr_b32 v[4:5], v14 offset0:64 offset1:96
	ds_load_b128 v[0:3], v87 offset:160
	s_wait_dscnt 0x0
	v_dual_lshrrev_b32 v15, 16, v0 :: v_dual_lshrrev_b32 v89, 16, v1
	v_dual_lshrrev_b32 v90, 16, v2 :: v_dual_lshrrev_b32 v91, 16, v3
	v_and_b32_e32 v0, 0xffff, v0
	v_and_b32_e32 v1, 0xffff, v1
	v_and_b32_e32 v2, 0xffff, v2
	v_and_b32_e32 v3, 0xffff, v3
	v_mul_u32_u24_e32 v15, 0x10001, v15
	v_mul_u32_u24_e32 v0, 0x10001, v0
	v_mul_u32_u24_e32 v1, 0x10001, v1
	v_mul_u32_u24_e32 v2, 0x10001, v2
	v_mul_u32_u24_e32 v3, 0x10001, v3
	v_mul_u32_u24_e32 v89, 0x10001, v89
	v_pk_fma_f16 v6, v4, v0, v6
	v_pk_fma_f16 v7, v4, v1, v7
	v_pk_fma_f16 v10, v4, v2, v10
	v_pk_fma_f16 v11, v4, v3, v11
	ds_load_b128 v[0:3], v87 offset:176
	v_mul_u32_u24_e32 v90, 0x10001, v90
	v_mul_u32_u24_e32 v91, 0x10001, v91
	v_pk_fma_f16 v12, v4, v15, v12
	v_pk_fma_f16 v9, v4, v89, v9
	s_delay_alu instid0(VALU_DEP_4) | instskip(NEXT) | instid1(VALU_DEP_4)
	v_pk_fma_f16 v8, v4, v90, v8
	v_pk_fma_f16 v4, v4, v91, v13
	s_wait_dscnt 0x0
	v_dual_lshrrev_b32 v13, 16, v0 :: v_dual_lshrrev_b32 v15, 16, v1
	v_dual_lshrrev_b32 v89, 16, v2 :: v_dual_lshrrev_b32 v90, 16, v3
	v_and_b32_e32 v0, 0xffff, v0
	v_and_b32_e32 v1, 0xffff, v1
	v_and_b32_e32 v2, 0xffff, v2
	v_and_b32_e32 v3, 0xffff, v3
	v_mul_u32_u24_e32 v13, 0x10001, v13
	v_mul_u32_u24_e32 v0, 0x10001, v0
	v_mul_u32_u24_e32 v1, 0x10001, v1
	v_mul_u32_u24_e32 v15, 0x10001, v15
	v_mul_u32_u24_e32 v2, 0x10001, v2
	v_mul_u32_u24_e32 v89, 0x10001, v89
	v_mul_u32_u24_e32 v3, 0x10001, v3
	v_mul_u32_u24_e32 v90, 0x10001, v90
	v_pk_fma_f16 v6, v5, v0, v6
	v_pk_fma_f16 v12, v5, v13, v12
	v_pk_fma_f16 v7, v5, v1, v7
	v_pk_fma_f16 v9, v5, v15, v9
	v_pk_fma_f16 v10, v5, v2, v10
	v_pk_fma_f16 v8, v5, v89, v8
	v_pk_fma_f16 v11, v5, v3, v11
	v_pk_fma_f16 v13, v5, v90, v4
	ds_load_2addr_b32 v[4:5], v14 offset0:128 offset1:160
	;; [unrolled: 50-line block ×3, first 2 shown]
	ds_load_b128 v[0:3], v87 offset:224
	s_wait_dscnt 0x0
	v_dual_lshrrev_b32 v14, 16, v0 :: v_dual_lshrrev_b32 v15, 16, v1
	v_dual_lshrrev_b32 v89, 16, v2 :: v_dual_lshrrev_b32 v90, 16, v3
	v_and_b32_e32 v0, 0xffff, v0
	v_and_b32_e32 v1, 0xffff, v1
	;; [unrolled: 1-line block ×4, first 2 shown]
	v_mul_u32_u24_e32 v14, 0x10001, v14
	v_mul_u32_u24_e32 v0, 0x10001, v0
	;; [unrolled: 1-line block ×6, first 2 shown]
	v_pk_fma_f16 v6, v4, v0, v6
	v_pk_fma_f16 v7, v4, v1, v7
	;; [unrolled: 1-line block ×4, first 2 shown]
	ds_load_b128 v[0:3], v87 offset:240
	v_mul_u32_u24_e32 v89, 0x10001, v89
	v_mul_u32_u24_e32 v90, 0x10001, v90
	v_pk_fma_f16 v12, v4, v14, v12
	v_pk_fma_f16 v9, v4, v15, v9
	s_delay_alu instid0(VALU_DEP_4) | instskip(NEXT) | instid1(VALU_DEP_4)
	v_pk_fma_f16 v8, v4, v89, v8
	v_pk_fma_f16 v4, v4, v90, v13
	s_wait_dscnt 0x0
	v_dual_lshrrev_b32 v14, 16, v1 :: v_dual_lshrrev_b32 v15, 16, v2
	v_dual_lshrrev_b32 v13, 16, v0 :: v_dual_lshrrev_b32 v89, 16, v3
	v_and_b32_e32 v0, 0xffff, v0
	v_and_b32_e32 v1, 0xffff, v1
	s_delay_alu instid0(VALU_DEP_4)
	v_mul_u32_u24_e32 v14, 0x10001, v14
	v_and_b32_e32 v2, 0xffff, v2
	v_and_b32_e32 v3, 0xffff, v3
	v_mul_u32_u24_e32 v0, 0x10001, v0
	v_mul_u32_u24_e32 v13, 0x10001, v13
	;; [unrolled: 1-line block ×7, first 2 shown]
	v_pk_fma_f16 v9, v5, v14, v9
	v_add_nc_u32_e32 v14, 0x800, v86
	v_pk_fma_f16 v6, v5, v0, v6
	v_pk_fma_f16 v12, v5, v13, v12
	;; [unrolled: 1-line block ×7, first 2 shown]
	ds_load_2addr_b32 v[4:5], v14 offset1:32
	ds_load_b128 v[0:3], v87 offset:256
	s_wait_dscnt 0x0
	v_dual_lshrrev_b32 v15, 16, v0 :: v_dual_lshrrev_b32 v89, 16, v1
	v_dual_lshrrev_b32 v90, 16, v2 :: v_dual_lshrrev_b32 v91, 16, v3
	v_and_b32_e32 v0, 0xffff, v0
	v_and_b32_e32 v1, 0xffff, v1
	v_and_b32_e32 v2, 0xffff, v2
	v_and_b32_e32 v3, 0xffff, v3
	v_mul_u32_u24_e32 v15, 0x10001, v15
	v_mul_u32_u24_e32 v0, 0x10001, v0
	v_mul_u32_u24_e32 v1, 0x10001, v1
	v_mul_u32_u24_e32 v2, 0x10001, v2
	v_mul_u32_u24_e32 v3, 0x10001, v3
	v_mul_u32_u24_e32 v89, 0x10001, v89
	v_pk_fma_f16 v6, v4, v0, v6
	v_pk_fma_f16 v7, v4, v1, v7
	v_pk_fma_f16 v10, v4, v2, v10
	v_pk_fma_f16 v11, v4, v3, v11
	ds_load_b128 v[0:3], v87 offset:272
	v_mul_u32_u24_e32 v90, 0x10001, v90
	v_mul_u32_u24_e32 v91, 0x10001, v91
	v_pk_fma_f16 v12, v4, v15, v12
	v_pk_fma_f16 v9, v4, v89, v9
	s_delay_alu instid0(VALU_DEP_4) | instskip(NEXT) | instid1(VALU_DEP_4)
	v_pk_fma_f16 v8, v4, v90, v8
	v_pk_fma_f16 v4, v4, v91, v13
	s_wait_dscnt 0x0
	v_dual_lshrrev_b32 v13, 16, v0 :: v_dual_lshrrev_b32 v15, 16, v1
	v_dual_lshrrev_b32 v89, 16, v2 :: v_dual_lshrrev_b32 v90, 16, v3
	v_and_b32_e32 v0, 0xffff, v0
	v_and_b32_e32 v1, 0xffff, v1
	v_and_b32_e32 v2, 0xffff, v2
	v_and_b32_e32 v3, 0xffff, v3
	v_mul_u32_u24_e32 v13, 0x10001, v13
	v_mul_u32_u24_e32 v0, 0x10001, v0
	v_mul_u32_u24_e32 v1, 0x10001, v1
	v_mul_u32_u24_e32 v15, 0x10001, v15
	v_mul_u32_u24_e32 v2, 0x10001, v2
	v_mul_u32_u24_e32 v89, 0x10001, v89
	v_mul_u32_u24_e32 v3, 0x10001, v3
	v_mul_u32_u24_e32 v90, 0x10001, v90
	v_pk_fma_f16 v6, v5, v0, v6
	v_pk_fma_f16 v12, v5, v13, v12
	v_pk_fma_f16 v7, v5, v1, v7
	v_pk_fma_f16 v9, v5, v15, v9
	v_pk_fma_f16 v10, v5, v2, v10
	v_pk_fma_f16 v8, v5, v89, v8
	v_pk_fma_f16 v11, v5, v3, v11
	v_pk_fma_f16 v13, v5, v90, v4
	ds_load_2addr_b32 v[4:5], v14 offset0:64 offset1:96
	ds_load_b128 v[0:3], v87 offset:288
	s_wait_dscnt 0x0
	v_dual_lshrrev_b32 v15, 16, v0 :: v_dual_lshrrev_b32 v89, 16, v1
	v_dual_lshrrev_b32 v90, 16, v2 :: v_dual_lshrrev_b32 v91, 16, v3
	v_and_b32_e32 v0, 0xffff, v0
	v_and_b32_e32 v1, 0xffff, v1
	v_and_b32_e32 v2, 0xffff, v2
	v_and_b32_e32 v3, 0xffff, v3
	v_mul_u32_u24_e32 v15, 0x10001, v15
	v_mul_u32_u24_e32 v0, 0x10001, v0
	v_mul_u32_u24_e32 v1, 0x10001, v1
	v_mul_u32_u24_e32 v2, 0x10001, v2
	v_mul_u32_u24_e32 v3, 0x10001, v3
	v_mul_u32_u24_e32 v89, 0x10001, v89
	v_pk_fma_f16 v6, v4, v0, v6
	v_pk_fma_f16 v7, v4, v1, v7
	v_pk_fma_f16 v10, v4, v2, v10
	v_pk_fma_f16 v11, v4, v3, v11
	ds_load_b128 v[0:3], v87 offset:304
	v_mul_u32_u24_e32 v90, 0x10001, v90
	v_mul_u32_u24_e32 v91, 0x10001, v91
	v_pk_fma_f16 v12, v4, v15, v12
	v_pk_fma_f16 v9, v4, v89, v9
	s_delay_alu instid0(VALU_DEP_4) | instskip(NEXT) | instid1(VALU_DEP_4)
	v_pk_fma_f16 v8, v4, v90, v8
	v_pk_fma_f16 v4, v4, v91, v13
	s_wait_dscnt 0x0
	v_dual_lshrrev_b32 v13, 16, v0 :: v_dual_lshrrev_b32 v15, 16, v1
	v_dual_lshrrev_b32 v89, 16, v2 :: v_dual_lshrrev_b32 v90, 16, v3
	v_and_b32_e32 v0, 0xffff, v0
	v_and_b32_e32 v1, 0xffff, v1
	v_and_b32_e32 v2, 0xffff, v2
	v_and_b32_e32 v3, 0xffff, v3
	v_mul_u32_u24_e32 v13, 0x10001, v13
	v_mul_u32_u24_e32 v0, 0x10001, v0
	v_mul_u32_u24_e32 v1, 0x10001, v1
	v_mul_u32_u24_e32 v15, 0x10001, v15
	v_mul_u32_u24_e32 v2, 0x10001, v2
	v_mul_u32_u24_e32 v89, 0x10001, v89
	v_mul_u32_u24_e32 v3, 0x10001, v3
	v_mul_u32_u24_e32 v90, 0x10001, v90
	v_pk_fma_f16 v6, v5, v0, v6
	v_pk_fma_f16 v12, v5, v13, v12
	v_pk_fma_f16 v7, v5, v1, v7
	v_pk_fma_f16 v9, v5, v15, v9
	v_pk_fma_f16 v10, v5, v2, v10
	v_pk_fma_f16 v8, v5, v89, v8
	v_pk_fma_f16 v11, v5, v3, v11
	v_pk_fma_f16 v13, v5, v90, v4
	ds_load_2addr_b32 v[4:5], v14 offset0:128 offset1:160
	;; [unrolled: 50-line block ×3, first 2 shown]
	ds_load_b128 v[0:3], v87 offset:352
	s_wait_dscnt 0x0
	v_dual_lshrrev_b32 v14, 16, v0 :: v_dual_lshrrev_b32 v15, 16, v1
	v_dual_lshrrev_b32 v89, 16, v2 :: v_dual_lshrrev_b32 v90, 16, v3
	v_and_b32_e32 v0, 0xffff, v0
	v_and_b32_e32 v1, 0xffff, v1
	;; [unrolled: 1-line block ×4, first 2 shown]
	v_mul_u32_u24_e32 v14, 0x10001, v14
	v_mul_u32_u24_e32 v0, 0x10001, v0
	;; [unrolled: 1-line block ×6, first 2 shown]
	v_pk_fma_f16 v6, v4, v0, v6
	v_pk_fma_f16 v7, v4, v1, v7
	;; [unrolled: 1-line block ×4, first 2 shown]
	ds_load_b128 v[0:3], v87 offset:368
	v_mul_u32_u24_e32 v89, 0x10001, v89
	v_mul_u32_u24_e32 v90, 0x10001, v90
	v_pk_fma_f16 v12, v4, v14, v12
	v_pk_fma_f16 v9, v4, v15, v9
	s_delay_alu instid0(VALU_DEP_4) | instskip(NEXT) | instid1(VALU_DEP_4)
	v_pk_fma_f16 v8, v4, v89, v8
	v_pk_fma_f16 v4, v4, v90, v13
	s_wait_dscnt 0x0
	v_dual_lshrrev_b32 v14, 16, v1 :: v_dual_lshrrev_b32 v15, 16, v2
	v_dual_lshrrev_b32 v13, 16, v0 :: v_dual_lshrrev_b32 v89, 16, v3
	v_and_b32_e32 v0, 0xffff, v0
	v_and_b32_e32 v1, 0xffff, v1
	s_delay_alu instid0(VALU_DEP_4)
	v_mul_u32_u24_e32 v14, 0x10001, v14
	v_and_b32_e32 v2, 0xffff, v2
	v_and_b32_e32 v3, 0xffff, v3
	v_mul_u32_u24_e32 v0, 0x10001, v0
	v_mul_u32_u24_e32 v13, 0x10001, v13
	;; [unrolled: 1-line block ×7, first 2 shown]
	v_pk_fma_f16 v9, v5, v14, v9
	v_add_nc_u32_e32 v14, 0xc00, v86
	v_pk_fma_f16 v6, v5, v0, v6
	v_pk_fma_f16 v12, v5, v13, v12
	;; [unrolled: 1-line block ×7, first 2 shown]
	ds_load_2addr_b32 v[4:5], v14 offset1:32
	ds_load_b128 v[0:3], v87 offset:384
	s_wait_dscnt 0x0
	v_dual_lshrrev_b32 v15, 16, v0 :: v_dual_lshrrev_b32 v89, 16, v1
	v_dual_lshrrev_b32 v90, 16, v2 :: v_dual_lshrrev_b32 v91, 16, v3
	v_and_b32_e32 v0, 0xffff, v0
	v_and_b32_e32 v1, 0xffff, v1
	v_and_b32_e32 v2, 0xffff, v2
	v_and_b32_e32 v3, 0xffff, v3
	v_mul_u32_u24_e32 v15, 0x10001, v15
	v_mul_u32_u24_e32 v0, 0x10001, v0
	v_mul_u32_u24_e32 v1, 0x10001, v1
	v_mul_u32_u24_e32 v2, 0x10001, v2
	v_mul_u32_u24_e32 v3, 0x10001, v3
	v_mul_u32_u24_e32 v89, 0x10001, v89
	v_pk_fma_f16 v6, v4, v0, v6
	v_pk_fma_f16 v7, v4, v1, v7
	v_pk_fma_f16 v10, v4, v2, v10
	v_pk_fma_f16 v11, v4, v3, v11
	ds_load_b128 v[0:3], v87 offset:400
	v_mul_u32_u24_e32 v90, 0x10001, v90
	v_mul_u32_u24_e32 v91, 0x10001, v91
	v_pk_fma_f16 v12, v4, v15, v12
	v_pk_fma_f16 v9, v4, v89, v9
	s_delay_alu instid0(VALU_DEP_4) | instskip(NEXT) | instid1(VALU_DEP_4)
	v_pk_fma_f16 v8, v4, v90, v8
	v_pk_fma_f16 v4, v4, v91, v13
	s_wait_dscnt 0x0
	v_dual_lshrrev_b32 v13, 16, v0 :: v_dual_lshrrev_b32 v15, 16, v1
	v_dual_lshrrev_b32 v89, 16, v2 :: v_dual_lshrrev_b32 v90, 16, v3
	v_and_b32_e32 v0, 0xffff, v0
	v_and_b32_e32 v1, 0xffff, v1
	v_and_b32_e32 v2, 0xffff, v2
	v_and_b32_e32 v3, 0xffff, v3
	v_mul_u32_u24_e32 v13, 0x10001, v13
	v_mul_u32_u24_e32 v0, 0x10001, v0
	v_mul_u32_u24_e32 v1, 0x10001, v1
	v_mul_u32_u24_e32 v15, 0x10001, v15
	v_mul_u32_u24_e32 v2, 0x10001, v2
	v_mul_u32_u24_e32 v89, 0x10001, v89
	v_mul_u32_u24_e32 v3, 0x10001, v3
	v_mul_u32_u24_e32 v90, 0x10001, v90
	v_pk_fma_f16 v6, v5, v0, v6
	v_pk_fma_f16 v12, v5, v13, v12
	v_pk_fma_f16 v7, v5, v1, v7
	v_pk_fma_f16 v9, v5, v15, v9
	v_pk_fma_f16 v10, v5, v2, v10
	v_pk_fma_f16 v8, v5, v89, v8
	v_pk_fma_f16 v11, v5, v3, v11
	v_pk_fma_f16 v13, v5, v90, v4
	ds_load_2addr_b32 v[4:5], v14 offset0:64 offset1:96
	ds_load_b128 v[0:3], v87 offset:416
	s_wait_dscnt 0x0
	v_dual_lshrrev_b32 v15, 16, v0 :: v_dual_lshrrev_b32 v89, 16, v1
	v_dual_lshrrev_b32 v90, 16, v2 :: v_dual_lshrrev_b32 v91, 16, v3
	v_and_b32_e32 v0, 0xffff, v0
	v_and_b32_e32 v1, 0xffff, v1
	v_and_b32_e32 v2, 0xffff, v2
	v_and_b32_e32 v3, 0xffff, v3
	v_mul_u32_u24_e32 v15, 0x10001, v15
	v_mul_u32_u24_e32 v0, 0x10001, v0
	v_mul_u32_u24_e32 v1, 0x10001, v1
	v_mul_u32_u24_e32 v2, 0x10001, v2
	v_mul_u32_u24_e32 v3, 0x10001, v3
	v_mul_u32_u24_e32 v89, 0x10001, v89
	v_pk_fma_f16 v6, v4, v0, v6
	v_pk_fma_f16 v7, v4, v1, v7
	v_pk_fma_f16 v10, v4, v2, v10
	v_pk_fma_f16 v11, v4, v3, v11
	ds_load_b128 v[0:3], v87 offset:432
	v_mul_u32_u24_e32 v90, 0x10001, v90
	v_mul_u32_u24_e32 v91, 0x10001, v91
	v_pk_fma_f16 v12, v4, v15, v12
	v_pk_fma_f16 v9, v4, v89, v9
	s_delay_alu instid0(VALU_DEP_4) | instskip(NEXT) | instid1(VALU_DEP_4)
	v_pk_fma_f16 v8, v4, v90, v8
	v_pk_fma_f16 v4, v4, v91, v13
	s_wait_dscnt 0x0
	v_dual_lshrrev_b32 v13, 16, v0 :: v_dual_lshrrev_b32 v15, 16, v1
	v_dual_lshrrev_b32 v89, 16, v2 :: v_dual_lshrrev_b32 v90, 16, v3
	v_and_b32_e32 v0, 0xffff, v0
	v_and_b32_e32 v1, 0xffff, v1
	v_and_b32_e32 v2, 0xffff, v2
	v_and_b32_e32 v3, 0xffff, v3
	v_mul_u32_u24_e32 v13, 0x10001, v13
	v_mul_u32_u24_e32 v0, 0x10001, v0
	v_mul_u32_u24_e32 v1, 0x10001, v1
	v_mul_u32_u24_e32 v15, 0x10001, v15
	v_mul_u32_u24_e32 v2, 0x10001, v2
	v_mul_u32_u24_e32 v89, 0x10001, v89
	v_mul_u32_u24_e32 v3, 0x10001, v3
	v_mul_u32_u24_e32 v90, 0x10001, v90
	v_pk_fma_f16 v6, v5, v0, v6
	v_pk_fma_f16 v12, v5, v13, v12
	v_pk_fma_f16 v7, v5, v1, v7
	v_pk_fma_f16 v9, v5, v15, v9
	v_pk_fma_f16 v10, v5, v2, v10
	v_pk_fma_f16 v8, v5, v89, v8
	v_pk_fma_f16 v11, v5, v3, v11
	v_pk_fma_f16 v13, v5, v90, v4
	ds_load_2addr_b32 v[4:5], v14 offset0:128 offset1:160
	;; [unrolled: 50-line block ×3, first 2 shown]
	ds_load_b128 v[0:3], v87 offset:480
	s_wait_dscnt 0x0
	v_dual_lshrrev_b32 v14, 16, v0 :: v_dual_lshrrev_b32 v15, 16, v1
	v_dual_lshrrev_b32 v89, 16, v2 :: v_dual_lshrrev_b32 v90, 16, v3
	v_and_b32_e32 v0, 0xffff, v0
	v_and_b32_e32 v1, 0xffff, v1
	;; [unrolled: 1-line block ×4, first 2 shown]
	v_mul_u32_u24_e32 v14, 0x10001, v14
	v_mul_u32_u24_e32 v0, 0x10001, v0
	;; [unrolled: 1-line block ×6, first 2 shown]
	v_pk_fma_f16 v6, v4, v0, v6
	v_pk_fma_f16 v7, v4, v1, v7
	;; [unrolled: 1-line block ×4, first 2 shown]
	ds_load_b128 v[0:3], v87 offset:496
	v_mul_u32_u24_e32 v89, 0x10001, v89
	v_mul_u32_u24_e32 v90, 0x10001, v90
	v_pk_fma_f16 v12, v4, v14, v12
	v_pk_fma_f16 v9, v4, v15, v9
	s_delay_alu instid0(VALU_DEP_4) | instskip(NEXT) | instid1(VALU_DEP_4)
	v_pk_fma_f16 v8, v4, v89, v8
	v_pk_fma_f16 v4, v4, v90, v13
	s_wait_dscnt 0x0
	v_dual_lshrrev_b32 v14, 16, v1 :: v_dual_lshrrev_b32 v15, 16, v2
	v_dual_lshrrev_b32 v13, 16, v0 :: v_dual_lshrrev_b32 v89, 16, v3
	v_and_b32_e32 v0, 0xffff, v0
	v_and_b32_e32 v1, 0xffff, v1
	s_delay_alu instid0(VALU_DEP_4)
	v_mul_u32_u24_e32 v14, 0x10001, v14
	v_and_b32_e32 v2, 0xffff, v2
	v_and_b32_e32 v3, 0xffff, v3
	v_mul_u32_u24_e32 v0, 0x10001, v0
	v_mul_u32_u24_e32 v13, 0x10001, v13
	;; [unrolled: 1-line block ×7, first 2 shown]
	v_pk_fma_f16 v9, v5, v14, v9
	v_add_nc_u32_e32 v14, 0x1000, v86
	v_pk_fma_f16 v6, v5, v0, v6
	v_pk_fma_f16 v12, v5, v13, v12
	;; [unrolled: 1-line block ×7, first 2 shown]
	ds_load_2addr_b32 v[4:5], v14 offset1:32
	ds_load_b128 v[0:3], v87 offset:512
	s_wait_dscnt 0x0
	v_dual_lshrrev_b32 v15, 16, v0 :: v_dual_lshrrev_b32 v89, 16, v1
	v_dual_lshrrev_b32 v90, 16, v2 :: v_dual_lshrrev_b32 v91, 16, v3
	v_and_b32_e32 v0, 0xffff, v0
	v_and_b32_e32 v1, 0xffff, v1
	v_and_b32_e32 v2, 0xffff, v2
	v_and_b32_e32 v3, 0xffff, v3
	v_mul_u32_u24_e32 v15, 0x10001, v15
	v_mul_u32_u24_e32 v0, 0x10001, v0
	v_mul_u32_u24_e32 v1, 0x10001, v1
	v_mul_u32_u24_e32 v2, 0x10001, v2
	v_mul_u32_u24_e32 v3, 0x10001, v3
	v_mul_u32_u24_e32 v89, 0x10001, v89
	v_pk_fma_f16 v6, v4, v0, v6
	v_pk_fma_f16 v7, v4, v1, v7
	v_pk_fma_f16 v10, v4, v2, v10
	v_pk_fma_f16 v11, v4, v3, v11
	ds_load_b128 v[0:3], v87 offset:528
	v_mul_u32_u24_e32 v90, 0x10001, v90
	v_mul_u32_u24_e32 v91, 0x10001, v91
	v_pk_fma_f16 v12, v4, v15, v12
	v_pk_fma_f16 v9, v4, v89, v9
	s_delay_alu instid0(VALU_DEP_4) | instskip(NEXT) | instid1(VALU_DEP_4)
	v_pk_fma_f16 v8, v4, v90, v8
	v_pk_fma_f16 v4, v4, v91, v13
	s_wait_dscnt 0x0
	v_dual_lshrrev_b32 v13, 16, v0 :: v_dual_lshrrev_b32 v15, 16, v1
	v_dual_lshrrev_b32 v89, 16, v2 :: v_dual_lshrrev_b32 v90, 16, v3
	v_and_b32_e32 v0, 0xffff, v0
	v_and_b32_e32 v1, 0xffff, v1
	v_and_b32_e32 v2, 0xffff, v2
	v_and_b32_e32 v3, 0xffff, v3
	v_mul_u32_u24_e32 v13, 0x10001, v13
	v_mul_u32_u24_e32 v0, 0x10001, v0
	v_mul_u32_u24_e32 v1, 0x10001, v1
	v_mul_u32_u24_e32 v15, 0x10001, v15
	v_mul_u32_u24_e32 v2, 0x10001, v2
	v_mul_u32_u24_e32 v89, 0x10001, v89
	v_mul_u32_u24_e32 v3, 0x10001, v3
	v_mul_u32_u24_e32 v90, 0x10001, v90
	v_pk_fma_f16 v6, v5, v0, v6
	v_pk_fma_f16 v12, v5, v13, v12
	v_pk_fma_f16 v7, v5, v1, v7
	v_pk_fma_f16 v9, v5, v15, v9
	v_pk_fma_f16 v10, v5, v2, v10
	v_pk_fma_f16 v8, v5, v89, v8
	v_pk_fma_f16 v11, v5, v3, v11
	v_pk_fma_f16 v13, v5, v90, v4
	ds_load_2addr_b32 v[4:5], v14 offset0:64 offset1:96
	ds_load_b128 v[0:3], v87 offset:544
	s_wait_dscnt 0x0
	v_dual_lshrrev_b32 v15, 16, v0 :: v_dual_lshrrev_b32 v89, 16, v1
	v_dual_lshrrev_b32 v90, 16, v2 :: v_dual_lshrrev_b32 v91, 16, v3
	v_and_b32_e32 v0, 0xffff, v0
	v_and_b32_e32 v1, 0xffff, v1
	v_and_b32_e32 v2, 0xffff, v2
	v_and_b32_e32 v3, 0xffff, v3
	v_mul_u32_u24_e32 v15, 0x10001, v15
	v_mul_u32_u24_e32 v0, 0x10001, v0
	v_mul_u32_u24_e32 v1, 0x10001, v1
	v_mul_u32_u24_e32 v2, 0x10001, v2
	v_mul_u32_u24_e32 v3, 0x10001, v3
	v_mul_u32_u24_e32 v89, 0x10001, v89
	v_pk_fma_f16 v6, v4, v0, v6
	v_pk_fma_f16 v7, v4, v1, v7
	v_pk_fma_f16 v10, v4, v2, v10
	v_pk_fma_f16 v11, v4, v3, v11
	ds_load_b128 v[0:3], v87 offset:560
	v_mul_u32_u24_e32 v90, 0x10001, v90
	v_mul_u32_u24_e32 v91, 0x10001, v91
	v_pk_fma_f16 v12, v4, v15, v12
	v_pk_fma_f16 v9, v4, v89, v9
	s_delay_alu instid0(VALU_DEP_4) | instskip(NEXT) | instid1(VALU_DEP_4)
	v_pk_fma_f16 v8, v4, v90, v8
	v_pk_fma_f16 v4, v4, v91, v13
	s_wait_dscnt 0x0
	v_dual_lshrrev_b32 v13, 16, v0 :: v_dual_lshrrev_b32 v15, 16, v1
	v_dual_lshrrev_b32 v89, 16, v2 :: v_dual_lshrrev_b32 v90, 16, v3
	v_and_b32_e32 v0, 0xffff, v0
	v_and_b32_e32 v1, 0xffff, v1
	v_and_b32_e32 v2, 0xffff, v2
	v_and_b32_e32 v3, 0xffff, v3
	v_mul_u32_u24_e32 v13, 0x10001, v13
	v_mul_u32_u24_e32 v0, 0x10001, v0
	v_mul_u32_u24_e32 v1, 0x10001, v1
	v_mul_u32_u24_e32 v15, 0x10001, v15
	v_mul_u32_u24_e32 v2, 0x10001, v2
	v_mul_u32_u24_e32 v89, 0x10001, v89
	v_mul_u32_u24_e32 v3, 0x10001, v3
	v_mul_u32_u24_e32 v90, 0x10001, v90
	v_pk_fma_f16 v6, v5, v0, v6
	v_pk_fma_f16 v12, v5, v13, v12
	v_pk_fma_f16 v7, v5, v1, v7
	v_pk_fma_f16 v9, v5, v15, v9
	v_pk_fma_f16 v10, v5, v2, v10
	v_pk_fma_f16 v8, v5, v89, v8
	v_pk_fma_f16 v11, v5, v3, v11
	v_pk_fma_f16 v13, v5, v90, v4
	ds_load_2addr_b32 v[4:5], v14 offset0:128 offset1:160
	;; [unrolled: 50-line block ×3, first 2 shown]
	ds_load_b128 v[0:3], v87 offset:608
	s_wait_dscnt 0x0
	v_dual_lshrrev_b32 v14, 16, v0 :: v_dual_lshrrev_b32 v15, 16, v1
	v_dual_lshrrev_b32 v89, 16, v2 :: v_dual_lshrrev_b32 v90, 16, v3
	v_and_b32_e32 v0, 0xffff, v0
	v_and_b32_e32 v1, 0xffff, v1
	;; [unrolled: 1-line block ×4, first 2 shown]
	v_mul_u32_u24_e32 v14, 0x10001, v14
	v_mul_u32_u24_e32 v0, 0x10001, v0
	;; [unrolled: 1-line block ×6, first 2 shown]
	v_pk_fma_f16 v6, v4, v0, v6
	v_pk_fma_f16 v7, v4, v1, v7
	;; [unrolled: 1-line block ×4, first 2 shown]
	ds_load_b128 v[0:3], v87 offset:624
	v_mul_u32_u24_e32 v89, 0x10001, v89
	v_mul_u32_u24_e32 v90, 0x10001, v90
	v_pk_fma_f16 v12, v4, v14, v12
	v_pk_fma_f16 v9, v4, v15, v9
	s_delay_alu instid0(VALU_DEP_4) | instskip(NEXT) | instid1(VALU_DEP_4)
	v_pk_fma_f16 v8, v4, v89, v8
	v_pk_fma_f16 v4, v4, v90, v13
	s_wait_dscnt 0x0
	v_dual_lshrrev_b32 v14, 16, v1 :: v_dual_lshrrev_b32 v15, 16, v2
	v_dual_lshrrev_b32 v13, 16, v0 :: v_dual_lshrrev_b32 v89, 16, v3
	v_and_b32_e32 v0, 0xffff, v0
	v_and_b32_e32 v1, 0xffff, v1
	s_delay_alu instid0(VALU_DEP_4)
	v_mul_u32_u24_e32 v14, 0x10001, v14
	v_and_b32_e32 v2, 0xffff, v2
	v_and_b32_e32 v3, 0xffff, v3
	v_mul_u32_u24_e32 v0, 0x10001, v0
	v_mul_u32_u24_e32 v13, 0x10001, v13
	;; [unrolled: 1-line block ×7, first 2 shown]
	v_pk_fma_f16 v9, v5, v14, v9
	v_add_nc_u32_e32 v14, 0x1400, v86
	v_pk_fma_f16 v6, v5, v0, v6
	v_pk_fma_f16 v12, v5, v13, v12
	;; [unrolled: 1-line block ×7, first 2 shown]
	ds_load_2addr_b32 v[4:5], v14 offset1:32
	ds_load_b128 v[0:3], v87 offset:640
	s_wait_dscnt 0x0
	v_dual_lshrrev_b32 v15, 16, v0 :: v_dual_lshrrev_b32 v89, 16, v1
	v_dual_lshrrev_b32 v90, 16, v2 :: v_dual_lshrrev_b32 v91, 16, v3
	v_and_b32_e32 v0, 0xffff, v0
	v_and_b32_e32 v1, 0xffff, v1
	v_and_b32_e32 v2, 0xffff, v2
	v_and_b32_e32 v3, 0xffff, v3
	v_mul_u32_u24_e32 v15, 0x10001, v15
	v_mul_u32_u24_e32 v0, 0x10001, v0
	v_mul_u32_u24_e32 v1, 0x10001, v1
	v_mul_u32_u24_e32 v2, 0x10001, v2
	v_mul_u32_u24_e32 v3, 0x10001, v3
	v_mul_u32_u24_e32 v89, 0x10001, v89
	v_pk_fma_f16 v6, v4, v0, v6
	v_pk_fma_f16 v7, v4, v1, v7
	v_pk_fma_f16 v10, v4, v2, v10
	v_pk_fma_f16 v11, v4, v3, v11
	ds_load_b128 v[0:3], v87 offset:656
	v_mul_u32_u24_e32 v90, 0x10001, v90
	v_mul_u32_u24_e32 v91, 0x10001, v91
	v_pk_fma_f16 v12, v4, v15, v12
	v_pk_fma_f16 v9, v4, v89, v9
	s_delay_alu instid0(VALU_DEP_4) | instskip(NEXT) | instid1(VALU_DEP_4)
	v_pk_fma_f16 v8, v4, v90, v8
	v_pk_fma_f16 v4, v4, v91, v13
	s_wait_dscnt 0x0
	v_dual_lshrrev_b32 v13, 16, v0 :: v_dual_lshrrev_b32 v15, 16, v1
	v_dual_lshrrev_b32 v89, 16, v2 :: v_dual_lshrrev_b32 v90, 16, v3
	v_and_b32_e32 v0, 0xffff, v0
	v_and_b32_e32 v1, 0xffff, v1
	v_and_b32_e32 v2, 0xffff, v2
	v_and_b32_e32 v3, 0xffff, v3
	v_mul_u32_u24_e32 v13, 0x10001, v13
	v_mul_u32_u24_e32 v0, 0x10001, v0
	v_mul_u32_u24_e32 v1, 0x10001, v1
	v_mul_u32_u24_e32 v15, 0x10001, v15
	v_mul_u32_u24_e32 v2, 0x10001, v2
	v_mul_u32_u24_e32 v89, 0x10001, v89
	v_mul_u32_u24_e32 v3, 0x10001, v3
	v_mul_u32_u24_e32 v90, 0x10001, v90
	v_pk_fma_f16 v6, v5, v0, v6
	v_pk_fma_f16 v12, v5, v13, v12
	v_pk_fma_f16 v7, v5, v1, v7
	v_pk_fma_f16 v9, v5, v15, v9
	v_pk_fma_f16 v10, v5, v2, v10
	v_pk_fma_f16 v8, v5, v89, v8
	v_pk_fma_f16 v11, v5, v3, v11
	v_pk_fma_f16 v13, v5, v90, v4
	ds_load_2addr_b32 v[4:5], v14 offset0:64 offset1:96
	ds_load_b128 v[0:3], v87 offset:672
	s_wait_dscnt 0x0
	v_dual_lshrrev_b32 v15, 16, v0 :: v_dual_lshrrev_b32 v89, 16, v1
	v_dual_lshrrev_b32 v90, 16, v2 :: v_dual_lshrrev_b32 v91, 16, v3
	v_and_b32_e32 v0, 0xffff, v0
	v_and_b32_e32 v1, 0xffff, v1
	v_and_b32_e32 v2, 0xffff, v2
	v_and_b32_e32 v3, 0xffff, v3
	v_mul_u32_u24_e32 v15, 0x10001, v15
	v_mul_u32_u24_e32 v0, 0x10001, v0
	v_mul_u32_u24_e32 v1, 0x10001, v1
	v_mul_u32_u24_e32 v2, 0x10001, v2
	v_mul_u32_u24_e32 v3, 0x10001, v3
	v_mul_u32_u24_e32 v89, 0x10001, v89
	v_pk_fma_f16 v6, v4, v0, v6
	v_pk_fma_f16 v7, v4, v1, v7
	v_pk_fma_f16 v10, v4, v2, v10
	v_pk_fma_f16 v11, v4, v3, v11
	ds_load_b128 v[0:3], v87 offset:688
	v_mul_u32_u24_e32 v90, 0x10001, v90
	v_mul_u32_u24_e32 v91, 0x10001, v91
	v_pk_fma_f16 v12, v4, v15, v12
	v_pk_fma_f16 v9, v4, v89, v9
	s_delay_alu instid0(VALU_DEP_4) | instskip(NEXT) | instid1(VALU_DEP_4)
	v_pk_fma_f16 v8, v4, v90, v8
	v_pk_fma_f16 v4, v4, v91, v13
	s_wait_dscnt 0x0
	v_dual_lshrrev_b32 v13, 16, v0 :: v_dual_lshrrev_b32 v15, 16, v1
	v_dual_lshrrev_b32 v89, 16, v2 :: v_dual_lshrrev_b32 v90, 16, v3
	v_and_b32_e32 v0, 0xffff, v0
	v_and_b32_e32 v1, 0xffff, v1
	v_and_b32_e32 v2, 0xffff, v2
	v_and_b32_e32 v3, 0xffff, v3
	v_mul_u32_u24_e32 v13, 0x10001, v13
	v_mul_u32_u24_e32 v0, 0x10001, v0
	v_mul_u32_u24_e32 v1, 0x10001, v1
	v_mul_u32_u24_e32 v15, 0x10001, v15
	v_mul_u32_u24_e32 v2, 0x10001, v2
	v_mul_u32_u24_e32 v89, 0x10001, v89
	v_mul_u32_u24_e32 v3, 0x10001, v3
	v_mul_u32_u24_e32 v90, 0x10001, v90
	v_pk_fma_f16 v6, v5, v0, v6
	v_pk_fma_f16 v12, v5, v13, v12
	v_pk_fma_f16 v7, v5, v1, v7
	v_pk_fma_f16 v9, v5, v15, v9
	v_pk_fma_f16 v10, v5, v2, v10
	v_pk_fma_f16 v8, v5, v89, v8
	v_pk_fma_f16 v11, v5, v3, v11
	v_pk_fma_f16 v13, v5, v90, v4
	ds_load_2addr_b32 v[4:5], v14 offset0:128 offset1:160
	;; [unrolled: 50-line block ×3, first 2 shown]
	ds_load_b128 v[0:3], v87 offset:736
	s_wait_dscnt 0x0
	v_dual_lshrrev_b32 v14, 16, v0 :: v_dual_lshrrev_b32 v15, 16, v1
	v_dual_lshrrev_b32 v89, 16, v2 :: v_dual_lshrrev_b32 v90, 16, v3
	v_and_b32_e32 v0, 0xffff, v0
	v_and_b32_e32 v1, 0xffff, v1
	;; [unrolled: 1-line block ×4, first 2 shown]
	v_mul_u32_u24_e32 v14, 0x10001, v14
	v_mul_u32_u24_e32 v0, 0x10001, v0
	;; [unrolled: 1-line block ×6, first 2 shown]
	v_pk_fma_f16 v6, v4, v0, v6
	v_pk_fma_f16 v7, v4, v1, v7
	;; [unrolled: 1-line block ×4, first 2 shown]
	ds_load_b128 v[0:3], v87 offset:752
	v_mul_u32_u24_e32 v89, 0x10001, v89
	v_mul_u32_u24_e32 v90, 0x10001, v90
	v_pk_fma_f16 v12, v4, v14, v12
	v_pk_fma_f16 v9, v4, v15, v9
	s_delay_alu instid0(VALU_DEP_4) | instskip(NEXT) | instid1(VALU_DEP_4)
	v_pk_fma_f16 v8, v4, v89, v8
	v_pk_fma_f16 v4, v4, v90, v13
	s_wait_dscnt 0x0
	v_dual_lshrrev_b32 v14, 16, v1 :: v_dual_lshrrev_b32 v15, 16, v2
	v_dual_lshrrev_b32 v13, 16, v0 :: v_dual_lshrrev_b32 v89, 16, v3
	v_and_b32_e32 v0, 0xffff, v0
	v_and_b32_e32 v1, 0xffff, v1
	s_delay_alu instid0(VALU_DEP_4)
	v_mul_u32_u24_e32 v14, 0x10001, v14
	v_and_b32_e32 v2, 0xffff, v2
	v_and_b32_e32 v3, 0xffff, v3
	v_mul_u32_u24_e32 v0, 0x10001, v0
	v_mul_u32_u24_e32 v13, 0x10001, v13
	;; [unrolled: 1-line block ×7, first 2 shown]
	v_pk_fma_f16 v9, v5, v14, v9
	v_add_nc_u32_e32 v14, 0x1800, v86
	v_pk_fma_f16 v6, v5, v0, v6
	v_pk_fma_f16 v12, v5, v13, v12
	;; [unrolled: 1-line block ×7, first 2 shown]
	ds_load_2addr_b32 v[4:5], v14 offset1:32
	ds_load_b128 v[0:3], v87 offset:768
	s_wait_dscnt 0x0
	v_dual_lshrrev_b32 v15, 16, v0 :: v_dual_lshrrev_b32 v89, 16, v1
	v_dual_lshrrev_b32 v90, 16, v2 :: v_dual_lshrrev_b32 v91, 16, v3
	v_and_b32_e32 v0, 0xffff, v0
	v_and_b32_e32 v1, 0xffff, v1
	v_and_b32_e32 v2, 0xffff, v2
	v_and_b32_e32 v3, 0xffff, v3
	v_mul_u32_u24_e32 v15, 0x10001, v15
	v_mul_u32_u24_e32 v0, 0x10001, v0
	v_mul_u32_u24_e32 v1, 0x10001, v1
	v_mul_u32_u24_e32 v2, 0x10001, v2
	v_mul_u32_u24_e32 v3, 0x10001, v3
	v_mul_u32_u24_e32 v89, 0x10001, v89
	v_pk_fma_f16 v6, v4, v0, v6
	v_pk_fma_f16 v7, v4, v1, v7
	v_pk_fma_f16 v10, v4, v2, v10
	v_pk_fma_f16 v11, v4, v3, v11
	ds_load_b128 v[0:3], v87 offset:784
	v_mul_u32_u24_e32 v90, 0x10001, v90
	v_mul_u32_u24_e32 v91, 0x10001, v91
	v_pk_fma_f16 v12, v4, v15, v12
	v_pk_fma_f16 v9, v4, v89, v9
	s_delay_alu instid0(VALU_DEP_4) | instskip(NEXT) | instid1(VALU_DEP_4)
	v_pk_fma_f16 v8, v4, v90, v8
	v_pk_fma_f16 v4, v4, v91, v13
	s_wait_dscnt 0x0
	v_dual_lshrrev_b32 v13, 16, v0 :: v_dual_lshrrev_b32 v15, 16, v1
	v_dual_lshrrev_b32 v89, 16, v2 :: v_dual_lshrrev_b32 v90, 16, v3
	v_and_b32_e32 v0, 0xffff, v0
	v_and_b32_e32 v1, 0xffff, v1
	v_and_b32_e32 v2, 0xffff, v2
	v_and_b32_e32 v3, 0xffff, v3
	v_mul_u32_u24_e32 v13, 0x10001, v13
	v_mul_u32_u24_e32 v0, 0x10001, v0
	v_mul_u32_u24_e32 v1, 0x10001, v1
	v_mul_u32_u24_e32 v15, 0x10001, v15
	v_mul_u32_u24_e32 v2, 0x10001, v2
	v_mul_u32_u24_e32 v89, 0x10001, v89
	v_mul_u32_u24_e32 v3, 0x10001, v3
	v_mul_u32_u24_e32 v90, 0x10001, v90
	v_pk_fma_f16 v6, v5, v0, v6
	v_pk_fma_f16 v12, v5, v13, v12
	v_pk_fma_f16 v7, v5, v1, v7
	v_pk_fma_f16 v9, v5, v15, v9
	v_pk_fma_f16 v10, v5, v2, v10
	v_pk_fma_f16 v8, v5, v89, v8
	v_pk_fma_f16 v11, v5, v3, v11
	v_pk_fma_f16 v13, v5, v90, v4
	ds_load_2addr_b32 v[4:5], v14 offset0:64 offset1:96
	ds_load_b128 v[0:3], v87 offset:800
	s_wait_dscnt 0x0
	v_dual_lshrrev_b32 v15, 16, v0 :: v_dual_lshrrev_b32 v89, 16, v1
	v_dual_lshrrev_b32 v90, 16, v2 :: v_dual_lshrrev_b32 v91, 16, v3
	v_and_b32_e32 v0, 0xffff, v0
	v_and_b32_e32 v1, 0xffff, v1
	v_and_b32_e32 v2, 0xffff, v2
	v_and_b32_e32 v3, 0xffff, v3
	v_mul_u32_u24_e32 v15, 0x10001, v15
	v_mul_u32_u24_e32 v0, 0x10001, v0
	v_mul_u32_u24_e32 v1, 0x10001, v1
	v_mul_u32_u24_e32 v2, 0x10001, v2
	v_mul_u32_u24_e32 v3, 0x10001, v3
	v_mul_u32_u24_e32 v89, 0x10001, v89
	v_pk_fma_f16 v6, v4, v0, v6
	v_pk_fma_f16 v7, v4, v1, v7
	v_pk_fma_f16 v10, v4, v2, v10
	v_pk_fma_f16 v11, v4, v3, v11
	ds_load_b128 v[0:3], v87 offset:816
	v_mul_u32_u24_e32 v90, 0x10001, v90
	v_mul_u32_u24_e32 v91, 0x10001, v91
	v_pk_fma_f16 v12, v4, v15, v12
	v_pk_fma_f16 v9, v4, v89, v9
	s_delay_alu instid0(VALU_DEP_4) | instskip(NEXT) | instid1(VALU_DEP_4)
	v_pk_fma_f16 v8, v4, v90, v8
	v_pk_fma_f16 v4, v4, v91, v13
	s_wait_dscnt 0x0
	v_dual_lshrrev_b32 v13, 16, v0 :: v_dual_lshrrev_b32 v15, 16, v1
	v_dual_lshrrev_b32 v89, 16, v2 :: v_dual_lshrrev_b32 v90, 16, v3
	v_and_b32_e32 v0, 0xffff, v0
	v_and_b32_e32 v1, 0xffff, v1
	v_and_b32_e32 v2, 0xffff, v2
	v_and_b32_e32 v3, 0xffff, v3
	v_mul_u32_u24_e32 v13, 0x10001, v13
	v_mul_u32_u24_e32 v0, 0x10001, v0
	v_mul_u32_u24_e32 v1, 0x10001, v1
	v_mul_u32_u24_e32 v15, 0x10001, v15
	v_mul_u32_u24_e32 v2, 0x10001, v2
	v_mul_u32_u24_e32 v89, 0x10001, v89
	v_mul_u32_u24_e32 v3, 0x10001, v3
	v_mul_u32_u24_e32 v90, 0x10001, v90
	v_pk_fma_f16 v6, v5, v0, v6
	v_pk_fma_f16 v12, v5, v13, v12
	v_pk_fma_f16 v7, v5, v1, v7
	v_pk_fma_f16 v9, v5, v15, v9
	v_pk_fma_f16 v10, v5, v2, v10
	v_pk_fma_f16 v8, v5, v89, v8
	v_pk_fma_f16 v11, v5, v3, v11
	v_pk_fma_f16 v13, v5, v90, v4
	ds_load_2addr_b32 v[4:5], v14 offset0:128 offset1:160
	;; [unrolled: 50-line block ×3, first 2 shown]
	ds_load_b128 v[0:3], v87 offset:864
	s_wait_dscnt 0x0
	v_dual_lshrrev_b32 v14, 16, v0 :: v_dual_lshrrev_b32 v15, 16, v1
	v_dual_lshrrev_b32 v89, 16, v2 :: v_dual_lshrrev_b32 v90, 16, v3
	v_and_b32_e32 v0, 0xffff, v0
	v_and_b32_e32 v1, 0xffff, v1
	;; [unrolled: 1-line block ×4, first 2 shown]
	v_mul_u32_u24_e32 v14, 0x10001, v14
	v_mul_u32_u24_e32 v0, 0x10001, v0
	;; [unrolled: 1-line block ×6, first 2 shown]
	v_pk_fma_f16 v6, v4, v0, v6
	v_pk_fma_f16 v7, v4, v1, v7
	;; [unrolled: 1-line block ×4, first 2 shown]
	ds_load_b128 v[0:3], v87 offset:880
	v_mul_u32_u24_e32 v89, 0x10001, v89
	v_mul_u32_u24_e32 v90, 0x10001, v90
	v_pk_fma_f16 v12, v4, v14, v12
	v_pk_fma_f16 v9, v4, v15, v9
	s_delay_alu instid0(VALU_DEP_4) | instskip(NEXT) | instid1(VALU_DEP_4)
	v_pk_fma_f16 v8, v4, v89, v8
	v_pk_fma_f16 v4, v4, v90, v13
	s_wait_dscnt 0x0
	v_dual_lshrrev_b32 v14, 16, v1 :: v_dual_lshrrev_b32 v15, 16, v2
	v_dual_lshrrev_b32 v13, 16, v0 :: v_dual_lshrrev_b32 v89, 16, v3
	v_and_b32_e32 v0, 0xffff, v0
	v_and_b32_e32 v1, 0xffff, v1
	s_delay_alu instid0(VALU_DEP_4)
	v_mul_u32_u24_e32 v14, 0x10001, v14
	v_and_b32_e32 v2, 0xffff, v2
	v_and_b32_e32 v3, 0xffff, v3
	v_mul_u32_u24_e32 v0, 0x10001, v0
	v_mul_u32_u24_e32 v13, 0x10001, v13
	;; [unrolled: 1-line block ×7, first 2 shown]
	v_pk_fma_f16 v9, v5, v14, v9
	v_add_nc_u32_e32 v14, 0x1c00, v86
	v_pk_fma_f16 v6, v5, v0, v6
	v_pk_fma_f16 v12, v5, v13, v12
	;; [unrolled: 1-line block ×7, first 2 shown]
	ds_load_2addr_b32 v[4:5], v14 offset1:32
	ds_load_b128 v[0:3], v87 offset:896
	s_wait_dscnt 0x0
	v_dual_lshrrev_b32 v15, 16, v0 :: v_dual_lshrrev_b32 v89, 16, v1
	v_dual_lshrrev_b32 v90, 16, v2 :: v_dual_lshrrev_b32 v91, 16, v3
	v_and_b32_e32 v0, 0xffff, v0
	v_and_b32_e32 v1, 0xffff, v1
	v_and_b32_e32 v2, 0xffff, v2
	v_and_b32_e32 v3, 0xffff, v3
	v_mul_u32_u24_e32 v15, 0x10001, v15
	v_mul_u32_u24_e32 v0, 0x10001, v0
	v_mul_u32_u24_e32 v1, 0x10001, v1
	v_mul_u32_u24_e32 v2, 0x10001, v2
	v_mul_u32_u24_e32 v3, 0x10001, v3
	v_mul_u32_u24_e32 v89, 0x10001, v89
	v_pk_fma_f16 v6, v4, v0, v6
	v_pk_fma_f16 v7, v4, v1, v7
	v_pk_fma_f16 v10, v4, v2, v10
	v_pk_fma_f16 v11, v4, v3, v11
	ds_load_b128 v[0:3], v87 offset:912
	v_mul_u32_u24_e32 v90, 0x10001, v90
	v_mul_u32_u24_e32 v91, 0x10001, v91
	v_pk_fma_f16 v12, v4, v15, v12
	v_pk_fma_f16 v9, v4, v89, v9
	s_delay_alu instid0(VALU_DEP_4) | instskip(NEXT) | instid1(VALU_DEP_4)
	v_pk_fma_f16 v8, v4, v90, v8
	v_pk_fma_f16 v4, v4, v91, v13
	s_wait_dscnt 0x0
	v_dual_lshrrev_b32 v13, 16, v0 :: v_dual_lshrrev_b32 v15, 16, v1
	v_dual_lshrrev_b32 v89, 16, v2 :: v_dual_lshrrev_b32 v90, 16, v3
	v_and_b32_e32 v0, 0xffff, v0
	v_and_b32_e32 v1, 0xffff, v1
	v_and_b32_e32 v2, 0xffff, v2
	v_and_b32_e32 v3, 0xffff, v3
	v_mul_u32_u24_e32 v13, 0x10001, v13
	v_mul_u32_u24_e32 v0, 0x10001, v0
	v_mul_u32_u24_e32 v1, 0x10001, v1
	v_mul_u32_u24_e32 v15, 0x10001, v15
	v_mul_u32_u24_e32 v2, 0x10001, v2
	v_mul_u32_u24_e32 v89, 0x10001, v89
	v_mul_u32_u24_e32 v3, 0x10001, v3
	v_mul_u32_u24_e32 v90, 0x10001, v90
	v_pk_fma_f16 v6, v5, v0, v6
	v_pk_fma_f16 v12, v5, v13, v12
	v_pk_fma_f16 v7, v5, v1, v7
	v_pk_fma_f16 v9, v5, v15, v9
	v_pk_fma_f16 v10, v5, v2, v10
	v_pk_fma_f16 v8, v5, v89, v8
	v_pk_fma_f16 v11, v5, v3, v11
	v_pk_fma_f16 v13, v5, v90, v4
	ds_load_2addr_b32 v[4:5], v14 offset0:64 offset1:96
	ds_load_b128 v[0:3], v87 offset:928
	s_wait_dscnt 0x0
	v_dual_lshrrev_b32 v15, 16, v0 :: v_dual_lshrrev_b32 v89, 16, v1
	v_dual_lshrrev_b32 v90, 16, v2 :: v_dual_lshrrev_b32 v91, 16, v3
	v_and_b32_e32 v0, 0xffff, v0
	v_and_b32_e32 v1, 0xffff, v1
	v_and_b32_e32 v2, 0xffff, v2
	v_and_b32_e32 v3, 0xffff, v3
	v_mul_u32_u24_e32 v15, 0x10001, v15
	v_mul_u32_u24_e32 v0, 0x10001, v0
	v_mul_u32_u24_e32 v1, 0x10001, v1
	v_mul_u32_u24_e32 v2, 0x10001, v2
	v_mul_u32_u24_e32 v3, 0x10001, v3
	v_mul_u32_u24_e32 v89, 0x10001, v89
	v_pk_fma_f16 v6, v4, v0, v6
	v_pk_fma_f16 v7, v4, v1, v7
	v_pk_fma_f16 v10, v4, v2, v10
	v_pk_fma_f16 v11, v4, v3, v11
	ds_load_b128 v[0:3], v87 offset:944
	v_mul_u32_u24_e32 v90, 0x10001, v90
	v_mul_u32_u24_e32 v91, 0x10001, v91
	v_pk_fma_f16 v12, v4, v15, v12
	v_pk_fma_f16 v9, v4, v89, v9
	s_delay_alu instid0(VALU_DEP_4) | instskip(NEXT) | instid1(VALU_DEP_4)
	v_pk_fma_f16 v8, v4, v90, v8
	v_pk_fma_f16 v4, v4, v91, v13
	s_wait_dscnt 0x0
	v_dual_lshrrev_b32 v13, 16, v0 :: v_dual_lshrrev_b32 v15, 16, v1
	v_dual_lshrrev_b32 v89, 16, v2 :: v_dual_lshrrev_b32 v90, 16, v3
	v_and_b32_e32 v0, 0xffff, v0
	v_and_b32_e32 v1, 0xffff, v1
	v_and_b32_e32 v2, 0xffff, v2
	v_and_b32_e32 v3, 0xffff, v3
	v_mul_u32_u24_e32 v13, 0x10001, v13
	v_mul_u32_u24_e32 v0, 0x10001, v0
	v_mul_u32_u24_e32 v1, 0x10001, v1
	v_mul_u32_u24_e32 v15, 0x10001, v15
	v_mul_u32_u24_e32 v2, 0x10001, v2
	v_mul_u32_u24_e32 v89, 0x10001, v89
	v_mul_u32_u24_e32 v3, 0x10001, v3
	v_mul_u32_u24_e32 v90, 0x10001, v90
	v_pk_fma_f16 v6, v5, v0, v6
	v_pk_fma_f16 v12, v5, v13, v12
	v_pk_fma_f16 v7, v5, v1, v7
	v_pk_fma_f16 v9, v5, v15, v9
	v_pk_fma_f16 v10, v5, v2, v10
	v_pk_fma_f16 v8, v5, v89, v8
	v_pk_fma_f16 v11, v5, v3, v11
	v_pk_fma_f16 v13, v5, v90, v4
	ds_load_2addr_b32 v[4:5], v14 offset0:128 offset1:160
	;; [unrolled: 50-line block ×3, first 2 shown]
	ds_load_b128 v[0:3], v87 offset:992
	s_wait_dscnt 0x0
	v_dual_lshrrev_b32 v14, 16, v0 :: v_dual_lshrrev_b32 v15, 16, v1
	v_dual_lshrrev_b32 v89, 16, v2 :: v_dual_lshrrev_b32 v90, 16, v3
	v_and_b32_e32 v0, 0xffff, v0
	v_and_b32_e32 v1, 0xffff, v1
	;; [unrolled: 1-line block ×4, first 2 shown]
	v_mul_u32_u24_e32 v14, 0x10001, v14
	v_mul_u32_u24_e32 v0, 0x10001, v0
	;; [unrolled: 1-line block ×6, first 2 shown]
	v_pk_fma_f16 v6, v4, v0, v6
	v_pk_fma_f16 v7, v4, v1, v7
	v_pk_fma_f16 v10, v4, v2, v10
	v_pk_fma_f16 v11, v4, v3, v11
	ds_load_b128 v[0:3], v87 offset:1008
	s_wait_dscnt 0x0
	s_barrier_signal -1
	s_barrier_wait -1
	s_load_b32 s15, s[8:9], 0x4
	v_mul_u32_u24_e32 v89, 0x10001, v89
	v_mul_u32_u24_e32 v90, 0x10001, v90
	v_pk_fma_f16 v12, v4, v14, v12
	v_pk_fma_f16 v9, v4, v15, v9
	s_delay_alu instid0(VALU_DEP_4) | instskip(NEXT) | instid1(VALU_DEP_4)
	v_pk_fma_f16 v8, v4, v89, v8
	v_pk_fma_f16 v4, v4, v90, v13
	v_dual_lshrrev_b32 v13, 16, v0 :: v_dual_lshrrev_b32 v14, 16, v1
	v_dual_lshrrev_b32 v15, 16, v2 :: v_dual_lshrrev_b32 v89, 16, v3
	v_and_b32_e32 v0, 0xffff, v0
	v_and_b32_e32 v1, 0xffff, v1
	;; [unrolled: 1-line block ×4, first 2 shown]
	v_mul_u32_u24_e32 v13, 0x10001, v13
	v_mul_u32_u24_e32 v0, 0x10001, v0
	;; [unrolled: 1-line block ×8, first 2 shown]
	s_wait_kmcnt 0x0
	s_lshl_b32 s15, s15, 6
	v_pk_fma_f16 v109, v5, v0, v6
	v_pk_fma_f16 v108, v5, v13, v12
	v_pk_fma_f16 v107, v5, v1, v7
	v_pk_fma_f16 v106, v5, v14, v9
	v_pk_fma_f16 v93, v5, v2, v10
	v_pk_fma_f16 v91, v5, v15, v8
	v_pk_fma_f16 v90, v5, v3, v11
	v_pk_fma_f16 v89, v5, v89, v4
	s_add_co_i32 s14, s15, s14
	s_delay_alu instid0(SALU_CYCLE_1)
	s_cmp_lt_i32 s14, s3
	s_cbranch_scc0 .LBB56_44
; %bb.42:                               ;   in Loop: Header=BB56_8 Depth=1
	v_dual_mov_b32 v117, v32 :: v_dual_mov_b32 v116, v33
	v_dual_mov_b32 v115, v34 :: v_dual_mov_b32 v114, v35
	;; [unrolled: 1-line block ×4, first 2 shown]
	s_branch .LBB56_8
.LBB56_43:
	v_dual_mov_b32 v32, 0xfeffffff :: v_dual_mov_b32 v109, 0
	v_dual_mov_b32 v21, 0 :: v_dual_mov_b32 v20, 0
	;; [unrolled: 1-line block ×3, first 2 shown]
	s_delay_alu instid0(VALU_DEP_3)
	v_dual_mov_b32 v33, v32 :: v_dual_mov_b32 v34, v32
	v_dual_mov_b32 v35, v32 :: v_dual_mov_b32 v36, v32
	;; [unrolled: 1-line block ×8, first 2 shown]
	v_mov_b32_e32 v89, 0
.LBB56_44:
	v_lshlrev_b32_e32 v60, 1, v40
	s_cmp_gt_i32 s2, s14
	s_cbranch_scc1 .LBB56_47
; %bb.45:
	v_mbcnt_lo_u32_b32 v0, -1, 0
	v_mov_b32_e32 v62, 32
	s_delay_alu instid0(VALU_DEP_2)
	v_xor_b32_e32 v64, 16, v0
	v_xor_b32_e32 v63, 8, v0
	;; [unrolled: 1-line block ×5, first 2 shown]
	s_cbranch_execz .LBB56_48
; %bb.46:
	v_mov_b32_e32 v84, v0
	s_branch .LBB56_121
.LBB56_47:
                                        ; implicit-def: $vgpr0
                                        ; implicit-def: $vgpr62
                                        ; implicit-def: $vgpr64
                                        ; implicit-def: $vgpr63
                                        ; implicit-def: $vgpr61
                                        ; implicit-def: $vgpr58
                                        ; implicit-def: $vgpr59
.LBB56_48:
	v_lshl_add_u32 v65, v41, 2, v92
	s_ashr_i32 s15, s14, 31
	s_ashr_i32 s5, s4, 31
	v_dual_mov_b32 v0, 0 :: v_dual_lshlrev_b32 v1, 20, v84
	s_delay_alu instid0(VALU_DEP_2)
	v_mul_lo_u32 v8, s4, v65
	s_mul_u64 s[8:9], s[14:15], s[4:5]
	v_and_b32_e32 v2, 28, v86
	s_lshl_b64 s[8:9], s[8:9], 2
	v_add_nc_u64_e32 v[10:11], src_flat_scratch_base_lo, v[0:1]
	s_add_nc_u64 s[6:7], s[6:7], s[8:9]
	s_sub_co_i32 s9, s2, s14
	s_mov_b32 s44, 0
	v_cmp_gt_i32_e64 s5, s9, v65
	s_mov_b32 s45, s44
	s_mov_b32 s46, s44
	v_dual_ashrrev_i32 v9, 31, v8 :: v_dual_mov_b32 v57, 0
	v_dual_lshlrev_b32 v56, 2, v2 :: v_dual_mov_b32 v4, s44
	v_mov_b32_e32 v5, s45
	s_delay_alu instid0(VALU_DEP_3) | instskip(SKIP_1) | instid1(VALU_DEP_3)
	v_lshl_add_u64 v[2:3], v[8:9], 2, s[6:7]
	s_lshl_b32 s2, s4, 4
	v_mad_u32_u24 v7, 0x90, v65, v56
	v_mad_u32 v58, v28, s30, s14
	s_cmp_lg_u64 s[36:37], 0
	v_add_nc_u64_e32 v[0:1], v[2:3], v[56:57]
	v_mov_b32_e32 v6, s46
	s_cselect_b32 s8, -1, 0
	v_dual_add_nc_u32 v66, 16, v65 :: v_dual_add_nc_u32 v67, 32, v65
	v_add_nc_u32_e32 v92, 48, v65
	s_delay_alu instid0(VALU_DEP_4)
	v_dual_cndmask_b32 v1, v11, v1, s5 :: v_dual_cndmask_b32 v0, v10, v0, s5
	s_clause 0x1
	scratch_store_b32 off, v57, off
	scratch_store_b96 off, v[4:6], off offset:4
	v_cmp_gt_i32_e64 s4, s9, v66
	v_add_nc_u32_e32 v8, s2, v8
	v_cmp_gt_i32_e64 s3, s9, v67
	flat_load_b128 v[0:3], v[0:1]
	s_clause 0x1
	scratch_store_b32 off, v57, off
	scratch_store_b96 off, v[4:6], off offset:4
	v_ashrrev_i32_e32 v9, 31, v8
	s_delay_alu instid0(VALU_DEP_1) | instskip(NEXT) | instid1(VALU_DEP_1)
	v_lshl_add_u64 v[12:13], v[8:9], 2, s[6:7]
	v_add_nc_u64_e32 v[12:13], v[12:13], v[56:57]
	s_delay_alu instid0(VALU_DEP_1) | instskip(SKIP_1) | instid1(VALU_DEP_1)
	v_dual_cndmask_b32 v13, v11, v13, s4 :: v_dual_cndmask_b32 v12, v10, v12, s4
	v_add_nc_u32_e32 v8, s2, v8
	v_ashrrev_i32_e32 v9, 31, v8
	s_wait_loadcnt_dscnt 0x0
	ds_store_b128 v7, v[0:3]
	flat_load_b128 v[0:3], v[12:13]
	s_wait_xcnt 0x0
	v_lshl_add_u64 v[12:13], v[8:9], 2, s[6:7]
	s_clause 0x1
	scratch_store_b32 off, v57, off
	scratch_store_b96 off, v[4:6], off offset:4
	v_add_nc_u32_e32 v8, s2, v8
	v_cmp_gt_i32_e64 s2, s9, v92
	v_add_nc_u64_e32 v[12:13], v[12:13], v[56:57]
	s_delay_alu instid0(VALU_DEP_1) | instskip(NEXT) | instid1(VALU_DEP_2)
	v_dual_ashrrev_i32 v9, 31, v8 :: v_dual_cndmask_b32 v13, v11, v13, s3
	v_cndmask_b32_e64 v12, v10, v12, s3
	s_delay_alu instid0(VALU_DEP_2) | instskip(SKIP_1) | instid1(VALU_DEP_2)
	v_lshl_add_u64 v[8:9], v[8:9], 2, s[6:7]
	v_cmp_gt_i32_e64 s6, s9, v40
	v_add_nc_u64_e32 v[8:9], v[8:9], v[56:57]
	s_delay_alu instid0(VALU_DEP_1)
	v_dual_cndmask_b32 v9, v11, v9, s2 :: v_dual_cndmask_b32 v8, v10, v8, s2
	s_wait_loadcnt_dscnt 0x0
	ds_store_b128 v7, v[0:3] offset:2304
	flat_load_b128 v[0:3], v[12:13]
	s_clause 0x1
	scratch_store_b32 off, v57, off
	scratch_store_b96 off, v[4:6], off offset:4
	s_wait_xcnt 0x0
	v_dual_mov_b32 v4, v57 :: v_dual_mov_b32 v5, v57
	v_mov_b32_e32 v6, v57
	s_wait_loadcnt_dscnt 0x0
	ds_store_b128 v7, v[0:3] offset:4608
	flat_load_b128 v[0:3], v[8:9]
	s_wait_loadcnt_dscnt 0x0
	ds_store_b128 v7, v[0:3] offset:6912
	s_wait_storecnt_dscnt 0x0
	s_barrier_signal -1
	s_barrier_wait -1
	s_wait_xcnt 0x0
	ds_load_b128 v[8:11], v29
	ds_load_b128 v[12:15], v85 offset:13312
	ds_load_b128 v[24:27], v85 offset:13440
	;; [unrolled: 1-line block ×9, first 2 shown]
	v_dual_mov_b32 v0, v57 :: v_dual_mov_b32 v1, v57
	v_dual_mov_b32 v2, v57 :: v_dual_mov_b32 v3, v57
	v_mov_b32_e32 v7, v57
	s_wait_dscnt 0x8
	;;#ASMSTART
	v_dot2_f32_f16 v0, v8, v12, v0
	;;#ASMEND
	;;#ASMSTART
	v_dot2_f32_f16 v0, v9, v13, v0
	;;#ASMEND
	;;#ASMSTART
	v_dot2_f32_f16 v0, v10, v14, v0
	;;#ASMEND
	;;#ASMSTART
	v_dot2_f32_f16 v0, v11, v15, v0
	;;#ASMEND
	s_wait_dscnt 0x7
	;;#ASMSTART
	v_dot2_f32_f16 v1, v8, v24, v1
	;;#ASMEND
	;;#ASMSTART
	v_dot2_f32_f16 v1, v9, v25, v1
	;;#ASMEND
	;;#ASMSTART
	v_dot2_f32_f16 v1, v10, v26, v1
	;;#ASMEND
	;;#ASMSTART
	v_dot2_f32_f16 v1, v11, v27, v1
	;;#ASMEND
	;; [unrolled: 13-line block ×7, first 2 shown]
	s_wait_dscnt 0x0
	;;#ASMSTART
	v_dot2_f32_f16 v7, v8, v122, v7
	;;#ASMEND
	;;#ASMSTART
	v_dot2_f32_f16 v7, v9, v123, v7
	;;#ASMEND
	;;#ASMSTART
	v_dot2_f32_f16 v7, v10, v124, v7
	;;#ASMEND
	v_dual_mov_b32 v8, v57 :: v_dual_mov_b32 v9, v57
	;;#ASMSTART
	v_dot2_f32_f16 v7, v11, v125, v7
	;;#ASMEND
	;;#ASMSTART
	v_dot2_f32_f16 v8, v102, v12, v8
	;;#ASMEND
	;;#ASMSTART
	v_dot2_f32_f16 v8, v103, v13, v8
	;;#ASMEND
	;;#ASMSTART
	v_dot2_f32_f16 v8, v104, v14, v8
	;;#ASMEND
	;;#ASMSTART
	v_dot2_f32_f16 v8, v105, v15, v8
	;;#ASMEND
	;;#ASMSTART
	v_dot2_f32_f16 v9, v102, v24, v9
	;;#ASMEND
	;;#ASMSTART
	v_dot2_f32_f16 v9, v103, v25, v9
	;;#ASMEND
	;;#ASMSTART
	v_dot2_f32_f16 v9, v104, v26, v9
	;;#ASMEND
	v_dual_mov_b32 v10, v57 :: v_dual_mov_b32 v11, v57
	;;#ASMSTART
	v_dot2_f32_f16 v9, v105, v27, v9
	;;#ASMEND
	;;#ASMSTART
	v_dot2_f32_f16 v10, v102, v94, v10
	;;#ASMEND
	;;#ASMSTART
	v_dot2_f32_f16 v10, v103, v95, v10
	;;#ASMEND
	;;#ASMSTART
	v_dot2_f32_f16 v10, v104, v96, v10
	;;#ASMEND
	;;#ASMSTART
	v_dot2_f32_f16 v10, v105, v97, v10
	;;#ASMEND
	;; [unrolled: 25-line block ×4, first 2 shown]
	;;#ASMSTART
	v_dot2_f32_f16 v15, v102, v122, v15
	;;#ASMEND
	;;#ASMSTART
	v_dot2_f32_f16 v15, v103, v123, v15
	;;#ASMEND
	;; [unrolled: 3-line block ×4, first 2 shown]
	ds_load_b128 v[24:27], v29 offset:16
	ds_load_b128 v[94:97], v85 offset:13328
	;; [unrolled: 1-line block ×10, first 2 shown]
	s_wait_dscnt 0x8
	;;#ASMSTART
	v_dot2_f32_f16 v0, v24, v94, v0
	;;#ASMEND
	;;#ASMSTART
	v_dot2_f32_f16 v0, v25, v95, v0
	;;#ASMEND
	;;#ASMSTART
	v_dot2_f32_f16 v0, v26, v96, v0
	;;#ASMEND
	;;#ASMSTART
	v_dot2_f32_f16 v0, v27, v97, v0
	;;#ASMEND
	s_wait_dscnt 0x7
	;;#ASMSTART
	v_dot2_f32_f16 v1, v24, v98, v1
	;;#ASMEND
	;;#ASMSTART
	v_dot2_f32_f16 v1, v25, v99, v1
	;;#ASMEND
	;;#ASMSTART
	v_dot2_f32_f16 v1, v26, v100, v1
	;;#ASMEND
	;;#ASMSTART
	v_dot2_f32_f16 v1, v27, v101, v1
	;;#ASMEND
	;; [unrolled: 13-line block ×8, first 2 shown]
	;;#ASMSTART
	v_dot2_f32_f16 v8, v114, v94, v8
	;;#ASMEND
	;;#ASMSTART
	v_dot2_f32_f16 v8, v115, v95, v8
	;;#ASMEND
	;;#ASMSTART
	v_dot2_f32_f16 v8, v116, v96, v8
	;;#ASMEND
	;;#ASMSTART
	v_dot2_f32_f16 v8, v117, v97, v8
	;;#ASMEND
	;;#ASMSTART
	v_dot2_f32_f16 v9, v114, v98, v9
	;;#ASMEND
	;;#ASMSTART
	v_dot2_f32_f16 v9, v115, v99, v9
	;;#ASMEND
	;;#ASMSTART
	v_dot2_f32_f16 v9, v116, v100, v9
	;;#ASMEND
	;;#ASMSTART
	v_dot2_f32_f16 v9, v117, v101, v9
	;;#ASMEND
	;;#ASMSTART
	v_dot2_f32_f16 v10, v114, v102, v10
	;;#ASMEND
	;;#ASMSTART
	v_dot2_f32_f16 v10, v115, v103, v10
	;;#ASMEND
	;;#ASMSTART
	v_dot2_f32_f16 v10, v116, v104, v10
	;;#ASMEND
	;;#ASMSTART
	v_dot2_f32_f16 v10, v117, v105, v10
	;;#ASMEND
	;;#ASMSTART
	v_dot2_f32_f16 v11, v114, v110, v11
	;;#ASMEND
	;;#ASMSTART
	v_dot2_f32_f16 v11, v115, v111, v11
	;;#ASMEND
	;;#ASMSTART
	v_dot2_f32_f16 v11, v116, v112, v11
	;;#ASMEND
	;;#ASMSTART
	v_dot2_f32_f16 v11, v117, v113, v11
	;;#ASMEND
	;;#ASMSTART
	v_dot2_f32_f16 v12, v114, v118, v12
	;;#ASMEND
	;;#ASMSTART
	v_dot2_f32_f16 v12, v115, v119, v12
	;;#ASMEND
	;;#ASMSTART
	v_dot2_f32_f16 v12, v116, v120, v12
	;;#ASMEND
	;;#ASMSTART
	v_dot2_f32_f16 v12, v117, v121, v12
	;;#ASMEND
	;;#ASMSTART
	v_dot2_f32_f16 v13, v114, v122, v13
	;;#ASMEND
	;;#ASMSTART
	v_dot2_f32_f16 v13, v115, v123, v13
	;;#ASMEND
	;;#ASMSTART
	v_dot2_f32_f16 v13, v116, v124, v13
	;;#ASMEND
	;;#ASMSTART
	v_dot2_f32_f16 v13, v117, v125, v13
	;;#ASMEND
	;;#ASMSTART
	v_dot2_f32_f16 v14, v114, v126, v14
	;;#ASMEND
	;;#ASMSTART
	v_dot2_f32_f16 v14, v115, v127, v14
	;;#ASMEND
	;;#ASMSTART
	v_dot2_f32_f16 v14, v116, v128, v14
	;;#ASMEND
	;;#ASMSTART
	v_dot2_f32_f16 v14, v117, v129, v14
	;;#ASMEND
	;;#ASMSTART
	v_dot2_f32_f16 v15, v114, v130, v15
	;;#ASMEND
	;;#ASMSTART
	v_dot2_f32_f16 v15, v115, v131, v15
	;;#ASMEND
	;;#ASMSTART
	v_dot2_f32_f16 v15, v116, v132, v15
	;;#ASMEND
	;;#ASMSTART
	v_dot2_f32_f16 v15, v117, v133, v15
	;;#ASMEND
	ds_load_b128 v[24:27], v29 offset:32
	ds_load_b128 v[94:97], v85 offset:13344
	;; [unrolled: 1-line block ×10, first 2 shown]
	s_wait_dscnt 0x8
	;;#ASMSTART
	v_dot2_f32_f16 v0, v24, v94, v0
	;;#ASMEND
	;;#ASMSTART
	v_dot2_f32_f16 v0, v25, v95, v0
	;;#ASMEND
	;;#ASMSTART
	v_dot2_f32_f16 v0, v26, v96, v0
	;;#ASMEND
	;;#ASMSTART
	v_dot2_f32_f16 v0, v27, v97, v0
	;;#ASMEND
	s_wait_dscnt 0x7
	;;#ASMSTART
	v_dot2_f32_f16 v1, v24, v98, v1
	;;#ASMEND
	;;#ASMSTART
	v_dot2_f32_f16 v1, v25, v99, v1
	;;#ASMEND
	;;#ASMSTART
	v_dot2_f32_f16 v1, v26, v100, v1
	;;#ASMEND
	;;#ASMSTART
	v_dot2_f32_f16 v1, v27, v101, v1
	;;#ASMEND
	;; [unrolled: 13-line block ×8, first 2 shown]
	;;#ASMSTART
	v_dot2_f32_f16 v8, v114, v94, v8
	;;#ASMEND
	;;#ASMSTART
	v_dot2_f32_f16 v8, v115, v95, v8
	;;#ASMEND
	;; [unrolled: 3-line block ×32, first 2 shown]
	ds_load_b128 v[24:27], v29 offset:48
	ds_load_b128 v[94:97], v85 offset:13360
	ds_load_b128 v[98:101], v85 offset:13488
	ds_load_b128 v[102:105], v85 offset:13616
	ds_load_b128 v[110:113], v85 offset:13744
	ds_load_b128 v[114:117], v29 offset:4656
	ds_load_b128 v[118:121], v85 offset:13872
	ds_load_b128 v[122:125], v85 offset:14000
	ds_load_b128 v[126:129], v85 offset:14128
	ds_load_b128 v[130:133], v85 offset:14256
	s_wait_dscnt 0x8
	;;#ASMSTART
	v_dot2_f32_f16 v0, v24, v94, v0
	;;#ASMEND
	;;#ASMSTART
	v_dot2_f32_f16 v0, v25, v95, v0
	;;#ASMEND
	;;#ASMSTART
	v_dot2_f32_f16 v0, v26, v96, v0
	;;#ASMEND
	;;#ASMSTART
	v_dot2_f32_f16 v0, v27, v97, v0
	;;#ASMEND
	s_wait_dscnt 0x7
	;;#ASMSTART
	v_dot2_f32_f16 v1, v24, v98, v1
	;;#ASMEND
	;;#ASMSTART
	v_dot2_f32_f16 v1, v25, v99, v1
	;;#ASMEND
	;;#ASMSTART
	v_dot2_f32_f16 v1, v26, v100, v1
	;;#ASMEND
	;;#ASMSTART
	v_dot2_f32_f16 v1, v27, v101, v1
	;;#ASMEND
	;; [unrolled: 13-line block ×8, first 2 shown]
	;;#ASMSTART
	v_dot2_f32_f16 v8, v114, v94, v8
	;;#ASMEND
	;;#ASMSTART
	v_dot2_f32_f16 v8, v115, v95, v8
	;;#ASMEND
	;; [unrolled: 3-line block ×32, first 2 shown]
	ds_load_b128 v[24:27], v29 offset:64
	ds_load_b128 v[94:97], v85 offset:13376
	;; [unrolled: 1-line block ×10, first 2 shown]
	s_wait_dscnt 0x8
	;;#ASMSTART
	v_dot2_f32_f16 v0, v24, v94, v0
	;;#ASMEND
	;;#ASMSTART
	v_dot2_f32_f16 v0, v25, v95, v0
	;;#ASMEND
	;;#ASMSTART
	v_dot2_f32_f16 v0, v26, v96, v0
	;;#ASMEND
	;;#ASMSTART
	v_dot2_f32_f16 v0, v27, v97, v0
	;;#ASMEND
	s_wait_dscnt 0x7
	;;#ASMSTART
	v_dot2_f32_f16 v1, v24, v98, v1
	;;#ASMEND
	;;#ASMSTART
	v_dot2_f32_f16 v1, v25, v99, v1
	;;#ASMEND
	;;#ASMSTART
	v_dot2_f32_f16 v1, v26, v100, v1
	;;#ASMEND
	;;#ASMSTART
	v_dot2_f32_f16 v1, v27, v101, v1
	;;#ASMEND
	;; [unrolled: 13-line block ×8, first 2 shown]
	;;#ASMSTART
	v_dot2_f32_f16 v8, v114, v94, v8
	;;#ASMEND
	;;#ASMSTART
	v_dot2_f32_f16 v8, v115, v95, v8
	;;#ASMEND
	;; [unrolled: 3-line block ×32, first 2 shown]
	ds_load_b128 v[24:27], v29 offset:80
	ds_load_b128 v[94:97], v85 offset:13392
	;; [unrolled: 1-line block ×10, first 2 shown]
	s_wait_dscnt 0x8
	;;#ASMSTART
	v_dot2_f32_f16 v0, v24, v94, v0
	;;#ASMEND
	;;#ASMSTART
	v_dot2_f32_f16 v0, v25, v95, v0
	;;#ASMEND
	;;#ASMSTART
	v_dot2_f32_f16 v0, v26, v96, v0
	;;#ASMEND
	;;#ASMSTART
	v_dot2_f32_f16 v0, v27, v97, v0
	;;#ASMEND
	s_wait_dscnt 0x7
	;;#ASMSTART
	v_dot2_f32_f16 v1, v24, v98, v1
	;;#ASMEND
	;;#ASMSTART
	v_dot2_f32_f16 v1, v25, v99, v1
	;;#ASMEND
	;;#ASMSTART
	v_dot2_f32_f16 v1, v26, v100, v1
	;;#ASMEND
	;;#ASMSTART
	v_dot2_f32_f16 v1, v27, v101, v1
	;;#ASMEND
	;; [unrolled: 13-line block ×8, first 2 shown]
	;;#ASMSTART
	v_dot2_f32_f16 v8, v114, v94, v8
	;;#ASMEND
	;;#ASMSTART
	v_dot2_f32_f16 v8, v115, v95, v8
	;;#ASMEND
	;; [unrolled: 3-line block ×32, first 2 shown]
	ds_load_b128 v[24:27], v29 offset:96
	ds_load_b128 v[94:97], v85 offset:13408
	;; [unrolled: 1-line block ×10, first 2 shown]
	s_wait_dscnt 0x8
	;;#ASMSTART
	v_dot2_f32_f16 v0, v24, v94, v0
	;;#ASMEND
	;;#ASMSTART
	v_dot2_f32_f16 v0, v25, v95, v0
	;;#ASMEND
	;;#ASMSTART
	v_dot2_f32_f16 v0, v26, v96, v0
	;;#ASMEND
	;;#ASMSTART
	v_dot2_f32_f16 v0, v27, v97, v0
	;;#ASMEND
	s_wait_dscnt 0x7
	;;#ASMSTART
	v_dot2_f32_f16 v1, v24, v98, v1
	;;#ASMEND
	;;#ASMSTART
	v_dot2_f32_f16 v1, v25, v99, v1
	;;#ASMEND
	;;#ASMSTART
	v_dot2_f32_f16 v1, v26, v100, v1
	;;#ASMEND
	;;#ASMSTART
	v_dot2_f32_f16 v1, v27, v101, v1
	;;#ASMEND
	;; [unrolled: 13-line block ×8, first 2 shown]
	;;#ASMSTART
	v_dot2_f32_f16 v8, v114, v94, v8
	;;#ASMEND
	;;#ASMSTART
	v_dot2_f32_f16 v8, v115, v95, v8
	;;#ASMEND
	;; [unrolled: 3-line block ×32, first 2 shown]
	ds_load_b128 v[94:97], v29 offset:112
	ds_load_b128 v[24:27], v29 offset:4720
	;; [unrolled: 1-line block ×10, first 2 shown]
	s_wait_dscnt 0x7
	;;#ASMSTART
	v_dot2_f32_f16 v0, v94, v98, v0
	;;#ASMEND
	;;#ASMSTART
	v_dot2_f32_f16 v0, v95, v99, v0
	;;#ASMEND
	;;#ASMSTART
	v_dot2_f32_f16 v0, v96, v100, v0
	;;#ASMEND
	;;#ASMSTART
	v_dot2_f32_f16 v0, v97, v101, v0
	;;#ASMEND
	s_wait_dscnt 0x6
	;;#ASMSTART
	v_dot2_f32_f16 v1, v94, v102, v1
	;;#ASMEND
	;;#ASMSTART
	v_dot2_f32_f16 v1, v95, v103, v1
	;;#ASMEND
	;;#ASMSTART
	v_dot2_f32_f16 v1, v96, v104, v1
	;;#ASMEND
	;;#ASMSTART
	v_dot2_f32_f16 v1, v97, v105, v1
	;;#ASMEND
	;; [unrolled: 13-line block ×8, first 2 shown]
	;;#ASMSTART
	v_dot2_f32_f16 v8, v24, v98, v8
	;;#ASMEND
	;;#ASMSTART
	v_dot2_f32_f16 v8, v25, v99, v8
	;;#ASMEND
	;; [unrolled: 3-line block ×32, first 2 shown]
	v_mov_b64_e32 v[24:25], v[32:33]
	v_mov_b64_e32 v[26:27], v[34:35]
	v_mov_b64_e32 v[28:29], v[36:37]
	v_mov_b64_e32 v[30:31], v[38:39]
	v_cndmask_b32_e64 v94, 0, 1, s8
	s_and_saveexec_b32 s7, s6
	s_cbranch_execz .LBB56_52
; %bb.49:
	s_and_not1_b32 vcc_lo, exec_lo, s8
	s_cbranch_vccnz .LBB56_51
; %bb.50:
	v_add_nc_u32_e32 v24, v58, v40
	global_load_u16 v24, v24, s[36:37] scale_offset
	s_wait_loadcnt 0x0
	v_cvt_f32_f16_e32 v24, v24
	s_delay_alu instid0(VALU_DEP_1)
	v_mul_f32_e32 v57, v88, v24
.LBB56_51:
	v_max_num_f32_e32 v25, v32, v32
	s_delay_alu instid0(VALU_DEP_2) | instskip(NEXT) | instid1(VALU_DEP_1)
	v_add_f32_e32 v0, v0, v57
	v_add_f32_e32 v24, 0x40051340, v0
	s_delay_alu instid0(VALU_DEP_1)
	v_max_num_f32_e32 v41, v25, v24
	v_mov_b64_e32 v[24:25], v[32:33]
	v_mov_b64_e32 v[26:27], v[34:35]
	;; [unrolled: 1-line block ×4, first 2 shown]
	v_mov_b32_e32 v24, v41
.LBB56_52:
	s_or_b32 exec_lo, exec_lo, s7
	v_add_nc_u32_e32 v57, 32, v40
	s_delay_alu instid0(VALU_DEP_1)
	v_cmp_gt_i32_e64 s7, s9, v57
	s_and_saveexec_b32 s8, s7
	s_cbranch_execz .LBB56_57
; %bb.53:
	v_cmp_ne_u32_e32 vcc_lo, 1, v94
	s_cbranch_vccnz .LBB56_55
; %bb.54:
	v_dual_ashrrev_i32 v59, 31, v58 :: v_dual_mov_b32 v41, 0
	s_delay_alu instid0(VALU_DEP_1) | instskip(NEXT) | instid1(VALU_DEP_1)
	v_add_nc_u64_e32 v[58:59], v[58:59], v[40:41]
	v_lshl_add_u64 v[58:59], v[58:59], 1, s[36:37]
	global_load_u16 v41, v[58:59], off offset:64
	s_wait_loadcnt 0x0
	v_cvt_f32_f16_e32 v41, v41
	s_delay_alu instid0(VALU_DEP_1)
	v_mul_f32_e32 v41, v88, v41
	s_branch .LBB56_56
.LBB56_55:
	v_mov_b32_e32 v41, 0
.LBB56_56:
	s_delay_alu instid0(VALU_DEP_1) | instskip(SKIP_1) | instid1(VALU_DEP_2)
	v_add_f32_e32 v8, v8, v41
	v_max_num_f32_e32 v24, v24, v24
	v_add_f32_e32 v41, 0x40051340, v8
	s_delay_alu instid0(VALU_DEP_1)
	v_max_num_f32_e32 v24, v24, v41
.LBB56_57:
	s_or_b32 exec_lo, exec_lo, s8
	v_xor_b32_e32 v64, 16, v84
	v_xor_b32_e32 v63, 8, v84
	;; [unrolled: 1-line block ×3, first 2 shown]
	v_dual_mov_b32 v55, 0 :: v_dual_bitop2_b32 v58, 2, v84 bitop3:0x14
	s_delay_alu instid0(VALU_DEP_4) | instskip(SKIP_1) | instid1(VALU_DEP_3)
	v_cmp_gt_i32_e32 vcc_lo, 32, v64
	v_mov_b32_e32 v62, 32
	v_mul_u64_e32 v[98:99], s[28:29], v[54:55]
	v_cndmask_b32_e32 v41, v84, v64, vcc_lo
	v_cmp_gt_i32_e32 vcc_lo, 32, v63
	s_delay_alu instid0(VALU_DEP_2) | instskip(SKIP_1) | instid1(VALU_DEP_2)
	v_dual_cndmask_b32 v43, v84, v63, vcc_lo :: v_dual_lshlrev_b32 v95, 2, v41
	v_cmp_gt_i32_e32 vcc_lo, 32, v61
	v_lshlrev_b32_e32 v96, 2, v43
	ds_bpermute_b32 v41, v95, v24
	v_max_num_f32_e32 v24, v24, v24
	v_cndmask_b32_e32 v43, v84, v61, vcc_lo
	v_cmp_gt_i32_e32 vcc_lo, 32, v58
	s_wait_dscnt 0x0
	s_delay_alu instid0(VALU_DEP_2) | instskip(NEXT) | instid1(VALU_DEP_1)
	v_dual_lshlrev_b32 v97, 2, v43 :: v_dual_max_num_f32 v41, v41, v41
	v_max_num_f32_e32 v24, v24, v41
	ds_bpermute_b32 v41, v96, v24
	s_wait_dscnt 0x0
	v_max_num_f32_e32 v41, v41, v41
	s_delay_alu instid0(VALU_DEP_1) | instskip(SKIP_3) | instid1(VALU_DEP_1)
	v_max_num_f32_e32 v24, v24, v41
	ds_bpermute_b32 v41, v97, v24
	s_wait_dscnt 0x0
	v_dual_cndmask_b32 v43, v84, v58, vcc_lo :: v_dual_max_num_f32 v41, v41, v41
	v_dual_lshlrev_b32 v98, 2, v43 :: v_dual_max_num_f32 v24, v24, v41
	ds_bpermute_b32 v41, v98, v24
	s_wait_dscnt 0x0
	v_dual_max_num_f32 v41, v41, v41 :: v_dual_bitop2_b32 v59, 1, v84 bitop3:0x14
	s_delay_alu instid0(VALU_DEP_1) | instskip(NEXT) | instid1(VALU_DEP_2)
	v_cmp_gt_i32_e32 vcc_lo, 32, v59
	v_dual_max_num_f32 v24, v24, v41 :: v_dual_add_nc_u32 v45, v54, v99
	s_delay_alu instid0(VALU_DEP_1) | instskip(NEXT) | instid1(VALU_DEP_1)
	v_dual_cndmask_b32 v43, v84, v59, vcc_lo :: v_dual_lshrrev_b32 v41, s21, v45
	v_mul_lo_u32 v41, v41, s22
	s_delay_alu instid0(VALU_DEP_1) | instskip(SKIP_4) | instid1(VALU_DEP_1)
	v_dual_lshlrev_b32 v99, 2, v43 :: v_dual_sub_nc_u32 v41, v54, v41
	ds_bpermute_b32 v43, v99, v24
	v_mad_u32 v54, v41, s30, s14
	s_wait_dscnt 0x0
	v_max_num_f32_e32 v41, v43, v43
	v_max_num_f32_e32 v24, v24, v41
	s_and_saveexec_b32 s8, s6
	s_cbranch_execz .LBB56_61
; %bb.58:
	v_cmp_ne_u32_e32 vcc_lo, 1, v94
	s_cbranch_vccnz .LBB56_60
; %bb.59:
	s_delay_alu instid0(VALU_DEP_4) | instskip(SKIP_3) | instid1(VALU_DEP_1)
	v_add_nc_u32_e32 v41, v54, v40
	global_load_u16 v41, v41, s[36:37] scale_offset
	s_wait_loadcnt 0x0
	v_cvt_f32_f16_e32 v41, v41
	v_mul_f32_e32 v55, v88, v41
.LBB56_60:
	s_delay_alu instid0(VALU_DEP_1) | instskip(SKIP_1) | instid1(VALU_DEP_2)
	v_add_f32_e32 v1, v1, v55
	v_max_num_f32_e32 v25, v25, v25
	v_add_f32_e32 v41, 0x40051340, v1
	s_delay_alu instid0(VALU_DEP_1)
	v_max_num_f32_e32 v25, v25, v41
.LBB56_61:
	s_or_b32 exec_lo, exec_lo, s8
	s_and_saveexec_b32 s8, s7
	s_cbranch_execz .LBB56_66
; %bb.62:
	v_cmp_ne_u32_e32 vcc_lo, 1, v94
	s_cbranch_vccnz .LBB56_64
; %bb.63:
	v_dual_ashrrev_i32 v55, 31, v54 :: v_dual_mov_b32 v41, 0
	s_delay_alu instid0(VALU_DEP_1) | instskip(NEXT) | instid1(VALU_DEP_1)
	v_add_nc_u64_e32 v[54:55], v[54:55], v[40:41]
	v_lshl_add_u64 v[54:55], v[54:55], 1, s[36:37]
	global_load_u16 v41, v[54:55], off offset:64
	s_wait_loadcnt 0x0
	v_cvt_f32_f16_e32 v41, v41
	s_delay_alu instid0(VALU_DEP_1)
	v_mul_f32_e32 v41, v88, v41
	s_branch .LBB56_65
.LBB56_64:
	v_mov_b32_e32 v41, 0
.LBB56_65:
	s_delay_alu instid0(VALU_DEP_1) | instskip(SKIP_1) | instid1(VALU_DEP_2)
	v_add_f32_e32 v9, v9, v41
	v_max_num_f32_e32 v25, v25, v25
	v_add_f32_e32 v41, 0x40051340, v9
	s_delay_alu instid0(VALU_DEP_1)
	v_max_num_f32_e32 v25, v25, v41
.LBB56_66:
	s_or_b32 exec_lo, exec_lo, s8
	ds_bpermute_b32 v41, v95, v25
	v_mov_b32_e32 v53, 0
	s_delay_alu instid0(VALU_DEP_1) | instskip(SKIP_2) | instid1(VALU_DEP_2)
	v_mul_u64_e32 v[54:55], s[28:29], v[52:53]
	v_max_num_f32_e32 v25, v25, v25
	s_wait_dscnt 0x0
	v_dual_max_num_f32 v41, v41, v41 :: v_dual_add_nc_u32 v43, v52, v55
	s_delay_alu instid0(VALU_DEP_1) | instskip(SKIP_3) | instid1(VALU_DEP_1)
	v_max_num_f32_e32 v25, v25, v41
	ds_bpermute_b32 v41, v96, v25
	s_wait_dscnt 0x0
	v_max_num_f32_e32 v41, v41, v41
	v_max_num_f32_e32 v25, v25, v41
	ds_bpermute_b32 v41, v97, v25
	s_wait_dscnt 0x0
	v_max_num_f32_e32 v41, v41, v41
	s_delay_alu instid0(VALU_DEP_1) | instskip(SKIP_3) | instid1(VALU_DEP_1)
	v_max_num_f32_e32 v25, v25, v41
	ds_bpermute_b32 v41, v98, v25
	s_wait_dscnt 0x0
	v_max_num_f32_e32 v41, v41, v41
	v_dual_max_num_f32 v25, v25, v41 :: v_dual_lshrrev_b32 v41, s21, v43
	ds_bpermute_b32 v43, v99, v25
	v_mul_lo_u32 v41, v41, s22
	s_delay_alu instid0(VALU_DEP_1) | instskip(NEXT) | instid1(VALU_DEP_1)
	v_sub_nc_u32_e32 v41, v52, v41
	v_mad_u32 v52, v41, s30, s14
	s_wait_dscnt 0x0
	v_max_num_f32_e32 v41, v43, v43
	s_delay_alu instid0(VALU_DEP_1)
	v_max_num_f32_e32 v25, v25, v41
	s_and_saveexec_b32 s8, s6
	s_cbranch_execz .LBB56_70
; %bb.67:
	v_cmp_ne_u32_e32 vcc_lo, 1, v94
	s_cbranch_vccnz .LBB56_69
; %bb.68:
	s_delay_alu instid0(VALU_DEP_4) | instskip(SKIP_3) | instid1(VALU_DEP_1)
	v_add_nc_u32_e32 v41, v52, v40
	global_load_u16 v41, v41, s[36:37] scale_offset
	s_wait_loadcnt 0x0
	v_cvt_f32_f16_e32 v41, v41
	v_mul_f32_e32 v53, v88, v41
.LBB56_69:
	s_delay_alu instid0(VALU_DEP_1) | instskip(SKIP_1) | instid1(VALU_DEP_2)
	v_add_f32_e32 v2, v2, v53
	v_max_num_f32_e32 v26, v26, v26
	v_add_f32_e32 v41, 0x40051340, v2
	s_delay_alu instid0(VALU_DEP_1)
	v_max_num_f32_e32 v26, v26, v41
.LBB56_70:
	s_or_b32 exec_lo, exec_lo, s8
	s_and_saveexec_b32 s8, s7
	s_cbranch_execz .LBB56_75
; %bb.71:
	v_cmp_ne_u32_e32 vcc_lo, 1, v94
	s_cbranch_vccnz .LBB56_73
; %bb.72:
	v_dual_ashrrev_i32 v53, 31, v52 :: v_dual_mov_b32 v41, 0
	s_delay_alu instid0(VALU_DEP_1) | instskip(NEXT) | instid1(VALU_DEP_1)
	v_add_nc_u64_e32 v[52:53], v[52:53], v[40:41]
	v_lshl_add_u64 v[52:53], v[52:53], 1, s[36:37]
	global_load_u16 v41, v[52:53], off offset:64
	s_wait_loadcnt 0x0
	v_cvt_f32_f16_e32 v41, v41
	s_delay_alu instid0(VALU_DEP_1)
	v_mul_f32_e32 v41, v88, v41
	s_branch .LBB56_74
.LBB56_73:
	v_mov_b32_e32 v41, 0
.LBB56_74:
	s_delay_alu instid0(VALU_DEP_1) | instskip(SKIP_1) | instid1(VALU_DEP_2)
	v_add_f32_e32 v10, v10, v41
	v_max_num_f32_e32 v26, v26, v26
	v_add_f32_e32 v41, 0x40051340, v10
	s_delay_alu instid0(VALU_DEP_1)
	v_max_num_f32_e32 v26, v26, v41
.LBB56_75:
	s_or_b32 exec_lo, exec_lo, s8
	ds_bpermute_b32 v41, v95, v26
	v_dual_max_num_f32 v26, v26, v26 :: v_dual_mov_b32 v51, 0
	s_delay_alu instid0(VALU_DEP_1) | instskip(SKIP_2) | instid1(VALU_DEP_1)
	v_mul_u64_e32 v[52:53], s[28:29], v[50:51]
	s_wait_dscnt 0x0
	v_max_num_f32_e32 v41, v41, v41
	v_max_num_f32_e32 v26, v26, v41
	ds_bpermute_b32 v41, v96, v26
	v_add_nc_u32_e32 v43, v50, v53
	s_wait_dscnt 0x0
	v_max_num_f32_e32 v41, v41, v41
	s_delay_alu instid0(VALU_DEP_1) | instskip(SKIP_3) | instid1(VALU_DEP_1)
	v_max_num_f32_e32 v26, v26, v41
	ds_bpermute_b32 v41, v97, v26
	s_wait_dscnt 0x0
	v_max_num_f32_e32 v41, v41, v41
	v_max_num_f32_e32 v26, v26, v41
	ds_bpermute_b32 v41, v98, v26
	s_wait_dscnt 0x0
	v_max_num_f32_e32 v41, v41, v41
	s_delay_alu instid0(VALU_DEP_1) | instskip(SKIP_2) | instid1(VALU_DEP_1)
	v_dual_max_num_f32 v26, v26, v41 :: v_dual_lshrrev_b32 v41, s21, v43
	ds_bpermute_b32 v43, v99, v26
	v_mul_lo_u32 v41, v41, s22
	v_sub_nc_u32_e32 v41, v50, v41
	s_delay_alu instid0(VALU_DEP_1) | instskip(SKIP_2) | instid1(VALU_DEP_1)
	v_mad_u32 v50, v41, s30, s14
	s_wait_dscnt 0x0
	v_max_num_f32_e32 v41, v43, v43
	v_max_num_f32_e32 v26, v26, v41
	s_and_saveexec_b32 s8, s6
	s_cbranch_execz .LBB56_79
; %bb.76:
	v_cmp_ne_u32_e32 vcc_lo, 1, v94
	s_cbranch_vccnz .LBB56_78
; %bb.77:
	s_delay_alu instid0(VALU_DEP_4) | instskip(SKIP_3) | instid1(VALU_DEP_1)
	v_add_nc_u32_e32 v41, v50, v40
	global_load_u16 v41, v41, s[36:37] scale_offset
	s_wait_loadcnt 0x0
	v_cvt_f32_f16_e32 v41, v41
	v_mul_f32_e32 v51, v88, v41
.LBB56_78:
	s_delay_alu instid0(VALU_DEP_1) | instskip(SKIP_1) | instid1(VALU_DEP_2)
	v_add_f32_e32 v3, v3, v51
	v_max_num_f32_e32 v27, v27, v27
	v_add_f32_e32 v41, 0x40051340, v3
	s_delay_alu instid0(VALU_DEP_1)
	v_max_num_f32_e32 v27, v27, v41
.LBB56_79:
	s_or_b32 exec_lo, exec_lo, s8
	s_and_saveexec_b32 s8, s7
	s_cbranch_execz .LBB56_84
; %bb.80:
	v_cmp_ne_u32_e32 vcc_lo, 1, v94
	s_cbranch_vccnz .LBB56_82
; %bb.81:
	v_dual_ashrrev_i32 v51, 31, v50 :: v_dual_mov_b32 v41, 0
	s_delay_alu instid0(VALU_DEP_1) | instskip(NEXT) | instid1(VALU_DEP_1)
	v_add_nc_u64_e32 v[50:51], v[50:51], v[40:41]
	v_lshl_add_u64 v[50:51], v[50:51], 1, s[36:37]
	global_load_u16 v41, v[50:51], off offset:64
	s_wait_loadcnt 0x0
	v_cvt_f32_f16_e32 v41, v41
	s_delay_alu instid0(VALU_DEP_1)
	v_mul_f32_e32 v41, v88, v41
	s_branch .LBB56_83
.LBB56_82:
	v_mov_b32_e32 v41, 0
.LBB56_83:
	s_delay_alu instid0(VALU_DEP_1) | instskip(SKIP_1) | instid1(VALU_DEP_2)
	v_add_f32_e32 v11, v11, v41
	v_max_num_f32_e32 v27, v27, v27
	v_add_f32_e32 v41, 0x40051340, v11
	s_delay_alu instid0(VALU_DEP_1)
	v_max_num_f32_e32 v27, v27, v41
.LBB56_84:
	s_or_b32 exec_lo, exec_lo, s8
	ds_bpermute_b32 v41, v95, v27
	v_dual_max_num_f32 v27, v27, v27 :: v_dual_mov_b32 v49, 0
	s_delay_alu instid0(VALU_DEP_1) | instskip(SKIP_2) | instid1(VALU_DEP_1)
	v_mul_u64_e32 v[50:51], s[28:29], v[48:49]
	s_wait_dscnt 0x0
	v_max_num_f32_e32 v41, v41, v41
	v_max_num_f32_e32 v27, v27, v41
	ds_bpermute_b32 v41, v96, v27
	s_wait_dscnt 0x0
	v_dual_add_nc_u32 v43, v48, v51 :: v_dual_max_num_f32 v41, v41, v41
	s_delay_alu instid0(VALU_DEP_1) | instskip(SKIP_3) | instid1(VALU_DEP_1)
	v_max_num_f32_e32 v27, v27, v41
	ds_bpermute_b32 v41, v97, v27
	s_wait_dscnt 0x0
	v_max_num_f32_e32 v41, v41, v41
	v_max_num_f32_e32 v27, v27, v41
	ds_bpermute_b32 v41, v98, v27
	s_wait_dscnt 0x0
	v_max_num_f32_e32 v41, v41, v41
	s_delay_alu instid0(VALU_DEP_1) | instskip(SKIP_2) | instid1(VALU_DEP_1)
	v_dual_max_num_f32 v27, v27, v41 :: v_dual_lshrrev_b32 v41, s21, v43
	ds_bpermute_b32 v43, v99, v27
	v_mul_lo_u32 v41, v41, s22
	v_sub_nc_u32_e32 v41, v48, v41
	s_delay_alu instid0(VALU_DEP_1) | instskip(SKIP_2) | instid1(VALU_DEP_1)
	v_mad_u32 v48, v41, s30, s14
	s_wait_dscnt 0x0
	v_max_num_f32_e32 v41, v43, v43
	v_max_num_f32_e32 v27, v27, v41
	s_and_saveexec_b32 s8, s6
	s_cbranch_execz .LBB56_88
; %bb.85:
	v_cmp_ne_u32_e32 vcc_lo, 1, v94
	s_cbranch_vccnz .LBB56_87
; %bb.86:
	s_delay_alu instid0(VALU_DEP_4) | instskip(SKIP_3) | instid1(VALU_DEP_1)
	v_add_nc_u32_e32 v41, v48, v40
	global_load_u16 v41, v41, s[36:37] scale_offset
	s_wait_loadcnt 0x0
	v_cvt_f32_f16_e32 v41, v41
	v_mul_f32_e32 v49, v88, v41
.LBB56_87:
	s_delay_alu instid0(VALU_DEP_1) | instskip(SKIP_1) | instid1(VALU_DEP_2)
	v_add_f32_e32 v4, v4, v49
	v_max_num_f32_e32 v28, v28, v28
	v_add_f32_e32 v41, 0x40051340, v4
	s_delay_alu instid0(VALU_DEP_1)
	v_max_num_f32_e32 v28, v28, v41
.LBB56_88:
	s_or_b32 exec_lo, exec_lo, s8
	s_and_saveexec_b32 s8, s7
	s_cbranch_execz .LBB56_93
; %bb.89:
	v_cmp_ne_u32_e32 vcc_lo, 1, v94
	s_cbranch_vccnz .LBB56_91
; %bb.90:
	v_dual_ashrrev_i32 v49, 31, v48 :: v_dual_mov_b32 v41, 0
	s_delay_alu instid0(VALU_DEP_1) | instskip(NEXT) | instid1(VALU_DEP_1)
	v_add_nc_u64_e32 v[48:49], v[48:49], v[40:41]
	v_lshl_add_u64 v[48:49], v[48:49], 1, s[36:37]
	global_load_u16 v41, v[48:49], off offset:64
	s_wait_loadcnt 0x0
	v_cvt_f32_f16_e32 v41, v41
	s_delay_alu instid0(VALU_DEP_1)
	v_mul_f32_e32 v41, v88, v41
	s_branch .LBB56_92
.LBB56_91:
	v_mov_b32_e32 v41, 0
.LBB56_92:
	s_delay_alu instid0(VALU_DEP_1) | instskip(SKIP_1) | instid1(VALU_DEP_2)
	v_add_f32_e32 v12, v12, v41
	v_max_num_f32_e32 v28, v28, v28
	v_add_f32_e32 v41, 0x40051340, v12
	s_delay_alu instid0(VALU_DEP_1)
	v_max_num_f32_e32 v28, v28, v41
.LBB56_93:
	s_or_b32 exec_lo, exec_lo, s8
	ds_bpermute_b32 v41, v95, v28
	v_dual_max_num_f32 v28, v28, v28 :: v_dual_mov_b32 v47, 0
	s_delay_alu instid0(VALU_DEP_1) | instskip(SKIP_2) | instid1(VALU_DEP_1)
	v_mul_u64_e32 v[48:49], s[28:29], v[46:47]
	s_wait_dscnt 0x0
	v_max_num_f32_e32 v41, v41, v41
	v_max_num_f32_e32 v28, v28, v41
	ds_bpermute_b32 v41, v96, v28
	v_add_nc_u32_e32 v43, v46, v49
	s_wait_dscnt 0x0
	v_max_num_f32_e32 v41, v41, v41
	s_delay_alu instid0(VALU_DEP_1) | instskip(SKIP_3) | instid1(VALU_DEP_1)
	v_max_num_f32_e32 v28, v28, v41
	ds_bpermute_b32 v41, v97, v28
	s_wait_dscnt 0x0
	v_max_num_f32_e32 v41, v41, v41
	v_max_num_f32_e32 v28, v28, v41
	ds_bpermute_b32 v41, v98, v28
	s_wait_dscnt 0x0
	v_max_num_f32_e32 v41, v41, v41
	s_delay_alu instid0(VALU_DEP_1) | instskip(SKIP_2) | instid1(VALU_DEP_1)
	v_dual_max_num_f32 v28, v28, v41 :: v_dual_lshrrev_b32 v41, s21, v43
	ds_bpermute_b32 v43, v99, v28
	v_mul_lo_u32 v41, v41, s22
	v_sub_nc_u32_e32 v41, v46, v41
	s_delay_alu instid0(VALU_DEP_1) | instskip(SKIP_2) | instid1(VALU_DEP_1)
	v_mad_u32 v46, v41, s30, s14
	s_wait_dscnt 0x0
	v_max_num_f32_e32 v41, v43, v43
	v_max_num_f32_e32 v28, v28, v41
	s_and_saveexec_b32 s8, s6
	s_cbranch_execz .LBB56_97
; %bb.94:
	v_cmp_ne_u32_e32 vcc_lo, 1, v94
	s_cbranch_vccnz .LBB56_96
; %bb.95:
	s_delay_alu instid0(VALU_DEP_4) | instskip(SKIP_3) | instid1(VALU_DEP_1)
	v_add_nc_u32_e32 v41, v46, v40
	global_load_u16 v41, v41, s[36:37] scale_offset
	s_wait_loadcnt 0x0
	v_cvt_f32_f16_e32 v41, v41
	v_mul_f32_e32 v47, v88, v41
.LBB56_96:
	s_delay_alu instid0(VALU_DEP_1) | instskip(SKIP_1) | instid1(VALU_DEP_2)
	v_add_f32_e32 v5, v5, v47
	v_max_num_f32_e32 v29, v29, v29
	v_add_f32_e32 v41, 0x40051340, v5
	s_delay_alu instid0(VALU_DEP_1)
	v_max_num_f32_e32 v29, v29, v41
.LBB56_97:
	s_or_b32 exec_lo, exec_lo, s8
	s_and_saveexec_b32 s8, s7
	s_cbranch_execz .LBB56_102
; %bb.98:
	v_cmp_ne_u32_e32 vcc_lo, 1, v94
	s_cbranch_vccnz .LBB56_100
; %bb.99:
	v_dual_ashrrev_i32 v47, 31, v46 :: v_dual_mov_b32 v41, 0
	s_delay_alu instid0(VALU_DEP_1) | instskip(NEXT) | instid1(VALU_DEP_1)
	v_add_nc_u64_e32 v[46:47], v[46:47], v[40:41]
	v_lshl_add_u64 v[46:47], v[46:47], 1, s[36:37]
	global_load_u16 v41, v[46:47], off offset:64
	s_wait_loadcnt 0x0
	v_cvt_f32_f16_e32 v41, v41
	s_delay_alu instid0(VALU_DEP_1)
	v_mul_f32_e32 v41, v88, v41
	s_branch .LBB56_101
.LBB56_100:
	v_mov_b32_e32 v41, 0
.LBB56_101:
	s_delay_alu instid0(VALU_DEP_1) | instskip(SKIP_1) | instid1(VALU_DEP_2)
	v_add_f32_e32 v13, v13, v41
	v_max_num_f32_e32 v29, v29, v29
	v_add_f32_e32 v41, 0x40051340, v13
	s_delay_alu instid0(VALU_DEP_1)
	v_max_num_f32_e32 v29, v29, v41
.LBB56_102:
	s_or_b32 exec_lo, exec_lo, s8
	ds_bpermute_b32 v41, v95, v29
	v_mov_b32_e32 v45, 0
	s_delay_alu instid0(VALU_DEP_1) | instskip(SKIP_2) | instid1(VALU_DEP_2)
	v_mul_u64_e32 v[46:47], s[28:29], v[44:45]
	v_max_num_f32_e32 v29, v29, v29
	s_wait_dscnt 0x0
	v_dual_max_num_f32 v41, v41, v41 :: v_dual_add_nc_u32 v43, v44, v47
	s_delay_alu instid0(VALU_DEP_1) | instskip(SKIP_3) | instid1(VALU_DEP_1)
	v_max_num_f32_e32 v29, v29, v41
	ds_bpermute_b32 v41, v96, v29
	s_wait_dscnt 0x0
	v_max_num_f32_e32 v41, v41, v41
	v_max_num_f32_e32 v29, v29, v41
	ds_bpermute_b32 v41, v97, v29
	s_wait_dscnt 0x0
	v_max_num_f32_e32 v41, v41, v41
	s_delay_alu instid0(VALU_DEP_1) | instskip(SKIP_3) | instid1(VALU_DEP_1)
	v_max_num_f32_e32 v29, v29, v41
	ds_bpermute_b32 v41, v98, v29
	s_wait_dscnt 0x0
	v_max_num_f32_e32 v41, v41, v41
	v_dual_max_num_f32 v29, v29, v41 :: v_dual_lshrrev_b32 v41, s21, v43
	ds_bpermute_b32 v43, v99, v29
	v_mul_lo_u32 v41, v41, s22
	s_delay_alu instid0(VALU_DEP_1) | instskip(NEXT) | instid1(VALU_DEP_1)
	v_sub_nc_u32_e32 v41, v44, v41
	v_mad_u32 v44, v41, s30, s14
	s_wait_dscnt 0x0
	v_max_num_f32_e32 v41, v43, v43
	s_delay_alu instid0(VALU_DEP_1)
	v_max_num_f32_e32 v29, v29, v41
	s_and_saveexec_b32 s8, s6
	s_cbranch_execz .LBB56_106
; %bb.103:
	v_cmp_ne_u32_e32 vcc_lo, 1, v94
	s_cbranch_vccnz .LBB56_105
; %bb.104:
	s_delay_alu instid0(VALU_DEP_4) | instskip(SKIP_3) | instid1(VALU_DEP_1)
	v_add_nc_u32_e32 v41, v44, v40
	global_load_u16 v41, v41, s[36:37] scale_offset
	s_wait_loadcnt 0x0
	v_cvt_f32_f16_e32 v41, v41
	v_mul_f32_e32 v45, v88, v41
.LBB56_105:
	s_delay_alu instid0(VALU_DEP_1) | instskip(SKIP_1) | instid1(VALU_DEP_2)
	v_add_f32_e32 v6, v6, v45
	v_max_num_f32_e32 v30, v30, v30
	v_add_f32_e32 v41, 0x40051340, v6
	s_delay_alu instid0(VALU_DEP_1)
	v_max_num_f32_e32 v30, v30, v41
.LBB56_106:
	s_or_b32 exec_lo, exec_lo, s8
	s_and_saveexec_b32 s8, s7
	s_cbranch_execz .LBB56_111
; %bb.107:
	v_cmp_ne_u32_e32 vcc_lo, 1, v94
	s_cbranch_vccnz .LBB56_109
; %bb.108:
	v_dual_ashrrev_i32 v45, 31, v44 :: v_dual_mov_b32 v41, 0
	s_delay_alu instid0(VALU_DEP_1) | instskip(NEXT) | instid1(VALU_DEP_1)
	v_add_nc_u64_e32 v[44:45], v[44:45], v[40:41]
	v_lshl_add_u64 v[44:45], v[44:45], 1, s[36:37]
	global_load_u16 v41, v[44:45], off offset:64
	s_wait_loadcnt 0x0
	v_cvt_f32_f16_e32 v41, v41
	s_delay_alu instid0(VALU_DEP_1)
	v_mul_f32_e32 v41, v88, v41
	s_branch .LBB56_110
.LBB56_109:
	v_mov_b32_e32 v41, 0
.LBB56_110:
	s_delay_alu instid0(VALU_DEP_1) | instskip(SKIP_1) | instid1(VALU_DEP_2)
	v_add_f32_e32 v14, v14, v41
	v_max_num_f32_e32 v30, v30, v30
	v_add_f32_e32 v41, 0x40051340, v14
	s_delay_alu instid0(VALU_DEP_1)
	v_max_num_f32_e32 v30, v30, v41
.LBB56_111:
	s_or_b32 exec_lo, exec_lo, s8
	ds_bpermute_b32 v41, v95, v30
	v_dual_max_num_f32 v30, v30, v30 :: v_dual_mov_b32 v43, 0
	s_delay_alu instid0(VALU_DEP_1) | instskip(SKIP_2) | instid1(VALU_DEP_1)
	v_mul_u64_e32 v[44:45], s[28:29], v[42:43]
	s_wait_dscnt 0x0
	v_max_num_f32_e32 v41, v41, v41
	v_max_num_f32_e32 v30, v30, v41
	ds_bpermute_b32 v41, v96, v30
	v_add_nc_u32_e32 v44, v42, v45
	s_wait_dscnt 0x0
	v_max_num_f32_e32 v41, v41, v41
	s_delay_alu instid0(VALU_DEP_1) | instskip(SKIP_3) | instid1(VALU_DEP_1)
	v_max_num_f32_e32 v30, v30, v41
	ds_bpermute_b32 v41, v97, v30
	s_wait_dscnt 0x0
	v_max_num_f32_e32 v41, v41, v41
	v_max_num_f32_e32 v30, v30, v41
	ds_bpermute_b32 v41, v98, v30
	s_wait_dscnt 0x0
	v_max_num_f32_e32 v41, v41, v41
	s_delay_alu instid0(VALU_DEP_1) | instskip(SKIP_2) | instid1(VALU_DEP_1)
	v_dual_max_num_f32 v30, v30, v41 :: v_dual_lshrrev_b32 v41, s21, v44
	ds_bpermute_b32 v44, v99, v30
	v_mul_lo_u32 v41, v41, s22
	v_sub_nc_u32_e32 v41, v42, v41
	s_delay_alu instid0(VALU_DEP_1) | instskip(SKIP_2) | instid1(VALU_DEP_1)
	v_mad_u32 v42, v41, s30, s14
	s_wait_dscnt 0x0
	v_max_num_f32_e32 v41, v44, v44
	v_max_num_f32_e32 v30, v30, v41
	s_and_saveexec_b32 s8, s6
	s_cbranch_execz .LBB56_115
; %bb.112:
	v_cmp_ne_u32_e32 vcc_lo, 1, v94
	s_cbranch_vccnz .LBB56_114
; %bb.113:
	s_delay_alu instid0(VALU_DEP_4) | instskip(SKIP_3) | instid1(VALU_DEP_1)
	v_add_nc_u32_e32 v41, v42, v40
	global_load_u16 v41, v41, s[36:37] scale_offset
	s_wait_loadcnt 0x0
	v_cvt_f32_f16_e32 v41, v41
	v_mul_f32_e32 v43, v88, v41
.LBB56_114:
	s_delay_alu instid0(VALU_DEP_1) | instskip(SKIP_1) | instid1(VALU_DEP_2)
	v_add_f32_e32 v7, v7, v43
	v_max_num_f32_e32 v31, v31, v31
	v_add_f32_e32 v41, 0x40051340, v7
	s_delay_alu instid0(VALU_DEP_1)
	v_max_num_f32_e32 v31, v31, v41
.LBB56_115:
	s_or_b32 exec_lo, exec_lo, s8
	s_and_saveexec_b32 s6, s7
	s_cbranch_execz .LBB56_120
; %bb.116:
	v_cmp_ne_u32_e32 vcc_lo, 1, v94
	s_cbranch_vccnz .LBB56_118
; %bb.117:
	v_dual_ashrrev_i32 v43, 31, v42 :: v_dual_mov_b32 v41, 0
	s_delay_alu instid0(VALU_DEP_1) | instskip(NEXT) | instid1(VALU_DEP_1)
	v_add_nc_u64_e32 v[42:43], v[42:43], v[40:41]
	v_lshl_add_u64 v[42:43], v[42:43], 1, s[36:37]
	global_load_u16 v41, v[42:43], off offset:64
	s_wait_loadcnt 0x0
	v_cvt_f32_f16_e32 v41, v41
	s_delay_alu instid0(VALU_DEP_1)
	v_mul_f32_e32 v41, v88, v41
	s_branch .LBB56_119
.LBB56_118:
	v_mov_b32_e32 v41, 0
.LBB56_119:
	s_delay_alu instid0(VALU_DEP_1) | instskip(SKIP_1) | instid1(VALU_DEP_2)
	v_add_f32_e32 v15, v15, v41
	v_max_num_f32_e32 v31, v31, v31
	v_add_f32_e32 v41, 0x40051340, v15
	s_delay_alu instid0(VALU_DEP_1)
	v_max_num_f32_e32 v31, v31, v41
.LBB56_120:
	s_or_b32 exec_lo, exec_lo, s6
	ds_bpermute_b32 v41, v95, v31
	v_cmp_gt_u32_e64 s6, s9, v40
	s_wait_dscnt 0x0
	s_barrier_signal -1
	s_barrier_wait -1
	s_ashr_i32 s11, s10, 31
	s_mov_b32 s8, 0
	v_lshl_or_b32 v46, v67, 7, v56
	v_dual_max_num_f32 v31, v31, v31 :: v_dual_sub_f32 v1, v1, v25
	v_dual_sub_f32 v2, v2, v26 :: v_dual_sub_f32 v3, v3, v27
	v_dual_sub_f32 v5, v5, v29 :: v_dual_sub_f32 v6, v6, v30
	v_max_num_f32_e32 v41, v41, v41
	s_delay_alu instid0(VALU_DEP_1) | instskip(SKIP_3) | instid1(VALU_DEP_1)
	v_max_num_f32_e32 v31, v31, v41
	ds_bpermute_b32 v41, v96, v31
	s_wait_dscnt 0x0
	v_max_num_f32_e32 v41, v41, v41
	v_max_num_f32_e32 v31, v31, v41
	ds_bpermute_b32 v41, v97, v31
	s_wait_dscnt 0x0
	v_max_num_f32_e32 v41, v41, v41
	s_delay_alu instid0(VALU_DEP_1) | instskip(SKIP_3) | instid1(VALU_DEP_1)
	v_max_num_f32_e32 v31, v31, v41
	ds_bpermute_b32 v41, v98, v31
	s_wait_dscnt 0x0
	v_max_num_f32_e32 v41, v41, v41
	v_max_num_f32_e32 v31, v31, v41
	ds_bpermute_b32 v41, v99, v31
	s_wait_dscnt 0x0
	v_max_num_f32_e32 v41, v41, v41
	s_delay_alu instid0(VALU_DEP_1) | instskip(NEXT) | instid1(VALU_DEP_1)
	v_dual_max_num_f32 v31, v31, v41 :: v_dual_sub_f32 v41, v32, v24
	v_dual_sub_f32 v0, v0, v24 :: v_dual_sub_f32 v7, v7, v31
	s_delay_alu instid0(VALU_DEP_1) | instskip(SKIP_1) | instid1(VALU_DEP_2)
	v_mul_f32_e32 v32, 0x3fb8aa3b, v0
	v_cmp_ngt_f32_e32 vcc_lo, 0xc2ce8ed0, v0
	v_fma_f32 v42, 0x3fb8aa3b, v0, -v32
	v_rndne_f32_e32 v43, v32
	s_delay_alu instid0(VALU_DEP_2) | instskip(NEXT) | instid1(VALU_DEP_2)
	v_fmac_f32_e32 v42, 0x32a5705f, v0
	v_sub_f32_e32 v32, v32, v43
	s_delay_alu instid0(VALU_DEP_1) | instskip(SKIP_1) | instid1(VALU_DEP_2)
	v_add_f32_e32 v32, v32, v42
	v_cvt_i32_f32_e32 v42, v43
	v_exp_f32_e32 v32, v32
	v_nop
	s_delay_alu instid0(TRANS32_DEP_1) | instskip(NEXT) | instid1(VALU_DEP_1)
	v_ldexp_f32 v32, v32, v42
	v_cndmask_b32_e32 v32, 0, v32, vcc_lo
	v_cmp_nlt_f32_e32 vcc_lo, 0x42b17218, v0
	s_delay_alu instid0(VALU_DEP_2) | instskip(SKIP_2) | instid1(VALU_DEP_2)
	v_cndmask_b32_e32 v0, 0x7f800000, v32, vcc_lo
	v_cmp_gt_u32_e32 vcc_lo, s9, v57
	s_lshl_b32 s9, s10, 4
	v_cndmask_b32_e64 v32, 0, v0, s6
	v_sub_f32_e32 v0, v8, v24
	s_delay_alu instid0(VALU_DEP_1) | instskip(NEXT) | instid1(VALU_DEP_1)
	v_mul_f32_e32 v8, 0x3fb8aa3b, v0
	v_fma_f32 v42, 0x3fb8aa3b, v0, -v8
	v_rndne_f32_e32 v43, v8
	s_delay_alu instid0(VALU_DEP_2) | instskip(NEXT) | instid1(VALU_DEP_2)
	v_fmac_f32_e32 v42, 0x32a5705f, v0
	v_sub_f32_e32 v8, v8, v43
	s_delay_alu instid0(VALU_DEP_1) | instskip(SKIP_1) | instid1(VALU_DEP_2)
	v_add_f32_e32 v8, v8, v42
	v_cvt_i32_f32_e32 v42, v43
	v_exp_f32_e32 v8, v8
	v_nop
	s_delay_alu instid0(TRANS32_DEP_1) | instskip(SKIP_1) | instid1(VALU_DEP_1)
	v_ldexp_f32 v8, v8, v42
	v_mul_f32_e32 v42, 0x3fb8aa3b, v41
	v_fma_f32 v43, 0x3fb8aa3b, v41, -v42
	v_rndne_f32_e32 v44, v42
	s_delay_alu instid0(VALU_DEP_1) | instskip(NEXT) | instid1(VALU_DEP_1)
	v_dual_fmac_f32 v43, 0x32a5705f, v41 :: v_dual_sub_f32 v42, v42, v44
	v_add_f32_e32 v42, v42, v43
	v_cmp_ngt_f32_e64 s7, 0xc2ce8ed0, v0
	v_cvt_i32_f32_e32 v43, v44
	s_delay_alu instid0(VALU_DEP_3) | instskip(NEXT) | instid1(VALU_DEP_2)
	v_exp_f32_e32 v42, v42
	v_cndmask_b32_e64 v8, 0, v8, s7
	v_cmp_nlt_f32_e64 s7, 0x42b17218, v0
	s_delay_alu instid0(VALU_DEP_1) | instskip(NEXT) | instid1(TRANS32_DEP_1)
	v_cndmask_b32_e64 v0, 0x7f800000, v8, s7
	v_ldexp_f32 v42, v42, v43
	v_cmp_ngt_f32_e64 s7, 0xc2ce8ed0, v41
	s_delay_alu instid0(VALU_DEP_1) | instskip(SKIP_1) | instid1(VALU_DEP_2)
	v_dual_cndmask_b32 v8, 0, v0, vcc_lo :: v_dual_cndmask_b32 v42, 0, v42, s7
	v_cmp_nlt_f32_e64 s7, 0x42b17218, v41
	v_add_f32_e32 v0, v32, v8
	s_delay_alu instid0(VALU_DEP_2) | instskip(SKIP_1) | instid1(VALU_DEP_2)
	v_cndmask_b32_e64 v41, 0x7f800000, v42, s7
	v_cmp_ngt_f32_e64 s7, 0xc2ce8ed0, v1
	v_fmac_f32_e32 v0, v16, v41
	v_cvt_f16_f32_e32 v16, v41
	v_sub_f32_e32 v41, v33, v25
	v_mul_f32_e32 v33, 0x3fb8aa3b, v1
	s_delay_alu instid0(VALU_DEP_3) | instskip(NEXT) | instid1(VALU_DEP_2)
	v_and_b32_e32 v16, 0xffff, v16
	v_fma_f32 v42, 0x3fb8aa3b, v1, -v33
	v_rndne_f32_e32 v43, v33
	s_delay_alu instid0(VALU_DEP_3) | instskip(NEXT) | instid1(VALU_DEP_2)
	v_mul_u32_u24_e32 v16, 0x10001, v16
	v_dual_fmac_f32 v42, 0x32a5705f, v1 :: v_dual_sub_f32 v33, v33, v43
	s_delay_alu instid0(VALU_DEP_2) | instskip(NEXT) | instid1(VALU_DEP_2)
	v_pk_mul_f16 v16, v109, v16
	v_add_f32_e32 v33, v33, v42
	v_cvt_i32_f32_e32 v42, v43
	s_delay_alu instid0(VALU_DEP_2) | instskip(SKIP_1) | instid1(TRANS32_DEP_1)
	v_exp_f32_e32 v33, v33
	v_nop
	v_ldexp_f32 v33, v33, v42
	s_delay_alu instid0(VALU_DEP_1) | instskip(SKIP_1) | instid1(VALU_DEP_1)
	v_cndmask_b32_e64 v33, 0, v33, s7
	v_cmp_nlt_f32_e64 s7, 0x42b17218, v1
	v_cndmask_b32_e64 v1, 0x7f800000, v33, s7
	s_delay_alu instid0(VALU_DEP_1) | instskip(SKIP_1) | instid1(VALU_DEP_1)
	v_cndmask_b32_e64 v33, 0, v1, s6
	v_sub_f32_e32 v1, v9, v25
	v_mul_f32_e32 v9, 0x3fb8aa3b, v1
	v_cmp_ngt_f32_e64 s7, 0xc2ce8ed0, v1
	s_delay_alu instid0(VALU_DEP_2) | instskip(SKIP_1) | instid1(VALU_DEP_1)
	v_fma_f32 v42, 0x3fb8aa3b, v1, -v9
	v_rndne_f32_e32 v43, v9
	v_dual_fmac_f32 v42, 0x32a5705f, v1 :: v_dual_sub_f32 v9, v9, v43
	s_delay_alu instid0(VALU_DEP_1) | instskip(SKIP_1) | instid1(VALU_DEP_2)
	v_add_f32_e32 v9, v9, v42
	v_cvt_i32_f32_e32 v42, v43
	v_exp_f32_e32 v9, v9
	v_nop
	s_delay_alu instid0(TRANS32_DEP_1) | instskip(SKIP_1) | instid1(VALU_DEP_1)
	v_ldexp_f32 v9, v9, v42
	v_mul_f32_e32 v42, 0x3fb8aa3b, v41
	v_fma_f32 v43, 0x3fb8aa3b, v41, -v42
	v_rndne_f32_e32 v44, v42
	s_delay_alu instid0(VALU_DEP_1) | instskip(NEXT) | instid1(VALU_DEP_1)
	v_dual_fmac_f32 v43, 0x32a5705f, v41 :: v_dual_sub_f32 v42, v42, v44
	v_add_f32_e32 v42, v42, v43
	v_cvt_i32_f32_e32 v43, v44
	s_delay_alu instid0(VALU_DEP_2) | instskip(SKIP_1) | instid1(TRANS32_DEP_1)
	v_exp_f32_e32 v42, v42
	v_nop
	v_ldexp_f32 v42, v42, v43
	v_cndmask_b32_e64 v9, 0, v9, s7
	v_cmp_nlt_f32_e64 s7, 0x42b17218, v1
	s_delay_alu instid0(VALU_DEP_1) | instskip(SKIP_1) | instid1(VALU_DEP_1)
	v_cndmask_b32_e64 v1, 0x7f800000, v9, s7
	v_cmp_ngt_f32_e64 s7, 0xc2ce8ed0, v41
	v_dual_cndmask_b32 v9, 0, v1, vcc_lo :: v_dual_cndmask_b32 v42, 0, v42, s7
	v_cmp_nlt_f32_e64 s7, 0x42b17218, v41
	s_delay_alu instid0(VALU_DEP_2) | instskip(NEXT) | instid1(VALU_DEP_2)
	v_add_f32_e32 v1, v33, v9
	v_cndmask_b32_e64 v41, 0x7f800000, v42, s7
	v_cmp_ngt_f32_e64 s7, 0xc2ce8ed0, v2
	s_delay_alu instid0(VALU_DEP_2) | instskip(SKIP_3) | instid1(VALU_DEP_3)
	v_fmac_f32_e32 v1, v17, v41
	v_cvt_f16_f32_e32 v17, v41
	v_sub_f32_e32 v41, v34, v26
	v_mul_f32_e32 v34, 0x3fb8aa3b, v2
	v_and_b32_e32 v17, 0xffff, v17
	s_delay_alu instid0(VALU_DEP_2) | instskip(SKIP_1) | instid1(VALU_DEP_3)
	v_fma_f32 v42, 0x3fb8aa3b, v2, -v34
	v_rndne_f32_e32 v43, v34
	v_mul_u32_u24_e32 v17, 0x10001, v17
	s_delay_alu instid0(VALU_DEP_3) | instskip(NEXT) | instid1(VALU_DEP_3)
	v_fmac_f32_e32 v42, 0x32a5705f, v2
	v_sub_f32_e32 v34, v34, v43
	s_delay_alu instid0(VALU_DEP_3) | instskip(NEXT) | instid1(VALU_DEP_2)
	v_pk_mul_f16 v17, v108, v17
	v_add_f32_e32 v34, v34, v42
	v_cvt_i32_f32_e32 v42, v43
	s_delay_alu instid0(VALU_DEP_2) | instskip(SKIP_1) | instid1(TRANS32_DEP_1)
	v_exp_f32_e32 v34, v34
	v_nop
	v_ldexp_f32 v34, v34, v42
	s_delay_alu instid0(VALU_DEP_1) | instskip(SKIP_1) | instid1(VALU_DEP_1)
	v_cndmask_b32_e64 v34, 0, v34, s7
	v_cmp_nlt_f32_e64 s7, 0x42b17218, v2
	v_cndmask_b32_e64 v2, 0x7f800000, v34, s7
	s_delay_alu instid0(VALU_DEP_1) | instskip(SKIP_1) | instid1(VALU_DEP_1)
	v_cndmask_b32_e64 v34, 0, v2, s6
	v_sub_f32_e32 v2, v10, v26
	v_mul_f32_e32 v10, 0x3fb8aa3b, v2
	v_cmp_ngt_f32_e64 s7, 0xc2ce8ed0, v2
	s_delay_alu instid0(VALU_DEP_2) | instskip(SKIP_1) | instid1(VALU_DEP_2)
	v_fma_f32 v42, 0x3fb8aa3b, v2, -v10
	v_rndne_f32_e32 v43, v10
	v_fmac_f32_e32 v42, 0x32a5705f, v2
	s_delay_alu instid0(VALU_DEP_2) | instskip(NEXT) | instid1(VALU_DEP_1)
	v_sub_f32_e32 v10, v10, v43
	v_add_f32_e32 v10, v10, v42
	v_cvt_i32_f32_e32 v42, v43
	s_delay_alu instid0(VALU_DEP_2) | instskip(SKIP_1) | instid1(TRANS32_DEP_1)
	v_exp_f32_e32 v10, v10
	v_nop
	v_ldexp_f32 v10, v10, v42
	v_mul_f32_e32 v42, 0x3fb8aa3b, v41
	s_delay_alu instid0(VALU_DEP_2) | instskip(NEXT) | instid1(VALU_DEP_2)
	v_cndmask_b32_e64 v10, 0, v10, s7
	v_fma_f32 v43, 0x3fb8aa3b, v41, -v42
	v_rndne_f32_e32 v44, v42
	v_cmp_nlt_f32_e64 s7, 0x42b17218, v2
	s_delay_alu instid0(VALU_DEP_2) | instskip(NEXT) | instid1(VALU_DEP_2)
	v_dual_fmac_f32 v43, 0x32a5705f, v41 :: v_dual_sub_f32 v42, v42, v44
	v_cndmask_b32_e64 v2, 0x7f800000, v10, s7
	v_cmp_ngt_f32_e64 s7, 0xc2ce8ed0, v41
	s_delay_alu instid0(VALU_DEP_3) | instskip(SKIP_1) | instid1(VALU_DEP_4)
	v_add_f32_e32 v42, v42, v43
	v_cvt_i32_f32_e32 v43, v44
	v_cndmask_b32_e32 v10, 0, v2, vcc_lo
	s_delay_alu instid0(VALU_DEP_3) | instskip(SKIP_1) | instid1(TRANS32_DEP_1)
	v_exp_f32_e32 v42, v42
	v_nop
	v_ldexp_f32 v42, v42, v43
	s_delay_alu instid0(VALU_DEP_1) | instskip(SKIP_1) | instid1(VALU_DEP_1)
	v_cndmask_b32_e64 v42, 0, v42, s7
	v_cmp_nlt_f32_e64 s7, 0x42b17218, v41
	v_cndmask_b32_e64 v41, 0x7f800000, v42, s7
	v_cmp_ngt_f32_e64 s7, 0xc2ce8ed0, v3
	v_add_f32_e32 v2, v34, v10
	s_delay_alu instid0(VALU_DEP_1) | instskip(SKIP_3) | instid1(VALU_DEP_3)
	v_fmac_f32_e32 v2, v18, v41
	v_cvt_f16_f32_e32 v18, v41
	v_sub_f32_e32 v41, v35, v27
	v_mul_f32_e32 v35, 0x3fb8aa3b, v3
	v_and_b32_e32 v18, 0xffff, v18
	s_delay_alu instid0(VALU_DEP_2) | instskip(SKIP_1) | instid1(VALU_DEP_3)
	v_fma_f32 v42, 0x3fb8aa3b, v3, -v35
	v_rndne_f32_e32 v43, v35
	v_mul_u32_u24_e32 v18, 0x10001, v18
	s_delay_alu instid0(VALU_DEP_3) | instskip(NEXT) | instid1(VALU_DEP_3)
	v_fmac_f32_e32 v42, 0x32a5705f, v3
	v_sub_f32_e32 v35, v35, v43
	s_delay_alu instid0(VALU_DEP_3) | instskip(NEXT) | instid1(VALU_DEP_2)
	v_pk_mul_f16 v18, v107, v18
	v_add_f32_e32 v35, v35, v42
	v_cvt_i32_f32_e32 v42, v43
	s_delay_alu instid0(VALU_DEP_2) | instskip(SKIP_1) | instid1(TRANS32_DEP_1)
	v_exp_f32_e32 v35, v35
	v_nop
	v_ldexp_f32 v35, v35, v42
	s_delay_alu instid0(VALU_DEP_1) | instskip(SKIP_1) | instid1(VALU_DEP_1)
	v_cndmask_b32_e64 v35, 0, v35, s7
	v_cmp_nlt_f32_e64 s7, 0x42b17218, v3
	v_cndmask_b32_e64 v3, 0x7f800000, v35, s7
	s_delay_alu instid0(VALU_DEP_1) | instskip(SKIP_1) | instid1(VALU_DEP_1)
	v_cndmask_b32_e64 v35, 0, v3, s6
	v_sub_f32_e32 v3, v11, v27
	v_mul_f32_e32 v11, 0x3fb8aa3b, v3
	v_cmp_ngt_f32_e64 s7, 0xc2ce8ed0, v3
	s_delay_alu instid0(VALU_DEP_2) | instskip(SKIP_1) | instid1(VALU_DEP_2)
	v_fma_f32 v42, 0x3fb8aa3b, v3, -v11
	v_rndne_f32_e32 v43, v11
	v_fmac_f32_e32 v42, 0x32a5705f, v3
	s_delay_alu instid0(VALU_DEP_2) | instskip(NEXT) | instid1(VALU_DEP_1)
	v_sub_f32_e32 v11, v11, v43
	v_add_f32_e32 v11, v11, v42
	v_cvt_i32_f32_e32 v42, v43
	s_delay_alu instid0(VALU_DEP_2) | instskip(SKIP_1) | instid1(TRANS32_DEP_1)
	v_exp_f32_e32 v11, v11
	v_nop
	v_ldexp_f32 v11, v11, v42
	v_mul_f32_e32 v42, 0x3fb8aa3b, v41
	s_delay_alu instid0(VALU_DEP_1) | instskip(SKIP_1) | instid1(VALU_DEP_4)
	v_fma_f32 v43, 0x3fb8aa3b, v41, -v42
	v_rndne_f32_e32 v44, v42
	v_cndmask_b32_e64 v11, 0, v11, s7
	v_cmp_nlt_f32_e64 s7, 0x42b17218, v3
	s_delay_alu instid0(VALU_DEP_3) | instskip(NEXT) | instid1(VALU_DEP_2)
	v_dual_fmac_f32 v43, 0x32a5705f, v41 :: v_dual_sub_f32 v42, v42, v44
	v_cndmask_b32_e64 v3, 0x7f800000, v11, s7
	v_cmp_ngt_f32_e64 s7, 0xc2ce8ed0, v41
	s_delay_alu instid0(VALU_DEP_3) | instskip(SKIP_1) | instid1(VALU_DEP_4)
	v_add_f32_e32 v42, v42, v43
	v_cvt_i32_f32_e32 v43, v44
	v_cndmask_b32_e32 v11, 0, v3, vcc_lo
	s_delay_alu instid0(VALU_DEP_3) | instskip(SKIP_1) | instid1(TRANS32_DEP_1)
	v_exp_f32_e32 v42, v42
	v_nop
	v_ldexp_f32 v42, v42, v43
	s_delay_alu instid0(VALU_DEP_1) | instskip(SKIP_1) | instid1(VALU_DEP_1)
	v_dual_add_f32 v3, v35, v11 :: v_dual_cndmask_b32 v42, 0, v42, s7
	v_cmp_nlt_f32_e64 s7, 0x42b17218, v41
	v_cndmask_b32_e64 v41, 0x7f800000, v42, s7
	v_sub_f32_e32 v42, v36, v28
	s_delay_alu instid0(VALU_DEP_2) | instskip(SKIP_1) | instid1(VALU_DEP_2)
	v_dual_sub_f32 v4, v4, v28 :: v_dual_fmac_f32 v3, v19, v41
	v_cvt_f16_f32_e32 v19, v41
	v_mul_f32_e32 v36, 0x3fb8aa3b, v4
	v_cmp_ngt_f32_e64 s7, 0xc2ce8ed0, v4
	s_delay_alu instid0(VALU_DEP_3) | instskip(NEXT) | instid1(VALU_DEP_3)
	v_and_b32_e32 v19, 0xffff, v19
	v_fma_f32 v41, 0x3fb8aa3b, v4, -v36
	v_rndne_f32_e32 v43, v36
	s_delay_alu instid0(VALU_DEP_3) | instskip(NEXT) | instid1(VALU_DEP_2)
	v_mul_u32_u24_e32 v19, 0x10001, v19
	v_dual_fmac_f32 v41, 0x32a5705f, v4 :: v_dual_sub_f32 v36, v36, v43
	s_delay_alu instid0(VALU_DEP_2) | instskip(NEXT) | instid1(VALU_DEP_2)
	v_pk_mul_f16 v19, v106, v19
	v_add_f32_e32 v36, v36, v41
	v_cvt_i32_f32_e32 v41, v43
	s_delay_alu instid0(VALU_DEP_2) | instskip(SKIP_1) | instid1(TRANS32_DEP_1)
	v_exp_f32_e32 v36, v36
	v_nop
	v_ldexp_f32 v36, v36, v41
	s_delay_alu instid0(VALU_DEP_1) | instskip(SKIP_1) | instid1(VALU_DEP_1)
	v_cndmask_b32_e64 v36, 0, v36, s7
	v_cmp_nlt_f32_e64 s7, 0x42b17218, v4
	v_cndmask_b32_e64 v4, 0x7f800000, v36, s7
	s_delay_alu instid0(VALU_DEP_1) | instskip(SKIP_1) | instid1(VALU_DEP_1)
	v_cndmask_b32_e64 v36, 0, v4, s6
	v_sub_f32_e32 v4, v12, v28
	v_mul_f32_e32 v12, 0x3fb8aa3b, v4
	v_cmp_ngt_f32_e64 s7, 0xc2ce8ed0, v4
	s_delay_alu instid0(VALU_DEP_2) | instskip(SKIP_1) | instid1(VALU_DEP_1)
	v_fma_f32 v41, 0x3fb8aa3b, v4, -v12
	v_rndne_f32_e32 v43, v12
	v_dual_fmac_f32 v41, 0x32a5705f, v4 :: v_dual_sub_f32 v12, v12, v43
	s_delay_alu instid0(VALU_DEP_1) | instskip(SKIP_1) | instid1(VALU_DEP_2)
	v_add_f32_e32 v12, v12, v41
	v_cvt_i32_f32_e32 v41, v43
	v_exp_f32_e32 v12, v12
	v_nop
	s_delay_alu instid0(TRANS32_DEP_1) | instskip(NEXT) | instid1(VALU_DEP_1)
	v_ldexp_f32 v12, v12, v41
	v_cndmask_b32_e64 v12, 0, v12, s7
	v_cmp_nlt_f32_e64 s7, 0x42b17218, v4
	s_delay_alu instid0(VALU_DEP_1) | instskip(SKIP_2) | instid1(VALU_DEP_3)
	v_cndmask_b32_e64 v4, 0x7f800000, v12, s7
	v_mul_f32_e32 v12, 0x3fb8aa3b, v42
	v_cmp_ngt_f32_e64 s7, 0xc2ce8ed0, v42
	v_cndmask_b32_e32 v41, 0, v4, vcc_lo
	s_delay_alu instid0(VALU_DEP_3) | instskip(SKIP_1) | instid1(VALU_DEP_1)
	v_fma_f32 v43, 0x3fb8aa3b, v42, -v12
	v_rndne_f32_e32 v44, v12
	v_dual_fmac_f32 v43, 0x32a5705f, v42 :: v_dual_sub_f32 v12, v12, v44
	s_delay_alu instid0(VALU_DEP_1) | instskip(SKIP_2) | instid1(VALU_DEP_3)
	v_add_f32_e32 v12, v12, v43
	v_cvt_i32_f32_e32 v43, v44
	v_add_f32_e32 v4, v36, v41
	v_exp_f32_e32 v12, v12
	v_nop
	s_delay_alu instid0(TRANS32_DEP_1) | instskip(NEXT) | instid1(VALU_DEP_1)
	v_ldexp_f32 v12, v12, v43
	v_cndmask_b32_e64 v12, 0, v12, s7
	v_cmp_nlt_f32_e64 s7, 0x42b17218, v42
	v_sub_f32_e32 v42, v37, v29
	s_delay_alu instid0(VALU_DEP_2) | instskip(SKIP_1) | instid1(VALU_DEP_2)
	v_cndmask_b32_e64 v12, 0x7f800000, v12, s7
	v_cmp_ngt_f32_e64 s7, 0xc2ce8ed0, v5
	v_fmac_f32_e32 v4, v20, v12
	v_mul_f32_e32 v20, 0x3fb8aa3b, v5
	v_cvt_f16_f32_e32 v12, v12
	s_delay_alu instid0(VALU_DEP_2) | instskip(SKIP_1) | instid1(VALU_DEP_3)
	v_fma_f32 v37, 0x3fb8aa3b, v5, -v20
	v_rndne_f32_e32 v43, v20
	v_and_b32_e32 v12, 0xffff, v12
	s_delay_alu instid0(VALU_DEP_2) | instskip(NEXT) | instid1(VALU_DEP_2)
	v_dual_fmac_f32 v37, 0x32a5705f, v5 :: v_dual_sub_f32 v20, v20, v43
	v_mul_u32_u24_e32 v12, 0x10001, v12
	s_delay_alu instid0(VALU_DEP_2) | instskip(SKIP_1) | instid1(VALU_DEP_3)
	v_add_f32_e32 v20, v20, v37
	v_cvt_i32_f32_e32 v37, v43
	v_pk_mul_f16 v12, v93, v12
	s_delay_alu instid0(VALU_DEP_3) | instskip(SKIP_1) | instid1(TRANS32_DEP_1)
	v_exp_f32_e32 v20, v20
	v_nop
	v_ldexp_f32 v20, v20, v37
	s_delay_alu instid0(VALU_DEP_1) | instskip(SKIP_1) | instid1(VALU_DEP_1)
	v_cndmask_b32_e64 v20, 0, v20, s7
	v_cmp_nlt_f32_e64 s7, 0x42b17218, v5
	v_cndmask_b32_e64 v5, 0x7f800000, v20, s7
	s_delay_alu instid0(VALU_DEP_1) | instskip(SKIP_1) | instid1(VALU_DEP_1)
	v_cndmask_b32_e64 v20, 0, v5, s6
	v_sub_f32_e32 v5, v13, v29
	v_mul_f32_e32 v13, 0x3fb8aa3b, v5
	v_cmp_ngt_f32_e64 s7, 0xc2ce8ed0, v5
	s_delay_alu instid0(VALU_DEP_2) | instskip(SKIP_1) | instid1(VALU_DEP_2)
	v_fma_f32 v37, 0x3fb8aa3b, v5, -v13
	v_rndne_f32_e32 v43, v13
	v_fmac_f32_e32 v37, 0x32a5705f, v5
	s_delay_alu instid0(VALU_DEP_2) | instskip(NEXT) | instid1(VALU_DEP_1)
	v_sub_f32_e32 v13, v13, v43
	v_add_f32_e32 v13, v13, v37
	v_cvt_i32_f32_e32 v37, v43
	s_delay_alu instid0(VALU_DEP_2) | instskip(SKIP_1) | instid1(TRANS32_DEP_1)
	v_exp_f32_e32 v13, v13
	v_nop
	v_ldexp_f32 v13, v13, v37
	s_delay_alu instid0(VALU_DEP_1) | instskip(SKIP_1) | instid1(VALU_DEP_1)
	v_cndmask_b32_e64 v13, 0, v13, s7
	v_cmp_nlt_f32_e64 s7, 0x42b17218, v5
	v_cndmask_b32_e64 v5, 0x7f800000, v13, s7
	v_mul_f32_e32 v13, 0x3fb8aa3b, v42
	v_cmp_ngt_f32_e64 s7, 0xc2ce8ed0, v42
	s_delay_alu instid0(VALU_DEP_3) | instskip(NEXT) | instid1(VALU_DEP_3)
	v_cndmask_b32_e32 v37, 0, v5, vcc_lo
	v_fma_f32 v43, 0x3fb8aa3b, v42, -v13
	v_rndne_f32_e32 v44, v13
	s_delay_alu instid0(VALU_DEP_3) | instskip(NEXT) | instid1(VALU_DEP_3)
	v_add_f32_e32 v5, v20, v37
	v_fmac_f32_e32 v43, 0x32a5705f, v42
	s_delay_alu instid0(VALU_DEP_3) | instskip(NEXT) | instid1(VALU_DEP_1)
	v_sub_f32_e32 v13, v13, v44
	v_add_f32_e32 v13, v13, v43
	v_cvt_i32_f32_e32 v43, v44
	s_delay_alu instid0(VALU_DEP_2) | instskip(SKIP_1) | instid1(TRANS32_DEP_1)
	v_exp_f32_e32 v13, v13
	v_nop
	v_ldexp_f32 v13, v13, v43
	s_delay_alu instid0(VALU_DEP_1) | instskip(SKIP_1) | instid1(VALU_DEP_1)
	v_cndmask_b32_e64 v13, 0, v13, s7
	v_cmp_nlt_f32_e64 s7, 0x42b17218, v42
	v_cndmask_b32_e64 v13, 0x7f800000, v13, s7
	v_cmp_ngt_f32_e64 s7, 0xc2ce8ed0, v6
	s_delay_alu instid0(VALU_DEP_2) | instskip(SKIP_2) | instid1(VALU_DEP_2)
	v_dual_fmac_f32 v5, v21, v13 :: v_dual_sub_f32 v21, v38, v30
	v_mul_f32_e32 v38, 0x3fb8aa3b, v6
	v_cvt_f16_f32_e32 v13, v13
	v_fma_f32 v42, 0x3fb8aa3b, v6, -v38
	v_rndne_f32_e32 v43, v38
	s_delay_alu instid0(VALU_DEP_3) | instskip(NEXT) | instid1(VALU_DEP_3)
	v_and_b32_e32 v13, 0xffff, v13
	v_fmac_f32_e32 v42, 0x32a5705f, v6
	s_delay_alu instid0(VALU_DEP_3) | instskip(NEXT) | instid1(VALU_DEP_3)
	v_sub_f32_e32 v38, v38, v43
	v_mul_u32_u24_e32 v13, 0x10001, v13
	s_delay_alu instid0(VALU_DEP_2) | instskip(SKIP_1) | instid1(VALU_DEP_3)
	v_add_f32_e32 v38, v38, v42
	v_cvt_i32_f32_e32 v42, v43
	v_pk_mul_f16 v13, v91, v13
	s_delay_alu instid0(VALU_DEP_3) | instskip(SKIP_1) | instid1(TRANS32_DEP_1)
	v_exp_f32_e32 v38, v38
	v_nop
	v_ldexp_f32 v38, v38, v42
	s_delay_alu instid0(VALU_DEP_1) | instskip(SKIP_1) | instid1(VALU_DEP_1)
	v_cndmask_b32_e64 v38, 0, v38, s7
	v_cmp_nlt_f32_e64 s7, 0x42b17218, v6
	v_cndmask_b32_e64 v6, 0x7f800000, v38, s7
	s_delay_alu instid0(VALU_DEP_1) | instskip(SKIP_1) | instid1(VALU_DEP_1)
	v_cndmask_b32_e64 v38, 0, v6, s6
	v_sub_f32_e32 v6, v14, v30
	v_mul_f32_e32 v14, 0x3fb8aa3b, v6
	s_delay_alu instid0(VALU_DEP_1) | instskip(SKIP_1) | instid1(VALU_DEP_1)
	v_fma_f32 v42, 0x3fb8aa3b, v6, -v14
	v_rndne_f32_e32 v43, v14
	v_sub_f32_e32 v14, v14, v43
	s_delay_alu instid0(VALU_DEP_3) | instskip(SKIP_1) | instid1(VALU_DEP_2)
	v_fmac_f32_e32 v42, 0x32a5705f, v6
	v_cmp_ngt_f32_e64 s7, 0xc2ce8ed0, v6
	v_add_f32_e32 v14, v14, v42
	v_cvt_i32_f32_e32 v42, v43
	s_delay_alu instid0(VALU_DEP_2) | instskip(SKIP_1) | instid1(TRANS32_DEP_1)
	v_exp_f32_e32 v14, v14
	v_nop
	v_ldexp_f32 v14, v14, v42
	s_delay_alu instid0(VALU_DEP_1) | instskip(SKIP_1) | instid1(VALU_DEP_1)
	v_cndmask_b32_e64 v14, 0, v14, s7
	v_cmp_nlt_f32_e64 s7, 0x42b17218, v6
	v_cndmask_b32_e64 v6, 0x7f800000, v14, s7
	v_mul_f32_e32 v14, 0x3fb8aa3b, v21
	v_cmp_ngt_f32_e64 s7, 0xc2ce8ed0, v21
	s_delay_alu instid0(VALU_DEP_2) | instskip(SKIP_1) | instid1(VALU_DEP_2)
	v_fma_f32 v43, 0x3fb8aa3b, v21, -v14
	v_rndne_f32_e32 v44, v14
	v_dual_cndmask_b32 v42, 0, v6 :: v_dual_fmac_f32 v43, 0x32a5705f, v21
	s_delay_alu instid0(VALU_DEP_2) | instskip(NEXT) | instid1(VALU_DEP_2)
	v_sub_f32_e32 v14, v14, v44
	v_add_f32_e32 v6, v38, v42
	s_delay_alu instid0(VALU_DEP_2) | instskip(SKIP_1) | instid1(VALU_DEP_2)
	v_add_f32_e32 v14, v14, v43
	v_cvt_i32_f32_e32 v43, v44
	v_exp_f32_e32 v14, v14
	v_nop
	s_delay_alu instid0(TRANS32_DEP_1) | instskip(NEXT) | instid1(VALU_DEP_1)
	v_ldexp_f32 v14, v14, v43
	v_cndmask_b32_e64 v14, 0, v14, s7
	v_cmp_nlt_f32_e64 s7, 0x42b17218, v21
	v_sub_f32_e32 v21, v39, v31
	s_delay_alu instid0(VALU_DEP_2) | instskip(SKIP_1) | instid1(VALU_DEP_2)
	v_cndmask_b32_e64 v14, 0x7f800000, v14, s7
	v_cmp_ngt_f32_e64 s7, 0xc2ce8ed0, v7
	v_fmac_f32_e32 v6, v22, v14
	v_mul_f32_e32 v22, 0x3fb8aa3b, v7
	v_cvt_f16_f32_e32 v14, v14
	s_delay_alu instid0(VALU_DEP_2) | instskip(SKIP_1) | instid1(VALU_DEP_3)
	v_fma_f32 v39, 0x3fb8aa3b, v7, -v22
	v_rndne_f32_e32 v43, v22
	v_and_b32_e32 v14, 0xffff, v14
	s_delay_alu instid0(VALU_DEP_3) | instskip(NEXT) | instid1(VALU_DEP_3)
	v_fmac_f32_e32 v39, 0x32a5705f, v7
	v_sub_f32_e32 v22, v22, v43
	s_delay_alu instid0(VALU_DEP_3) | instskip(NEXT) | instid1(VALU_DEP_2)
	v_mul_u32_u24_e32 v14, 0x10001, v14
	v_add_f32_e32 v22, v22, v39
	v_cvt_i32_f32_e32 v39, v43
	s_delay_alu instid0(VALU_DEP_3) | instskip(NEXT) | instid1(VALU_DEP_3)
	v_pk_mul_f16 v14, v90, v14
	v_exp_f32_e32 v22, v22
	v_nop
	s_delay_alu instid0(TRANS32_DEP_1) | instskip(NEXT) | instid1(VALU_DEP_1)
	v_ldexp_f32 v22, v22, v39
	v_cndmask_b32_e64 v22, 0, v22, s7
	v_cmp_nlt_f32_e64 s7, 0x42b17218, v7
	s_delay_alu instid0(VALU_DEP_1) | instskip(NEXT) | instid1(VALU_DEP_1)
	v_cndmask_b32_e64 v7, 0x7f800000, v22, s7
	v_cndmask_b32_e64 v22, 0, v7, s6
	v_sub_f32_e32 v7, v15, v31
	s_delay_alu instid0(VALU_DEP_1) | instskip(SKIP_1) | instid1(VALU_DEP_2)
	v_mul_f32_e32 v15, 0x3fb8aa3b, v7
	v_cmp_ngt_f32_e64 s6, 0xc2ce8ed0, v7
	v_fma_f32 v39, 0x3fb8aa3b, v7, -v15
	v_rndne_f32_e32 v43, v15
	s_delay_alu instid0(VALU_DEP_2) | instskip(NEXT) | instid1(VALU_DEP_2)
	v_fmac_f32_e32 v39, 0x32a5705f, v7
	v_sub_f32_e32 v15, v15, v43
	s_delay_alu instid0(VALU_DEP_1) | instskip(SKIP_1) | instid1(VALU_DEP_2)
	v_add_f32_e32 v15, v15, v39
	v_cvt_i32_f32_e32 v39, v43
	v_exp_f32_e32 v15, v15
	v_nop
	s_delay_alu instid0(TRANS32_DEP_1) | instskip(NEXT) | instid1(VALU_DEP_1)
	v_ldexp_f32 v15, v15, v39
	v_cndmask_b32_e64 v15, 0, v15, s6
	v_cmp_nlt_f32_e64 s6, 0x42b17218, v7
	s_delay_alu instid0(VALU_DEP_1) | instskip(SKIP_2) | instid1(SALU_CYCLE_1)
	v_cndmask_b32_e64 v7, 0x7f800000, v15, s6
	v_mul_f32_e32 v15, 0x3fb8aa3b, v21
	s_mul_u64 s[6:7], s[14:15], s[10:11]
	s_lshl_b64 s[6:7], s[6:7], 2
	s_delay_alu instid0(VALU_DEP_1)
	v_fma_f32 v43, 0x3fb8aa3b, v21, -v15
	v_rndne_f32_e32 v44, v15
	v_cndmask_b32_e32 v39, 0, v7, vcc_lo
	v_cmp_ngt_f32_e32 vcc_lo, 0xc2ce8ed0, v21
	s_add_nc_u64 s[6:7], s[24:25], s[6:7]
	v_fmac_f32_e32 v43, 0x32a5705f, v21
	s_delay_alu instid0(VALU_DEP_3) | instskip(NEXT) | instid1(VALU_DEP_1)
	v_dual_sub_f32 v15, v15, v44 :: v_dual_add_f32 v7, v22, v39
	v_add_f32_e32 v15, v15, v43
	v_cvt_i32_f32_e32 v43, v44
	s_delay_alu instid0(VALU_DEP_2) | instskip(SKIP_1) | instid1(TRANS32_DEP_1)
	v_exp_f32_e32 v15, v15
	v_nop
	v_ldexp_f32 v15, v15, v43
	v_lshl_add_u32 v43, v40, 4, v87
	s_delay_alu instid0(VALU_DEP_2) | instskip(SKIP_2) | instid1(VALU_DEP_3)
	v_cndmask_b32_e32 v15, 0, v15, vcc_lo
	v_cmp_nlt_f32_e32 vcc_lo, 0x42b17218, v21
	v_cvt_pk_f16_f32 v21, v34, v35
	v_cndmask_b32_e32 v15, 0x7f800000, v15, vcc_lo
	s_delay_alu instid0(VALU_DEP_1)
	v_fmac_f32_e32 v7, v23, v15
	v_cvt_pk_f16_f32 v23, v38, v22
	v_cvt_pk_f16_f32 v22, v36, v20
	;; [unrolled: 1-line block ×3, first 2 shown]
	v_lshl_add_u32 v32, v57, 4, v87
	v_mov_b32_e32 v57, 0
	ds_store_b128 v43, v[20:23]
	v_cvt_pk_f16_f32 v21, v10, v11
	v_mul_lo_u32 v10, s10, v65
	v_cvt_pk_f16_f32 v23, v42, v39
	v_cvt_pk_f16_f32 v22, v41, v37
	;; [unrolled: 1-line block ×3, first 2 shown]
	v_mbcnt_lo_u32_b32 v8, -1, 0
	s_mov_b32 s10, s8
	v_lshl_or_b32 v39, v65, 7, v56
	v_lshl_or_b32 v41, v66, 7, v56
	ds_store_b128 v32, v[20:23]
	v_dual_mov_b32 v8, 0 :: v_dual_lshlrev_b32 v9, 20, v8
	v_ashrrev_i32_e32 v11, 31, v10
	s_delay_alu instid0(VALU_DEP_2) | instskip(NEXT) | instid1(VALU_DEP_2)
	v_add_nc_u64_e32 v[8:9], src_flat_scratch_base_lo, v[8:9]
	v_lshl_add_u64 v[20:21], v[10:11], 2, s[6:7]
	v_add_nc_u32_e32 v10, s9, v10
	s_delay_alu instid0(VALU_DEP_2) | instskip(NEXT) | instid1(VALU_DEP_2)
	v_add_nc_u64_e32 v[22:23], v[20:21], v[56:57]
	v_ashrrev_i32_e32 v11, 31, v10
	s_delay_alu instid0(VALU_DEP_1) | instskip(NEXT) | instid1(VALU_DEP_3)
	v_lshl_add_u64 v[20:21], v[10:11], 2, s[6:7]
	v_dual_add_nc_u32 v10, s9, v10 :: v_dual_cndmask_b32 v23, v9, v23, s5
	s_delay_alu instid0(VALU_DEP_2) | instskip(NEXT) | instid1(VALU_DEP_2)
	v_add_nc_u64_e32 v[42:43], v[20:21], v[56:57]
	v_ashrrev_i32_e32 v11, 31, v10
	v_cndmask_b32_e64 v22, v8, v22, s5
	s_delay_alu instid0(VALU_DEP_2) | instskip(SKIP_2) | instid1(SALU_CYCLE_1)
	v_lshl_add_u64 v[20:21], v[10:11], 2, s[6:7]
	v_add_nc_u32_e32 v10, s9, v10
	s_mov_b32 s9, s8
	v_dual_mov_b32 v38, s10 :: v_dual_mov_b32 v37, s9
	s_delay_alu instid0(VALU_DEP_2)
	v_dual_mov_b32 v36, s8 :: v_dual_ashrrev_i32 v11, 31, v10
	scratch_store_b32 off, v57, off
	v_add_nc_u64_e32 v[44:45], v[20:21], v[56:57]
	v_lshl_or_b32 v20, v92, 7, v56
	scratch_store_b96 off, v[36:38], off offset:4
	flat_load_b128 v[32:35], v[22:23]
	s_wait_xcnt 0x0
	v_dual_cndmask_b32 v23, v9, v43, s4 :: v_dual_cndmask_b32 v22, v8, v42, s4
	v_lshl_add_u64 v[10:11], v[10:11], 2, s[6:7]
	s_delay_alu instid0(VALU_DEP_1)
	v_add_nc_u64_e32 v[10:11], v[10:11], v[56:57]
	s_wait_loadcnt_dscnt 0x0
	ds_store_b128 v39, v[32:35]
	s_clause 0x1
	scratch_store_b32 off, v57, off
	scratch_store_b96 off, v[36:38], off offset:4
	flat_load_b128 v[32:35], v[22:23]
	s_wait_xcnt 0x0
	v_dual_cndmask_b32 v23, v9, v45, s3 :: v_dual_cndmask_b32 v22, v8, v44, s3
	v_dual_cndmask_b32 v9, v9, v11, s2 :: v_dual_cndmask_b32 v8, v8, v10, s2
	s_wait_loadcnt_dscnt 0x0
	ds_store_b128 v41, v[32:35]
	s_clause 0x1
	scratch_store_b32 off, v57, off
	scratch_store_b96 off, v[36:38], off offset:4
	flat_load_b128 v[32:35], v[22:23]
	s_wait_loadcnt_dscnt 0x0
	ds_store_b128 v46, v[32:35]
	s_clause 0x1
	scratch_store_b32 off, v57, off
	scratch_store_b96 off, v[36:38], off offset:4
	flat_load_b128 v[8:11], v[8:9]
	s_wait_loadcnt_dscnt 0x0
	ds_store_b128 v20, v[8:11]
	s_wait_storecnt_dscnt 0x0
	s_barrier_signal -1
	s_barrier_wait -1
	ds_load_2addr_b32 v[42:43], v86 offset1:32
	s_wait_xcnt 0x0
	ds_load_b128 v[8:11], v85 offset:9216
	ds_load_b128 v[20:23], v85 offset:9232
	;; [unrolled: 1-line block ×4, first 2 shown]
	s_wait_dscnt 0x3
	v_lshrrev_b32_e32 v44, 16, v9
	v_cvt_f16_f32_e32 v15, v15
	v_dual_lshrrev_b32 v41, 16, v8 :: v_dual_lshrrev_b32 v46, 16, v11
	v_lshrrev_b32_e32 v45, 16, v10
	v_and_b32_e32 v10, 0xffff, v10
	s_delay_alu instid0(VALU_DEP_4)
	v_and_b32_e32 v15, 0xffff, v15
	v_and_b32_e32 v11, 0xffff, v11
	;; [unrolled: 1-line block ×4, first 2 shown]
	v_mul_u32_u24_e32 v10, 0x10001, v10
	v_mul_u32_u24_e32 v15, 0x10001, v15
	;; [unrolled: 1-line block ×6, first 2 shown]
	v_pk_mul_f16 v15, v89, v15
	v_mul_u32_u24_e32 v41, 0x10001, v41
	v_mul_u32_u24_e32 v9, 0x10001, v9
	v_pk_fma_f16 v10, v42, v10, v12
	v_pk_fma_f16 v12, v42, v45, v13
	;; [unrolled: 1-line block ×4, first 2 shown]
	s_wait_dscnt 0x2
	v_dual_lshrrev_b32 v14, 16, v20 :: v_dual_lshrrev_b32 v15, 16, v21
	v_and_b32_e32 v20, 0xffff, v20
	v_and_b32_e32 v21, 0xffff, v21
	v_mul_u32_u24_e32 v44, 0x10001, v44
	v_pk_fma_f16 v8, v42, v8, v16
	v_pk_fma_f16 v16, v42, v41, v17
	;; [unrolled: 1-line block ×3, first 2 shown]
	v_mul_u32_u24_e32 v20, 0x10001, v20
	v_mul_u32_u24_e32 v14, 0x10001, v14
	;; [unrolled: 1-line block ×3, first 2 shown]
	v_pk_fma_f16 v17, v42, v44, v19
	v_dual_lshrrev_b32 v18, 16, v22 :: v_dual_lshrrev_b32 v19, 16, v23
	v_and_b32_e32 v22, 0xffff, v22
	v_and_b32_e32 v23, 0xffff, v23
	v_pk_fma_f16 v20, v43, v20, v8
	v_pk_fma_f16 v14, v43, v14, v16
	;; [unrolled: 1-line block ×3, first 2 shown]
	ds_load_2addr_b32 v[8:9], v86 offset0:64 offset1:96
	v_mul_u32_u24_e32 v15, 0x10001, v15
	v_mul_u32_u24_e32 v22, 0x10001, v22
	;; [unrolled: 1-line block ×5, first 2 shown]
	v_pk_fma_f16 v15, v43, v15, v17
	v_pk_fma_f16 v10, v43, v22, v10
	;; [unrolled: 1-line block ×5, first 2 shown]
	s_wait_dscnt 0x2
	v_dual_lshrrev_b32 v17, 16, v32 :: v_dual_lshrrev_b32 v18, 16, v33
	v_dual_lshrrev_b32 v19, 16, v34 :: v_dual_lshrrev_b32 v21, 16, v35
	v_and_b32_e32 v22, 0xffff, v32
	v_and_b32_e32 v23, 0xffff, v33
	;; [unrolled: 1-line block ×4, first 2 shown]
	v_mul_u32_u24_e32 v17, 0x10001, v17
	v_mul_u32_u24_e32 v22, 0x10001, v22
	;; [unrolled: 1-line block ×8, first 2 shown]
	s_wait_dscnt 0x0
	v_pk_fma_f16 v20, v8, v22, v20
	v_pk_fma_f16 v14, v8, v17, v14
	;; [unrolled: 1-line block ×8, first 2 shown]
	v_dual_lshrrev_b32 v13, 16, v36 :: v_dual_lshrrev_b32 v17, 16, v37
	v_dual_lshrrev_b32 v18, 16, v38 :: v_dual_lshrrev_b32 v19, 16, v39
	v_and_b32_e32 v21, 0xffff, v36
	v_and_b32_e32 v22, 0xffff, v37
	;; [unrolled: 1-line block ×4, first 2 shown]
	v_mul_u32_u24_e32 v13, 0x10001, v13
	v_mul_u32_u24_e32 v21, 0x10001, v21
	;; [unrolled: 1-line block ×8, first 2 shown]
	v_pk_fma_f16 v20, v9, v21, v20
	v_pk_fma_f16 v14, v9, v13, v14
	;; [unrolled: 1-line block ×8, first 2 shown]
	ds_load_2addr_b32 v[8:9], v86 offset0:128 offset1:160
	ds_load_b128 v[10:13], v85 offset:9280
	s_wait_dscnt 0x0
	v_dual_lshrrev_b32 v22, 16, v10 :: v_dual_lshrrev_b32 v23, 16, v11
	v_dual_lshrrev_b32 v32, 16, v12 :: v_dual_lshrrev_b32 v33, 16, v13
	v_and_b32_e32 v10, 0xffff, v10
	v_and_b32_e32 v11, 0xffff, v11
	;; [unrolled: 1-line block ×4, first 2 shown]
	v_mul_u32_u24_e32 v22, 0x10001, v22
	v_mul_u32_u24_e32 v10, 0x10001, v10
	;; [unrolled: 1-line block ×6, first 2 shown]
	v_pk_fma_f16 v20, v8, v10, v20
	v_pk_fma_f16 v16, v8, v11, v16
	;; [unrolled: 1-line block ×4, first 2 shown]
	ds_load_b128 v[10:13], v85 offset:9296
	v_mul_u32_u24_e32 v32, 0x10001, v32
	v_mul_u32_u24_e32 v33, 0x10001, v33
	v_pk_fma_f16 v14, v8, v22, v14
	v_pk_fma_f16 v15, v8, v23, v15
	s_delay_alu instid0(VALU_DEP_4) | instskip(NEXT) | instid1(VALU_DEP_4)
	v_pk_fma_f16 v18, v8, v32, v18
	v_pk_fma_f16 v8, v8, v33, v19
	s_wait_dscnt 0x0
	v_dual_lshrrev_b32 v19, 16, v10 :: v_dual_lshrrev_b32 v22, 16, v11
	v_dual_lshrrev_b32 v23, 16, v12 :: v_dual_lshrrev_b32 v32, 16, v13
	v_and_b32_e32 v10, 0xffff, v10
	v_and_b32_e32 v11, 0xffff, v11
	;; [unrolled: 1-line block ×4, first 2 shown]
	v_mul_u32_u24_e32 v19, 0x10001, v19
	v_mul_u32_u24_e32 v10, 0x10001, v10
	v_mul_u32_u24_e32 v11, 0x10001, v11
	v_mul_u32_u24_e32 v22, 0x10001, v22
	v_mul_u32_u24_e32 v12, 0x10001, v12
	v_mul_u32_u24_e32 v23, 0x10001, v23
	v_mul_u32_u24_e32 v13, 0x10001, v13
	v_mul_u32_u24_e32 v32, 0x10001, v32
	v_pk_fma_f16 v20, v9, v10, v20
	v_pk_fma_f16 v14, v9, v19, v14
	v_pk_fma_f16 v16, v9, v11, v16
	v_pk_fma_f16 v15, v9, v22, v15
	v_pk_fma_f16 v17, v9, v12, v17
	v_pk_fma_f16 v18, v9, v23, v18
	v_pk_fma_f16 v19, v9, v13, v21
	v_pk_fma_f16 v21, v9, v32, v8
	ds_load_2addr_b32 v[12:13], v86 offset0:192 offset1:224
	ds_load_b128 v[8:11], v85 offset:9312
	s_wait_dscnt 0x0
	v_dual_lshrrev_b32 v22, 16, v8 :: v_dual_lshrrev_b32 v23, 16, v9
	v_dual_lshrrev_b32 v32, 16, v10 :: v_dual_lshrrev_b32 v33, 16, v11
	v_and_b32_e32 v8, 0xffff, v8
	v_and_b32_e32 v9, 0xffff, v9
	v_and_b32_e32 v10, 0xffff, v10
	v_and_b32_e32 v11, 0xffff, v11
	v_mul_u32_u24_e32 v22, 0x10001, v22
	v_mul_u32_u24_e32 v8, 0x10001, v8
	;; [unrolled: 1-line block ×6, first 2 shown]
	v_pk_fma_f16 v20, v12, v8, v20
	v_pk_fma_f16 v16, v12, v9, v16
	;; [unrolled: 1-line block ×4, first 2 shown]
	ds_load_b128 v[8:11], v85 offset:9328
	v_mul_u32_u24_e32 v32, 0x10001, v32
	v_mul_u32_u24_e32 v33, 0x10001, v33
	v_pk_fma_f16 v14, v12, v22, v14
	v_pk_fma_f16 v15, v12, v23, v15
	s_delay_alu instid0(VALU_DEP_4) | instskip(NEXT) | instid1(VALU_DEP_4)
	v_pk_fma_f16 v18, v12, v32, v18
	v_pk_fma_f16 v12, v12, v33, v21
	s_wait_dscnt 0x0
	v_dual_lshrrev_b32 v21, 16, v8 :: v_dual_lshrrev_b32 v22, 16, v9
	v_and_b32_e32 v8, 0xffff, v8
	v_dual_lshrrev_b32 v23, 16, v10 :: v_dual_lshrrev_b32 v32, 16, v11
	v_and_b32_e32 v9, 0xffff, v9
	v_and_b32_e32 v10, 0xffff, v10
	s_delay_alu instid0(VALU_DEP_4)
	v_mul_u32_u24_e32 v8, 0x10001, v8
	v_and_b32_e32 v11, 0xffff, v11
	v_mul_u32_u24_e32 v21, 0x10001, v21
	v_mul_u32_u24_e32 v9, 0x10001, v9
	;; [unrolled: 1-line block ×7, first 2 shown]
	v_pk_fma_f16 v20, v13, v8, v20
	v_add_nc_u32_e32 v8, 0x400, v86
	v_pk_fma_f16 v21, v13, v21, v14
	v_pk_fma_f16 v9, v13, v9, v16
	;; [unrolled: 1-line block ×7, first 2 shown]
	ds_load_2addr_b32 v[14:15], v8 offset1:32
	ds_load_b128 v[10:13], v85 offset:9344
	s_wait_dscnt 0x0
	v_dual_lshrrev_b32 v23, 16, v10 :: v_dual_lshrrev_b32 v32, 16, v11
	v_dual_lshrrev_b32 v33, 16, v12 :: v_dual_lshrrev_b32 v34, 16, v13
	v_and_b32_e32 v10, 0xffff, v10
	v_and_b32_e32 v11, 0xffff, v11
	;; [unrolled: 1-line block ×4, first 2 shown]
	v_mul_u32_u24_e32 v23, 0x10001, v23
	v_mul_u32_u24_e32 v10, 0x10001, v10
	v_mul_u32_u24_e32 v11, 0x10001, v11
	v_mul_u32_u24_e32 v12, 0x10001, v12
	v_mul_u32_u24_e32 v13, 0x10001, v13
	v_mul_u32_u24_e32 v32, 0x10001, v32
	v_pk_fma_f16 v20, v14, v10, v20
	v_pk_fma_f16 v9, v14, v11, v9
	;; [unrolled: 1-line block ×4, first 2 shown]
	ds_load_b128 v[10:13], v85 offset:9360
	v_mul_u32_u24_e32 v33, 0x10001, v33
	v_mul_u32_u24_e32 v34, 0x10001, v34
	v_pk_fma_f16 v21, v14, v23, v21
	v_pk_fma_f16 v16, v14, v32, v16
	s_delay_alu instid0(VALU_DEP_4) | instskip(NEXT) | instid1(VALU_DEP_4)
	v_pk_fma_f16 v18, v14, v33, v18
	v_pk_fma_f16 v14, v14, v34, v22
	s_wait_dscnt 0x0
	v_dual_lshrrev_b32 v22, 16, v10 :: v_dual_lshrrev_b32 v23, 16, v11
	v_dual_lshrrev_b32 v32, 16, v12 :: v_dual_lshrrev_b32 v33, 16, v13
	v_and_b32_e32 v10, 0xffff, v10
	v_and_b32_e32 v11, 0xffff, v11
	;; [unrolled: 1-line block ×4, first 2 shown]
	v_mul_u32_u24_e32 v22, 0x10001, v22
	v_mul_u32_u24_e32 v10, 0x10001, v10
	;; [unrolled: 1-line block ×8, first 2 shown]
	v_pk_fma_f16 v20, v15, v10, v20
	v_pk_fma_f16 v21, v15, v22, v21
	;; [unrolled: 1-line block ×8, first 2 shown]
	ds_load_2addr_b32 v[14:15], v8 offset0:64 offset1:96
	ds_load_b128 v[10:13], v85 offset:9376
	s_wait_dscnt 0x0
	v_dual_lshrrev_b32 v23, 16, v10 :: v_dual_lshrrev_b32 v32, 16, v11
	v_dual_lshrrev_b32 v33, 16, v12 :: v_dual_lshrrev_b32 v34, 16, v13
	v_and_b32_e32 v10, 0xffff, v10
	v_and_b32_e32 v11, 0xffff, v11
	;; [unrolled: 1-line block ×4, first 2 shown]
	v_mul_u32_u24_e32 v23, 0x10001, v23
	v_mul_u32_u24_e32 v10, 0x10001, v10
	;; [unrolled: 1-line block ×6, first 2 shown]
	v_pk_fma_f16 v20, v14, v10, v20
	v_pk_fma_f16 v9, v14, v11, v9
	;; [unrolled: 1-line block ×4, first 2 shown]
	ds_load_b128 v[10:13], v85 offset:9392
	v_mul_u32_u24_e32 v33, 0x10001, v33
	v_mul_u32_u24_e32 v34, 0x10001, v34
	v_pk_fma_f16 v21, v14, v23, v21
	v_pk_fma_f16 v16, v14, v32, v16
	s_delay_alu instid0(VALU_DEP_4) | instskip(NEXT) | instid1(VALU_DEP_4)
	v_pk_fma_f16 v18, v14, v33, v18
	v_pk_fma_f16 v14, v14, v34, v22
	s_wait_dscnt 0x0
	v_dual_lshrrev_b32 v22, 16, v10 :: v_dual_lshrrev_b32 v23, 16, v11
	v_dual_lshrrev_b32 v32, 16, v12 :: v_dual_lshrrev_b32 v33, 16, v13
	v_and_b32_e32 v10, 0xffff, v10
	v_and_b32_e32 v11, 0xffff, v11
	;; [unrolled: 1-line block ×4, first 2 shown]
	v_mul_u32_u24_e32 v22, 0x10001, v22
	v_mul_u32_u24_e32 v10, 0x10001, v10
	;; [unrolled: 1-line block ×8, first 2 shown]
	v_pk_fma_f16 v20, v15, v10, v20
	v_pk_fma_f16 v21, v15, v22, v21
	;; [unrolled: 1-line block ×8, first 2 shown]
	ds_load_2addr_b32 v[14:15], v8 offset0:128 offset1:160
	ds_load_b128 v[10:13], v85 offset:9408
	s_wait_dscnt 0x0
	v_dual_lshrrev_b32 v23, 16, v10 :: v_dual_lshrrev_b32 v32, 16, v11
	v_dual_lshrrev_b32 v33, 16, v12 :: v_dual_lshrrev_b32 v34, 16, v13
	v_and_b32_e32 v10, 0xffff, v10
	v_and_b32_e32 v11, 0xffff, v11
	;; [unrolled: 1-line block ×4, first 2 shown]
	v_mul_u32_u24_e32 v23, 0x10001, v23
	v_mul_u32_u24_e32 v10, 0x10001, v10
	;; [unrolled: 1-line block ×6, first 2 shown]
	v_pk_fma_f16 v20, v14, v10, v20
	v_pk_fma_f16 v9, v14, v11, v9
	;; [unrolled: 1-line block ×4, first 2 shown]
	ds_load_b128 v[10:13], v85 offset:9424
	v_mul_u32_u24_e32 v33, 0x10001, v33
	v_mul_u32_u24_e32 v34, 0x10001, v34
	v_pk_fma_f16 v21, v14, v23, v21
	v_pk_fma_f16 v16, v14, v32, v16
	s_delay_alu instid0(VALU_DEP_4) | instskip(NEXT) | instid1(VALU_DEP_4)
	v_pk_fma_f16 v18, v14, v33, v18
	v_pk_fma_f16 v14, v14, v34, v22
	s_wait_dscnt 0x0
	v_dual_lshrrev_b32 v22, 16, v10 :: v_dual_lshrrev_b32 v23, 16, v11
	v_dual_lshrrev_b32 v32, 16, v12 :: v_dual_lshrrev_b32 v33, 16, v13
	v_and_b32_e32 v10, 0xffff, v10
	v_and_b32_e32 v11, 0xffff, v11
	;; [unrolled: 1-line block ×4, first 2 shown]
	v_mul_u32_u24_e32 v22, 0x10001, v22
	v_mul_u32_u24_e32 v10, 0x10001, v10
	v_mul_u32_u24_e32 v11, 0x10001, v11
	v_mul_u32_u24_e32 v12, 0x10001, v12
	v_mul_u32_u24_e32 v13, 0x10001, v13
	v_pk_fma_f16 v21, v15, v22, v21
	v_pk_fma_f16 v20, v15, v10, v20
	;; [unrolled: 1-line block ×5, first 2 shown]
	ds_load_2addr_b32 v[8:9], v8 offset0:192 offset1:224
	ds_load_b128 v[10:13], v85 offset:9440
	v_mul_u32_u24_e32 v23, 0x10001, v23
	v_mul_u32_u24_e32 v32, 0x10001, v32
	;; [unrolled: 1-line block ×3, first 2 shown]
	s_delay_alu instid0(VALU_DEP_3) | instskip(NEXT) | instid1(VALU_DEP_3)
	v_pk_fma_f16 v16, v15, v23, v16
	v_pk_fma_f16 v18, v15, v32, v18
	s_delay_alu instid0(VALU_DEP_3)
	v_pk_fma_f16 v14, v15, v33, v14
	s_wait_dscnt 0x0
	v_dual_lshrrev_b32 v15, 16, v10 :: v_dual_lshrrev_b32 v23, 16, v11
	v_dual_lshrrev_b32 v32, 16, v12 :: v_dual_lshrrev_b32 v33, 16, v13
	v_and_b32_e32 v10, 0xffff, v10
	v_and_b32_e32 v11, 0xffff, v11
	;; [unrolled: 1-line block ×4, first 2 shown]
	v_mul_u32_u24_e32 v15, 0x10001, v15
	v_mul_u32_u24_e32 v10, 0x10001, v10
	;; [unrolled: 1-line block ×5, first 2 shown]
	v_pk_fma_f16 v15, v8, v15, v21
	v_pk_fma_f16 v20, v8, v10, v20
	;; [unrolled: 1-line block ×5, first 2 shown]
	ds_load_b128 v[10:13], v85 offset:9456
	v_mul_u32_u24_e32 v23, 0x10001, v23
	v_mul_u32_u24_e32 v32, 0x10001, v32
	;; [unrolled: 1-line block ×3, first 2 shown]
	s_delay_alu instid0(VALU_DEP_3) | instskip(NEXT) | instid1(VALU_DEP_3)
	v_pk_fma_f16 v16, v8, v23, v16
	v_pk_fma_f16 v18, v8, v32, v18
	s_delay_alu instid0(VALU_DEP_3)
	v_pk_fma_f16 v8, v8, v33, v14
	s_wait_dscnt 0x0
	v_dual_lshrrev_b32 v14, 16, v10 :: v_dual_lshrrev_b32 v22, 16, v11
	v_dual_lshrrev_b32 v23, 16, v12 :: v_dual_lshrrev_b32 v32, 16, v13
	v_and_b32_e32 v10, 0xffff, v10
	v_and_b32_e32 v11, 0xffff, v11
	;; [unrolled: 1-line block ×4, first 2 shown]
	v_mul_u32_u24_e32 v14, 0x10001, v14
	v_mul_u32_u24_e32 v10, 0x10001, v10
	;; [unrolled: 1-line block ×8, first 2 shown]
	v_pk_fma_f16 v20, v9, v10, v20
	v_pk_fma_f16 v33, v9, v14, v15
	;; [unrolled: 1-line block ×8, first 2 shown]
	v_add_nc_u32_e32 v8, 0x800, v86
	ds_load_2addr_b32 v[14:15], v8 offset1:32
	ds_load_b128 v[10:13], v85 offset:9472
	s_wait_dscnt 0x0
	v_dual_lshrrev_b32 v22, 16, v10 :: v_dual_lshrrev_b32 v23, 16, v11
	v_dual_lshrrev_b32 v32, 16, v12 :: v_dual_lshrrev_b32 v34, 16, v13
	v_and_b32_e32 v10, 0xffff, v10
	v_and_b32_e32 v11, 0xffff, v11
	v_and_b32_e32 v12, 0xffff, v12
	v_and_b32_e32 v13, 0xffff, v13
	v_mul_u32_u24_e32 v22, 0x10001, v22
	v_mul_u32_u24_e32 v10, 0x10001, v10
	v_mul_u32_u24_e32 v11, 0x10001, v11
	v_mul_u32_u24_e32 v12, 0x10001, v12
	v_mul_u32_u24_e32 v13, 0x10001, v13
	v_mul_u32_u24_e32 v23, 0x10001, v23
	v_pk_fma_f16 v20, v14, v10, v20
	v_pk_fma_f16 v21, v14, v11, v21
	v_pk_fma_f16 v17, v14, v12, v17
	v_pk_fma_f16 v19, v14, v13, v19
	ds_load_b128 v[10:13], v85 offset:9488
	v_mul_u32_u24_e32 v32, 0x10001, v32
	v_mul_u32_u24_e32 v34, 0x10001, v34
	v_pk_fma_f16 v22, v14, v22, v33
	v_pk_fma_f16 v16, v14, v23, v16
	s_delay_alu instid0(VALU_DEP_4) | instskip(NEXT) | instid1(VALU_DEP_4)
	v_pk_fma_f16 v18, v14, v32, v18
	v_pk_fma_f16 v9, v14, v34, v9
	s_wait_dscnt 0x0
	v_dual_lshrrev_b32 v14, 16, v10 :: v_dual_lshrrev_b32 v23, 16, v11
	v_dual_lshrrev_b32 v32, 16, v12 :: v_dual_lshrrev_b32 v33, 16, v13
	v_and_b32_e32 v10, 0xffff, v10
	v_and_b32_e32 v11, 0xffff, v11
	v_and_b32_e32 v12, 0xffff, v12
	v_and_b32_e32 v13, 0xffff, v13
	v_mul_u32_u24_e32 v14, 0x10001, v14
	v_mul_u32_u24_e32 v10, 0x10001, v10
	v_mul_u32_u24_e32 v11, 0x10001, v11
	v_mul_u32_u24_e32 v23, 0x10001, v23
	v_mul_u32_u24_e32 v12, 0x10001, v12
	v_mul_u32_u24_e32 v32, 0x10001, v32
	v_mul_u32_u24_e32 v13, 0x10001, v13
	v_mul_u32_u24_e32 v33, 0x10001, v33
	v_pk_fma_f16 v20, v15, v10, v20
	v_pk_fma_f16 v22, v15, v14, v22
	v_pk_fma_f16 v21, v15, v11, v21
	v_pk_fma_f16 v16, v15, v23, v16
	v_pk_fma_f16 v17, v15, v12, v17
	v_pk_fma_f16 v18, v15, v32, v18
	v_pk_fma_f16 v19, v15, v13, v19
	v_pk_fma_f16 v9, v15, v33, v9
	ds_load_2addr_b32 v[14:15], v8 offset0:64 offset1:96
	ds_load_b128 v[10:13], v85 offset:9504
	s_wait_dscnt 0x0
	v_dual_lshrrev_b32 v23, 16, v10 :: v_dual_lshrrev_b32 v32, 16, v11
	v_dual_lshrrev_b32 v33, 16, v12 :: v_dual_lshrrev_b32 v34, 16, v13
	v_and_b32_e32 v10, 0xffff, v10
	v_and_b32_e32 v11, 0xffff, v11
	v_and_b32_e32 v12, 0xffff, v12
	v_and_b32_e32 v13, 0xffff, v13
	v_mul_u32_u24_e32 v23, 0x10001, v23
	v_mul_u32_u24_e32 v10, 0x10001, v10
	v_mul_u32_u24_e32 v11, 0x10001, v11
	v_mul_u32_u24_e32 v12, 0x10001, v12
	v_mul_u32_u24_e32 v13, 0x10001, v13
	v_mul_u32_u24_e32 v32, 0x10001, v32
	v_pk_fma_f16 v20, v14, v10, v20
	v_pk_fma_f16 v21, v14, v11, v21
	v_pk_fma_f16 v17, v14, v12, v17
	v_pk_fma_f16 v19, v14, v13, v19
	ds_load_b128 v[10:13], v85 offset:9520
	v_mul_u32_u24_e32 v33, 0x10001, v33
	v_mul_u32_u24_e32 v34, 0x10001, v34
	v_pk_fma_f16 v22, v14, v23, v22
	v_pk_fma_f16 v16, v14, v32, v16
	s_delay_alu instid0(VALU_DEP_4) | instskip(NEXT) | instid1(VALU_DEP_4)
	v_pk_fma_f16 v18, v14, v33, v18
	v_pk_fma_f16 v9, v14, v34, v9
	s_wait_dscnt 0x0
	v_dual_lshrrev_b32 v14, 16, v10 :: v_dual_lshrrev_b32 v23, 16, v11
	v_dual_lshrrev_b32 v32, 16, v12 :: v_dual_lshrrev_b32 v33, 16, v13
	v_and_b32_e32 v10, 0xffff, v10
	v_and_b32_e32 v11, 0xffff, v11
	v_and_b32_e32 v12, 0xffff, v12
	v_and_b32_e32 v13, 0xffff, v13
	v_mul_u32_u24_e32 v14, 0x10001, v14
	v_mul_u32_u24_e32 v10, 0x10001, v10
	v_mul_u32_u24_e32 v11, 0x10001, v11
	v_mul_u32_u24_e32 v23, 0x10001, v23
	v_mul_u32_u24_e32 v12, 0x10001, v12
	v_mul_u32_u24_e32 v32, 0x10001, v32
	v_mul_u32_u24_e32 v13, 0x10001, v13
	v_mul_u32_u24_e32 v33, 0x10001, v33
	v_pk_fma_f16 v20, v15, v10, v20
	v_pk_fma_f16 v22, v15, v14, v22
	v_pk_fma_f16 v21, v15, v11, v21
	v_pk_fma_f16 v16, v15, v23, v16
	v_pk_fma_f16 v17, v15, v12, v17
	v_pk_fma_f16 v18, v15, v32, v18
	v_pk_fma_f16 v19, v15, v13, v19
	v_pk_fma_f16 v9, v15, v33, v9
	ds_load_2addr_b32 v[14:15], v8 offset0:128 offset1:160
	;; [unrolled: 50-line block ×3, first 2 shown]
	ds_load_b128 v[8:11], v85 offset:9568
	s_wait_dscnt 0x0
	v_dual_lshrrev_b32 v22, 16, v8 :: v_dual_lshrrev_b32 v23, 16, v9
	v_dual_lshrrev_b32 v32, 16, v10 :: v_dual_lshrrev_b32 v33, 16, v11
	v_and_b32_e32 v8, 0xffff, v8
	v_and_b32_e32 v9, 0xffff, v9
	;; [unrolled: 1-line block ×4, first 2 shown]
	v_mul_u32_u24_e32 v22, 0x10001, v22
	v_mul_u32_u24_e32 v8, 0x10001, v8
	;; [unrolled: 1-line block ×6, first 2 shown]
	v_pk_fma_f16 v20, v12, v8, v20
	v_pk_fma_f16 v21, v12, v9, v21
	;; [unrolled: 1-line block ×4, first 2 shown]
	ds_load_b128 v[8:11], v85 offset:9584
	v_mul_u32_u24_e32 v32, 0x10001, v32
	v_mul_u32_u24_e32 v33, 0x10001, v33
	v_pk_fma_f16 v14, v12, v22, v14
	v_pk_fma_f16 v16, v12, v23, v16
	s_delay_alu instid0(VALU_DEP_4) | instskip(NEXT) | instid1(VALU_DEP_4)
	v_pk_fma_f16 v18, v12, v32, v18
	v_pk_fma_f16 v12, v12, v33, v15
	s_wait_dscnt 0x0
	v_dual_lshrrev_b32 v15, 16, v8 :: v_dual_lshrrev_b32 v22, 16, v9
	v_and_b32_e32 v8, 0xffff, v8
	v_dual_lshrrev_b32 v23, 16, v10 :: v_dual_lshrrev_b32 v32, 16, v11
	v_and_b32_e32 v9, 0xffff, v9
	v_and_b32_e32 v10, 0xffff, v10
	s_delay_alu instid0(VALU_DEP_4)
	v_mul_u32_u24_e32 v8, 0x10001, v8
	v_and_b32_e32 v11, 0xffff, v11
	v_mul_u32_u24_e32 v15, 0x10001, v15
	v_mul_u32_u24_e32 v9, 0x10001, v9
	;; [unrolled: 1-line block ×7, first 2 shown]
	v_pk_fma_f16 v20, v13, v8, v20
	v_add_nc_u32_e32 v8, 0xc00, v86
	v_pk_fma_f16 v33, v13, v15, v14
	v_pk_fma_f16 v9, v13, v9, v21
	;; [unrolled: 1-line block ×7, first 2 shown]
	ds_load_2addr_b32 v[14:15], v8 offset1:32
	ds_load_b128 v[10:13], v85 offset:9600
	s_wait_dscnt 0x0
	v_dual_lshrrev_b32 v22, 16, v10 :: v_dual_lshrrev_b32 v23, 16, v11
	v_dual_lshrrev_b32 v32, 16, v12 :: v_dual_lshrrev_b32 v34, 16, v13
	v_and_b32_e32 v10, 0xffff, v10
	v_and_b32_e32 v11, 0xffff, v11
	;; [unrolled: 1-line block ×4, first 2 shown]
	v_mul_u32_u24_e32 v22, 0x10001, v22
	v_mul_u32_u24_e32 v10, 0x10001, v10
	;; [unrolled: 1-line block ×6, first 2 shown]
	v_pk_fma_f16 v20, v14, v10, v20
	v_pk_fma_f16 v9, v14, v11, v9
	;; [unrolled: 1-line block ×4, first 2 shown]
	ds_load_b128 v[10:13], v85 offset:9616
	v_mul_u32_u24_e32 v32, 0x10001, v32
	v_mul_u32_u24_e32 v34, 0x10001, v34
	v_pk_fma_f16 v22, v14, v22, v33
	v_pk_fma_f16 v16, v14, v23, v16
	s_delay_alu instid0(VALU_DEP_4) | instskip(NEXT) | instid1(VALU_DEP_4)
	v_pk_fma_f16 v18, v14, v32, v18
	v_pk_fma_f16 v14, v14, v34, v21
	s_wait_dscnt 0x0
	v_dual_lshrrev_b32 v21, 16, v10 :: v_dual_lshrrev_b32 v23, 16, v11
	v_dual_lshrrev_b32 v32, 16, v12 :: v_dual_lshrrev_b32 v33, 16, v13
	v_and_b32_e32 v10, 0xffff, v10
	v_and_b32_e32 v11, 0xffff, v11
	;; [unrolled: 1-line block ×4, first 2 shown]
	v_mul_u32_u24_e32 v21, 0x10001, v21
	v_mul_u32_u24_e32 v10, 0x10001, v10
	;; [unrolled: 1-line block ×8, first 2 shown]
	v_pk_fma_f16 v20, v15, v10, v20
	v_pk_fma_f16 v21, v15, v21, v22
	;; [unrolled: 1-line block ×8, first 2 shown]
	ds_load_2addr_b32 v[14:15], v8 offset0:64 offset1:96
	ds_load_b128 v[10:13], v85 offset:9632
	s_wait_dscnt 0x0
	v_dual_lshrrev_b32 v23, 16, v10 :: v_dual_lshrrev_b32 v32, 16, v11
	v_dual_lshrrev_b32 v33, 16, v12 :: v_dual_lshrrev_b32 v34, 16, v13
	v_and_b32_e32 v10, 0xffff, v10
	v_and_b32_e32 v11, 0xffff, v11
	;; [unrolled: 1-line block ×4, first 2 shown]
	v_mul_u32_u24_e32 v23, 0x10001, v23
	v_mul_u32_u24_e32 v10, 0x10001, v10
	;; [unrolled: 1-line block ×6, first 2 shown]
	v_pk_fma_f16 v20, v14, v10, v20
	v_pk_fma_f16 v9, v14, v11, v9
	;; [unrolled: 1-line block ×4, first 2 shown]
	ds_load_b128 v[10:13], v85 offset:9648
	v_mul_u32_u24_e32 v33, 0x10001, v33
	v_mul_u32_u24_e32 v34, 0x10001, v34
	v_pk_fma_f16 v21, v14, v23, v21
	v_pk_fma_f16 v16, v14, v32, v16
	s_delay_alu instid0(VALU_DEP_4) | instskip(NEXT) | instid1(VALU_DEP_4)
	v_pk_fma_f16 v18, v14, v33, v18
	v_pk_fma_f16 v14, v14, v34, v22
	s_wait_dscnt 0x0
	v_dual_lshrrev_b32 v22, 16, v10 :: v_dual_lshrrev_b32 v23, 16, v11
	v_dual_lshrrev_b32 v32, 16, v12 :: v_dual_lshrrev_b32 v33, 16, v13
	v_and_b32_e32 v10, 0xffff, v10
	v_and_b32_e32 v11, 0xffff, v11
	;; [unrolled: 1-line block ×4, first 2 shown]
	v_mul_u32_u24_e32 v22, 0x10001, v22
	v_mul_u32_u24_e32 v10, 0x10001, v10
	v_mul_u32_u24_e32 v11, 0x10001, v11
	v_mul_u32_u24_e32 v23, 0x10001, v23
	v_mul_u32_u24_e32 v12, 0x10001, v12
	v_mul_u32_u24_e32 v32, 0x10001, v32
	v_mul_u32_u24_e32 v13, 0x10001, v13
	v_mul_u32_u24_e32 v33, 0x10001, v33
	v_pk_fma_f16 v20, v15, v10, v20
	v_pk_fma_f16 v21, v15, v22, v21
	;; [unrolled: 1-line block ×8, first 2 shown]
	ds_load_2addr_b32 v[14:15], v8 offset0:128 offset1:160
	ds_load_b128 v[10:13], v85 offset:9664
	s_wait_dscnt 0x0
	v_dual_lshrrev_b32 v23, 16, v10 :: v_dual_lshrrev_b32 v32, 16, v11
	v_dual_lshrrev_b32 v33, 16, v12 :: v_dual_lshrrev_b32 v34, 16, v13
	v_and_b32_e32 v10, 0xffff, v10
	v_and_b32_e32 v11, 0xffff, v11
	;; [unrolled: 1-line block ×4, first 2 shown]
	v_mul_u32_u24_e32 v23, 0x10001, v23
	v_mul_u32_u24_e32 v10, 0x10001, v10
	v_mul_u32_u24_e32 v11, 0x10001, v11
	v_mul_u32_u24_e32 v12, 0x10001, v12
	v_mul_u32_u24_e32 v13, 0x10001, v13
	v_mul_u32_u24_e32 v32, 0x10001, v32
	v_pk_fma_f16 v20, v14, v10, v20
	v_pk_fma_f16 v9, v14, v11, v9
	;; [unrolled: 1-line block ×4, first 2 shown]
	ds_load_b128 v[10:13], v85 offset:9680
	v_mul_u32_u24_e32 v33, 0x10001, v33
	v_mul_u32_u24_e32 v34, 0x10001, v34
	v_pk_fma_f16 v21, v14, v23, v21
	v_pk_fma_f16 v16, v14, v32, v16
	s_delay_alu instid0(VALU_DEP_4) | instskip(NEXT) | instid1(VALU_DEP_4)
	v_pk_fma_f16 v18, v14, v33, v18
	v_pk_fma_f16 v14, v14, v34, v22
	s_wait_dscnt 0x0
	v_dual_lshrrev_b32 v22, 16, v10 :: v_dual_lshrrev_b32 v23, 16, v11
	v_dual_lshrrev_b32 v32, 16, v12 :: v_dual_lshrrev_b32 v33, 16, v13
	v_and_b32_e32 v10, 0xffff, v10
	v_and_b32_e32 v11, 0xffff, v11
	;; [unrolled: 1-line block ×4, first 2 shown]
	v_mul_u32_u24_e32 v22, 0x10001, v22
	v_mul_u32_u24_e32 v10, 0x10001, v10
	;; [unrolled: 1-line block ×5, first 2 shown]
	v_pk_fma_f16 v21, v15, v22, v21
	v_pk_fma_f16 v20, v15, v10, v20
	;; [unrolled: 1-line block ×5, first 2 shown]
	ds_load_2addr_b32 v[12:13], v8 offset0:192 offset1:224
	ds_load_b128 v[8:11], v85 offset:9696
	v_mul_u32_u24_e32 v23, 0x10001, v23
	v_mul_u32_u24_e32 v32, 0x10001, v32
	;; [unrolled: 1-line block ×3, first 2 shown]
	s_delay_alu instid0(VALU_DEP_3) | instskip(NEXT) | instid1(VALU_DEP_3)
	v_pk_fma_f16 v16, v15, v23, v16
	v_pk_fma_f16 v18, v15, v32, v18
	s_delay_alu instid0(VALU_DEP_3)
	v_pk_fma_f16 v14, v15, v33, v14
	s_wait_dscnt 0x0
	v_dual_lshrrev_b32 v15, 16, v8 :: v_dual_lshrrev_b32 v23, 16, v9
	v_dual_lshrrev_b32 v32, 16, v10 :: v_dual_lshrrev_b32 v33, 16, v11
	v_and_b32_e32 v8, 0xffff, v8
	v_and_b32_e32 v9, 0xffff, v9
	;; [unrolled: 1-line block ×4, first 2 shown]
	v_mul_u32_u24_e32 v15, 0x10001, v15
	v_mul_u32_u24_e32 v8, 0x10001, v8
	;; [unrolled: 1-line block ×5, first 2 shown]
	v_pk_fma_f16 v15, v12, v15, v21
	v_pk_fma_f16 v20, v12, v8, v20
	;; [unrolled: 1-line block ×5, first 2 shown]
	ds_load_b128 v[8:11], v85 offset:9712
	v_mul_u32_u24_e32 v23, 0x10001, v23
	v_mul_u32_u24_e32 v32, 0x10001, v32
	;; [unrolled: 1-line block ×3, first 2 shown]
	s_delay_alu instid0(VALU_DEP_3) | instskip(NEXT) | instid1(VALU_DEP_3)
	v_pk_fma_f16 v16, v12, v23, v16
	v_pk_fma_f16 v18, v12, v32, v18
	s_delay_alu instid0(VALU_DEP_3)
	v_pk_fma_f16 v12, v12, v33, v14
	s_wait_dscnt 0x0
	v_dual_lshrrev_b32 v14, 16, v8 :: v_dual_lshrrev_b32 v22, 16, v9
	v_and_b32_e32 v8, 0xffff, v8
	v_dual_lshrrev_b32 v23, 16, v10 :: v_dual_lshrrev_b32 v32, 16, v11
	v_and_b32_e32 v9, 0xffff, v9
	v_and_b32_e32 v10, 0xffff, v10
	s_delay_alu instid0(VALU_DEP_4)
	v_mul_u32_u24_e32 v8, 0x10001, v8
	v_and_b32_e32 v11, 0xffff, v11
	v_mul_u32_u24_e32 v14, 0x10001, v14
	v_mul_u32_u24_e32 v9, 0x10001, v9
	;; [unrolled: 1-line block ×7, first 2 shown]
	v_pk_fma_f16 v20, v13, v8, v20
	v_add_nc_u32_e32 v8, 0x1000, v86
	v_pk_fma_f16 v33, v13, v14, v15
	v_pk_fma_f16 v9, v13, v9, v21
	;; [unrolled: 1-line block ×7, first 2 shown]
	ds_load_2addr_b32 v[14:15], v8 offset1:32
	ds_load_b128 v[10:13], v85 offset:9728
	s_wait_dscnt 0x0
	v_dual_lshrrev_b32 v22, 16, v10 :: v_dual_lshrrev_b32 v23, 16, v11
	v_dual_lshrrev_b32 v32, 16, v12 :: v_dual_lshrrev_b32 v34, 16, v13
	v_and_b32_e32 v10, 0xffff, v10
	v_and_b32_e32 v11, 0xffff, v11
	;; [unrolled: 1-line block ×4, first 2 shown]
	v_mul_u32_u24_e32 v22, 0x10001, v22
	v_mul_u32_u24_e32 v10, 0x10001, v10
	;; [unrolled: 1-line block ×6, first 2 shown]
	v_pk_fma_f16 v20, v14, v10, v20
	v_pk_fma_f16 v9, v14, v11, v9
	;; [unrolled: 1-line block ×4, first 2 shown]
	ds_load_b128 v[10:13], v85 offset:9744
	v_mul_u32_u24_e32 v32, 0x10001, v32
	v_mul_u32_u24_e32 v34, 0x10001, v34
	v_pk_fma_f16 v22, v14, v22, v33
	v_pk_fma_f16 v16, v14, v23, v16
	s_delay_alu instid0(VALU_DEP_4) | instskip(NEXT) | instid1(VALU_DEP_4)
	v_pk_fma_f16 v18, v14, v32, v18
	v_pk_fma_f16 v14, v14, v34, v21
	s_wait_dscnt 0x0
	v_dual_lshrrev_b32 v21, 16, v10 :: v_dual_lshrrev_b32 v23, 16, v11
	v_dual_lshrrev_b32 v32, 16, v12 :: v_dual_lshrrev_b32 v33, 16, v13
	v_and_b32_e32 v10, 0xffff, v10
	v_and_b32_e32 v11, 0xffff, v11
	;; [unrolled: 1-line block ×4, first 2 shown]
	v_mul_u32_u24_e32 v21, 0x10001, v21
	v_mul_u32_u24_e32 v10, 0x10001, v10
	;; [unrolled: 1-line block ×8, first 2 shown]
	v_pk_fma_f16 v20, v15, v10, v20
	v_pk_fma_f16 v21, v15, v21, v22
	;; [unrolled: 1-line block ×8, first 2 shown]
	ds_load_2addr_b32 v[14:15], v8 offset0:64 offset1:96
	ds_load_b128 v[10:13], v85 offset:9760
	s_wait_dscnt 0x0
	v_dual_lshrrev_b32 v23, 16, v10 :: v_dual_lshrrev_b32 v32, 16, v11
	v_dual_lshrrev_b32 v33, 16, v12 :: v_dual_lshrrev_b32 v34, 16, v13
	v_and_b32_e32 v10, 0xffff, v10
	v_and_b32_e32 v11, 0xffff, v11
	;; [unrolled: 1-line block ×4, first 2 shown]
	v_mul_u32_u24_e32 v23, 0x10001, v23
	v_mul_u32_u24_e32 v10, 0x10001, v10
	;; [unrolled: 1-line block ×6, first 2 shown]
	v_pk_fma_f16 v20, v14, v10, v20
	v_pk_fma_f16 v9, v14, v11, v9
	;; [unrolled: 1-line block ×4, first 2 shown]
	ds_load_b128 v[10:13], v85 offset:9776
	v_mul_u32_u24_e32 v33, 0x10001, v33
	v_mul_u32_u24_e32 v34, 0x10001, v34
	v_pk_fma_f16 v21, v14, v23, v21
	v_pk_fma_f16 v16, v14, v32, v16
	s_delay_alu instid0(VALU_DEP_4) | instskip(NEXT) | instid1(VALU_DEP_4)
	v_pk_fma_f16 v18, v14, v33, v18
	v_pk_fma_f16 v14, v14, v34, v22
	s_wait_dscnt 0x0
	v_dual_lshrrev_b32 v22, 16, v10 :: v_dual_lshrrev_b32 v23, 16, v11
	v_dual_lshrrev_b32 v32, 16, v12 :: v_dual_lshrrev_b32 v33, 16, v13
	v_and_b32_e32 v10, 0xffff, v10
	v_and_b32_e32 v11, 0xffff, v11
	;; [unrolled: 1-line block ×4, first 2 shown]
	v_mul_u32_u24_e32 v22, 0x10001, v22
	v_mul_u32_u24_e32 v10, 0x10001, v10
	;; [unrolled: 1-line block ×8, first 2 shown]
	v_pk_fma_f16 v20, v15, v10, v20
	v_pk_fma_f16 v21, v15, v22, v21
	;; [unrolled: 1-line block ×8, first 2 shown]
	ds_load_2addr_b32 v[14:15], v8 offset0:128 offset1:160
	ds_load_b128 v[10:13], v85 offset:9792
	s_wait_dscnt 0x0
	v_dual_lshrrev_b32 v23, 16, v10 :: v_dual_lshrrev_b32 v32, 16, v11
	v_dual_lshrrev_b32 v33, 16, v12 :: v_dual_lshrrev_b32 v34, 16, v13
	v_and_b32_e32 v10, 0xffff, v10
	v_and_b32_e32 v11, 0xffff, v11
	;; [unrolled: 1-line block ×4, first 2 shown]
	v_mul_u32_u24_e32 v23, 0x10001, v23
	v_mul_u32_u24_e32 v10, 0x10001, v10
	;; [unrolled: 1-line block ×6, first 2 shown]
	v_pk_fma_f16 v20, v14, v10, v20
	v_pk_fma_f16 v9, v14, v11, v9
	;; [unrolled: 1-line block ×4, first 2 shown]
	ds_load_b128 v[10:13], v85 offset:9808
	v_mul_u32_u24_e32 v33, 0x10001, v33
	v_mul_u32_u24_e32 v34, 0x10001, v34
	v_pk_fma_f16 v21, v14, v23, v21
	v_pk_fma_f16 v16, v14, v32, v16
	s_delay_alu instid0(VALU_DEP_4) | instskip(NEXT) | instid1(VALU_DEP_4)
	v_pk_fma_f16 v18, v14, v33, v18
	v_pk_fma_f16 v14, v14, v34, v22
	s_wait_dscnt 0x0
	v_dual_lshrrev_b32 v22, 16, v10 :: v_dual_lshrrev_b32 v23, 16, v11
	v_dual_lshrrev_b32 v32, 16, v12 :: v_dual_lshrrev_b32 v33, 16, v13
	v_and_b32_e32 v10, 0xffff, v10
	v_and_b32_e32 v11, 0xffff, v11
	;; [unrolled: 1-line block ×4, first 2 shown]
	v_mul_u32_u24_e32 v22, 0x10001, v22
	v_mul_u32_u24_e32 v10, 0x10001, v10
	;; [unrolled: 1-line block ×5, first 2 shown]
	v_pk_fma_f16 v21, v15, v22, v21
	v_pk_fma_f16 v20, v15, v10, v20
	;; [unrolled: 1-line block ×5, first 2 shown]
	ds_load_2addr_b32 v[12:13], v8 offset0:192 offset1:224
	ds_load_b128 v[8:11], v85 offset:9824
	v_mul_u32_u24_e32 v23, 0x10001, v23
	v_mul_u32_u24_e32 v32, 0x10001, v32
	;; [unrolled: 1-line block ×3, first 2 shown]
	s_delay_alu instid0(VALU_DEP_3) | instskip(NEXT) | instid1(VALU_DEP_3)
	v_pk_fma_f16 v16, v15, v23, v16
	v_pk_fma_f16 v18, v15, v32, v18
	s_delay_alu instid0(VALU_DEP_3)
	v_pk_fma_f16 v14, v15, v33, v14
	s_wait_dscnt 0x0
	v_dual_lshrrev_b32 v15, 16, v8 :: v_dual_lshrrev_b32 v23, 16, v9
	v_dual_lshrrev_b32 v32, 16, v10 :: v_dual_lshrrev_b32 v33, 16, v11
	v_and_b32_e32 v8, 0xffff, v8
	v_and_b32_e32 v9, 0xffff, v9
	;; [unrolled: 1-line block ×4, first 2 shown]
	v_mul_u32_u24_e32 v15, 0x10001, v15
	v_mul_u32_u24_e32 v8, 0x10001, v8
	;; [unrolled: 1-line block ×5, first 2 shown]
	v_pk_fma_f16 v15, v12, v15, v21
	v_pk_fma_f16 v20, v12, v8, v20
	v_pk_fma_f16 v21, v12, v9, v22
	v_pk_fma_f16 v17, v12, v10, v17
	v_pk_fma_f16 v19, v12, v11, v19
	ds_load_b128 v[8:11], v85 offset:9840
	v_mul_u32_u24_e32 v23, 0x10001, v23
	v_mul_u32_u24_e32 v32, 0x10001, v32
	;; [unrolled: 1-line block ×3, first 2 shown]
	s_delay_alu instid0(VALU_DEP_3) | instskip(NEXT) | instid1(VALU_DEP_3)
	v_pk_fma_f16 v16, v12, v23, v16
	v_pk_fma_f16 v18, v12, v32, v18
	s_delay_alu instid0(VALU_DEP_3)
	v_pk_fma_f16 v12, v12, v33, v14
	s_wait_dscnt 0x0
	v_dual_lshrrev_b32 v14, 16, v8 :: v_dual_lshrrev_b32 v22, 16, v9
	v_and_b32_e32 v8, 0xffff, v8
	v_dual_lshrrev_b32 v23, 16, v10 :: v_dual_lshrrev_b32 v32, 16, v11
	v_and_b32_e32 v9, 0xffff, v9
	v_and_b32_e32 v10, 0xffff, v10
	s_delay_alu instid0(VALU_DEP_4)
	v_mul_u32_u24_e32 v8, 0x10001, v8
	v_and_b32_e32 v11, 0xffff, v11
	v_mul_u32_u24_e32 v14, 0x10001, v14
	v_mul_u32_u24_e32 v9, 0x10001, v9
	;; [unrolled: 1-line block ×7, first 2 shown]
	v_pk_fma_f16 v20, v13, v8, v20
	v_add_nc_u32_e32 v8, 0x1400, v86
	v_pk_fma_f16 v33, v13, v14, v15
	v_pk_fma_f16 v9, v13, v9, v21
	v_pk_fma_f16 v16, v13, v22, v16
	v_pk_fma_f16 v17, v13, v10, v17
	v_pk_fma_f16 v18, v13, v23, v18
	v_pk_fma_f16 v19, v13, v11, v19
	v_pk_fma_f16 v21, v13, v32, v12
	ds_load_2addr_b32 v[14:15], v8 offset1:32
	ds_load_b128 v[10:13], v85 offset:9856
	s_wait_dscnt 0x0
	v_dual_lshrrev_b32 v22, 16, v10 :: v_dual_lshrrev_b32 v23, 16, v11
	v_dual_lshrrev_b32 v32, 16, v12 :: v_dual_lshrrev_b32 v34, 16, v13
	v_and_b32_e32 v10, 0xffff, v10
	v_and_b32_e32 v11, 0xffff, v11
	;; [unrolled: 1-line block ×4, first 2 shown]
	v_mul_u32_u24_e32 v22, 0x10001, v22
	v_mul_u32_u24_e32 v10, 0x10001, v10
	;; [unrolled: 1-line block ×6, first 2 shown]
	v_pk_fma_f16 v20, v14, v10, v20
	v_pk_fma_f16 v9, v14, v11, v9
	v_pk_fma_f16 v17, v14, v12, v17
	v_pk_fma_f16 v19, v14, v13, v19
	ds_load_b128 v[10:13], v85 offset:9872
	v_mul_u32_u24_e32 v32, 0x10001, v32
	v_mul_u32_u24_e32 v34, 0x10001, v34
	v_pk_fma_f16 v22, v14, v22, v33
	v_pk_fma_f16 v16, v14, v23, v16
	s_delay_alu instid0(VALU_DEP_4) | instskip(NEXT) | instid1(VALU_DEP_4)
	v_pk_fma_f16 v18, v14, v32, v18
	v_pk_fma_f16 v14, v14, v34, v21
	s_wait_dscnt 0x0
	v_dual_lshrrev_b32 v21, 16, v10 :: v_dual_lshrrev_b32 v23, 16, v11
	v_dual_lshrrev_b32 v32, 16, v12 :: v_dual_lshrrev_b32 v33, 16, v13
	v_and_b32_e32 v10, 0xffff, v10
	v_and_b32_e32 v11, 0xffff, v11
	;; [unrolled: 1-line block ×4, first 2 shown]
	v_mul_u32_u24_e32 v21, 0x10001, v21
	v_mul_u32_u24_e32 v10, 0x10001, v10
	;; [unrolled: 1-line block ×8, first 2 shown]
	v_pk_fma_f16 v20, v15, v10, v20
	v_pk_fma_f16 v21, v15, v21, v22
	;; [unrolled: 1-line block ×8, first 2 shown]
	ds_load_2addr_b32 v[14:15], v8 offset0:64 offset1:96
	ds_load_b128 v[10:13], v85 offset:9888
	s_wait_dscnt 0x0
	v_dual_lshrrev_b32 v23, 16, v10 :: v_dual_lshrrev_b32 v32, 16, v11
	v_dual_lshrrev_b32 v33, 16, v12 :: v_dual_lshrrev_b32 v34, 16, v13
	v_and_b32_e32 v10, 0xffff, v10
	v_and_b32_e32 v11, 0xffff, v11
	;; [unrolled: 1-line block ×4, first 2 shown]
	v_mul_u32_u24_e32 v23, 0x10001, v23
	v_mul_u32_u24_e32 v10, 0x10001, v10
	;; [unrolled: 1-line block ×6, first 2 shown]
	v_pk_fma_f16 v20, v14, v10, v20
	v_pk_fma_f16 v9, v14, v11, v9
	;; [unrolled: 1-line block ×4, first 2 shown]
	ds_load_b128 v[10:13], v85 offset:9904
	v_mul_u32_u24_e32 v33, 0x10001, v33
	v_mul_u32_u24_e32 v34, 0x10001, v34
	v_pk_fma_f16 v21, v14, v23, v21
	v_pk_fma_f16 v16, v14, v32, v16
	s_delay_alu instid0(VALU_DEP_4) | instskip(NEXT) | instid1(VALU_DEP_4)
	v_pk_fma_f16 v18, v14, v33, v18
	v_pk_fma_f16 v14, v14, v34, v22
	s_wait_dscnt 0x0
	v_dual_lshrrev_b32 v22, 16, v10 :: v_dual_lshrrev_b32 v23, 16, v11
	v_dual_lshrrev_b32 v32, 16, v12 :: v_dual_lshrrev_b32 v33, 16, v13
	v_and_b32_e32 v10, 0xffff, v10
	v_and_b32_e32 v11, 0xffff, v11
	;; [unrolled: 1-line block ×4, first 2 shown]
	v_mul_u32_u24_e32 v22, 0x10001, v22
	v_mul_u32_u24_e32 v10, 0x10001, v10
	;; [unrolled: 1-line block ×8, first 2 shown]
	v_pk_fma_f16 v20, v15, v10, v20
	v_pk_fma_f16 v21, v15, v22, v21
	;; [unrolled: 1-line block ×8, first 2 shown]
	ds_load_2addr_b32 v[14:15], v8 offset0:128 offset1:160
	ds_load_b128 v[10:13], v85 offset:9920
	s_wait_dscnt 0x0
	v_dual_lshrrev_b32 v23, 16, v10 :: v_dual_lshrrev_b32 v32, 16, v11
	v_dual_lshrrev_b32 v33, 16, v12 :: v_dual_lshrrev_b32 v34, 16, v13
	v_and_b32_e32 v10, 0xffff, v10
	v_and_b32_e32 v11, 0xffff, v11
	v_and_b32_e32 v12, 0xffff, v12
	v_and_b32_e32 v13, 0xffff, v13
	v_mul_u32_u24_e32 v23, 0x10001, v23
	v_mul_u32_u24_e32 v10, 0x10001, v10
	;; [unrolled: 1-line block ×6, first 2 shown]
	v_pk_fma_f16 v20, v14, v10, v20
	v_pk_fma_f16 v9, v14, v11, v9
	;; [unrolled: 1-line block ×4, first 2 shown]
	ds_load_b128 v[10:13], v85 offset:9936
	v_mul_u32_u24_e32 v33, 0x10001, v33
	v_mul_u32_u24_e32 v34, 0x10001, v34
	v_pk_fma_f16 v21, v14, v23, v21
	v_pk_fma_f16 v16, v14, v32, v16
	s_delay_alu instid0(VALU_DEP_4) | instskip(NEXT) | instid1(VALU_DEP_4)
	v_pk_fma_f16 v18, v14, v33, v18
	v_pk_fma_f16 v14, v14, v34, v22
	s_wait_dscnt 0x0
	v_dual_lshrrev_b32 v22, 16, v10 :: v_dual_lshrrev_b32 v23, 16, v11
	v_dual_lshrrev_b32 v32, 16, v12 :: v_dual_lshrrev_b32 v33, 16, v13
	v_and_b32_e32 v10, 0xffff, v10
	v_and_b32_e32 v11, 0xffff, v11
	;; [unrolled: 1-line block ×4, first 2 shown]
	v_mul_u32_u24_e32 v22, 0x10001, v22
	v_mul_u32_u24_e32 v10, 0x10001, v10
	;; [unrolled: 1-line block ×5, first 2 shown]
	v_pk_fma_f16 v21, v15, v22, v21
	v_pk_fma_f16 v20, v15, v10, v20
	;; [unrolled: 1-line block ×5, first 2 shown]
	ds_load_2addr_b32 v[12:13], v8 offset0:192 offset1:224
	ds_load_b128 v[8:11], v85 offset:9952
	v_mul_u32_u24_e32 v23, 0x10001, v23
	v_mul_u32_u24_e32 v32, 0x10001, v32
	;; [unrolled: 1-line block ×3, first 2 shown]
	s_delay_alu instid0(VALU_DEP_3) | instskip(NEXT) | instid1(VALU_DEP_3)
	v_pk_fma_f16 v16, v15, v23, v16
	v_pk_fma_f16 v18, v15, v32, v18
	s_delay_alu instid0(VALU_DEP_3)
	v_pk_fma_f16 v14, v15, v33, v14
	s_wait_dscnt 0x0
	v_dual_lshrrev_b32 v15, 16, v8 :: v_dual_lshrrev_b32 v23, 16, v9
	v_dual_lshrrev_b32 v32, 16, v10 :: v_dual_lshrrev_b32 v33, 16, v11
	v_and_b32_e32 v8, 0xffff, v8
	v_and_b32_e32 v9, 0xffff, v9
	;; [unrolled: 1-line block ×4, first 2 shown]
	v_mul_u32_u24_e32 v15, 0x10001, v15
	v_mul_u32_u24_e32 v8, 0x10001, v8
	;; [unrolled: 1-line block ×5, first 2 shown]
	v_pk_fma_f16 v15, v12, v15, v21
	v_pk_fma_f16 v20, v12, v8, v20
	;; [unrolled: 1-line block ×5, first 2 shown]
	ds_load_b128 v[8:11], v85 offset:9968
	v_mul_u32_u24_e32 v23, 0x10001, v23
	v_mul_u32_u24_e32 v32, 0x10001, v32
	;; [unrolled: 1-line block ×3, first 2 shown]
	s_delay_alu instid0(VALU_DEP_3) | instskip(NEXT) | instid1(VALU_DEP_3)
	v_pk_fma_f16 v16, v12, v23, v16
	v_pk_fma_f16 v18, v12, v32, v18
	s_delay_alu instid0(VALU_DEP_3)
	v_pk_fma_f16 v12, v12, v33, v14
	s_wait_dscnt 0x0
	v_dual_lshrrev_b32 v23, 16, v10 :: v_dual_lshrrev_b32 v32, 16, v11
	v_and_b32_e32 v10, 0xffff, v10
	v_dual_lshrrev_b32 v14, 16, v8 :: v_dual_lshrrev_b32 v22, 16, v9
	v_and_b32_e32 v8, 0xffff, v8
	v_and_b32_e32 v9, 0xffff, v9
	s_delay_alu instid0(VALU_DEP_4)
	v_mul_u32_u24_e32 v10, 0x10001, v10
	v_and_b32_e32 v11, 0xffff, v11
	v_mul_u32_u24_e32 v14, 0x10001, v14
	v_mul_u32_u24_e32 v8, 0x10001, v8
	;; [unrolled: 1-line block ×7, first 2 shown]
	v_pk_fma_f16 v17, v13, v10, v17
	v_add_nc_u32_e32 v10, 0x1800, v86
	v_pk_fma_f16 v20, v13, v8, v20
	v_pk_fma_f16 v33, v13, v14, v15
	;; [unrolled: 1-line block ×7, first 2 shown]
	ds_load_2addr_b32 v[8:9], v10 offset1:32
	ds_load_b128 v[12:15], v85 offset:9984
	s_wait_dscnt 0x0
	v_dual_lshrrev_b32 v11, 16, v12 :: v_dual_lshrrev_b32 v23, 16, v13
	v_dual_lshrrev_b32 v32, 16, v14 :: v_dual_lshrrev_b32 v34, 16, v15
	v_and_b32_e32 v12, 0xffff, v12
	s_delay_alu instid0(VALU_DEP_3)
	v_mul_u32_u24_e32 v35, 0x10001, v11
	v_and_b32_e32 v11, 0xffff, v13
	v_mul_u32_u24_e32 v23, 0x10001, v23
	v_mul_u32_u24_e32 v32, 0x10001, v32
	;; [unrolled: 1-line block ×5, first 2 shown]
	v_and_b32_e32 v11, 0xffff, v14
	v_pk_fma_f16 v14, v8, v23, v16
	v_pk_fma_f16 v16, v8, v32, v18
	s_delay_alu instid0(VALU_DEP_4) | instskip(NEXT) | instid1(VALU_DEP_4)
	v_pk_fma_f16 v13, v8, v13, v21
	v_mul_u32_u24_e32 v36, 0x10001, v11
	v_and_b32_e32 v11, 0xffff, v15
	s_delay_alu instid0(VALU_DEP_2) | instskip(NEXT) | instid1(VALU_DEP_2)
	v_pk_fma_f16 v15, v8, v36, v17
	v_mul_u32_u24_e32 v37, 0x10001, v11
	v_pk_fma_f16 v11, v8, v12, v20
	v_pk_fma_f16 v12, v8, v35, v33
	s_delay_alu instid0(VALU_DEP_3)
	v_pk_fma_f16 v17, v8, v37, v19
	ds_load_b128 v[18:21], v85 offset:10000
	v_pk_fma_f16 v8, v8, v34, v22
	s_wait_dscnt 0x0
	v_dual_lshrrev_b32 v22, 16, v18 :: v_dual_lshrrev_b32 v23, 16, v19
	v_dual_lshrrev_b32 v32, 16, v20 :: v_dual_lshrrev_b32 v33, 16, v21
	v_and_b32_e32 v18, 0xffff, v18
	v_and_b32_e32 v19, 0xffff, v19
	;; [unrolled: 1-line block ×4, first 2 shown]
	v_mul_u32_u24_e32 v22, 0x10001, v22
	v_mul_u32_u24_e32 v18, 0x10001, v18
	v_mul_u32_u24_e32 v19, 0x10001, v19
	v_mul_u32_u24_e32 v23, 0x10001, v23
	v_mul_u32_u24_e32 v20, 0x10001, v20
	v_mul_u32_u24_e32 v32, 0x10001, v32
	v_mul_u32_u24_e32 v21, 0x10001, v21
	v_mul_u32_u24_e32 v33, 0x10001, v33
	v_pk_fma_f16 v11, v9, v18, v11
	v_pk_fma_f16 v12, v9, v22, v12
	v_pk_fma_f16 v13, v9, v19, v13
	v_pk_fma_f16 v14, v9, v23, v14
	v_pk_fma_f16 v15, v9, v20, v15
	v_pk_fma_f16 v16, v9, v32, v16
	v_pk_fma_f16 v17, v9, v21, v17
	v_pk_fma_f16 v18, v9, v33, v8
	ds_load_2addr_b32 v[8:9], v10 offset0:64 offset1:96
	ds_load_b128 v[20:23], v85 offset:10016
	s_wait_dscnt 0x0
	v_dual_lshrrev_b32 v19, 16, v20 :: v_dual_lshrrev_b32 v32, 16, v21
	v_dual_lshrrev_b32 v33, 16, v22 :: v_dual_lshrrev_b32 v34, 16, v23
	v_and_b32_e32 v20, 0xffff, v20
	v_and_b32_e32 v21, 0xffff, v21
	;; [unrolled: 1-line block ×4, first 2 shown]
	v_mul_u32_u24_e32 v19, 0x10001, v19
	v_mul_u32_u24_e32 v20, 0x10001, v20
	;; [unrolled: 1-line block ×8, first 2 shown]
	v_pk_fma_f16 v11, v8, v20, v11
	v_pk_fma_f16 v12, v8, v19, v12
	;; [unrolled: 1-line block ×8, first 2 shown]
	ds_load_b128 v[18:21], v85 offset:10032
	s_wait_dscnt 0x0
	v_dual_lshrrev_b32 v22, 16, v18 :: v_dual_lshrrev_b32 v23, 16, v19
	v_dual_lshrrev_b32 v32, 16, v20 :: v_dual_lshrrev_b32 v33, 16, v21
	v_and_b32_e32 v18, 0xffff, v18
	v_and_b32_e32 v19, 0xffff, v19
	;; [unrolled: 1-line block ×4, first 2 shown]
	v_mul_u32_u24_e32 v22, 0x10001, v22
	v_mul_u32_u24_e32 v18, 0x10001, v18
	;; [unrolled: 1-line block ×8, first 2 shown]
	v_pk_fma_f16 v11, v9, v18, v11
	v_pk_fma_f16 v18, v9, v22, v12
	;; [unrolled: 1-line block ×8, first 2 shown]
	ds_load_2addr_b32 v[8:9], v10 offset0:128 offset1:160
	ds_load_b128 v[12:15], v85 offset:10048
	s_wait_dscnt 0x0
	v_dual_lshrrev_b32 v23, 16, v12 :: v_dual_lshrrev_b32 v32, 16, v13
	v_dual_lshrrev_b32 v33, 16, v14 :: v_dual_lshrrev_b32 v34, 16, v15
	v_and_b32_e32 v12, 0xffff, v12
	v_and_b32_e32 v13, 0xffff, v13
	;; [unrolled: 1-line block ×4, first 2 shown]
	v_mul_u32_u24_e32 v23, 0x10001, v23
	v_mul_u32_u24_e32 v12, 0x10001, v12
	;; [unrolled: 1-line block ×6, first 2 shown]
	v_pk_fma_f16 v11, v8, v12, v11
	v_pk_fma_f16 v19, v8, v13, v19
	;; [unrolled: 1-line block ×4, first 2 shown]
	ds_load_b128 v[12:15], v85 offset:10064
	v_mul_u32_u24_e32 v33, 0x10001, v33
	v_mul_u32_u24_e32 v34, 0x10001, v34
	v_pk_fma_f16 v18, v8, v23, v18
	v_pk_fma_f16 v22, v8, v32, v22
	s_delay_alu instid0(VALU_DEP_4) | instskip(NEXT) | instid1(VALU_DEP_4)
	v_pk_fma_f16 v16, v8, v33, v16
	v_pk_fma_f16 v8, v8, v34, v21
	s_wait_dscnt 0x0
	v_dual_lshrrev_b32 v21, 16, v12 :: v_dual_lshrrev_b32 v23, 16, v13
	v_dual_lshrrev_b32 v32, 16, v14 :: v_dual_lshrrev_b32 v33, 16, v15
	v_and_b32_e32 v12, 0xffff, v12
	v_and_b32_e32 v13, 0xffff, v13
	;; [unrolled: 1-line block ×4, first 2 shown]
	v_mul_u32_u24_e32 v21, 0x10001, v21
	v_mul_u32_u24_e32 v12, 0x10001, v12
	;; [unrolled: 1-line block ×8, first 2 shown]
	v_pk_fma_f16 v34, v9, v12, v11
	v_pk_fma_f16 v18, v9, v21, v18
	;; [unrolled: 1-line block ×8, first 2 shown]
	ds_load_2addr_b32 v[8:9], v10 offset0:192 offset1:224
	ds_load_b128 v[10:13], v85 offset:10080
	s_wait_dscnt 0x0
	v_dual_lshrrev_b32 v20, 16, v10 :: v_dual_lshrrev_b32 v22, 16, v11
	v_dual_lshrrev_b32 v23, 16, v12 :: v_dual_lshrrev_b32 v32, 16, v13
	v_and_b32_e32 v10, 0xffff, v10
	v_and_b32_e32 v11, 0xffff, v11
	;; [unrolled: 1-line block ×4, first 2 shown]
	v_mul_u32_u24_e32 v20, 0x10001, v20
	v_mul_u32_u24_e32 v10, 0x10001, v10
	;; [unrolled: 1-line block ×6, first 2 shown]
	v_pk_fma_f16 v33, v8, v10, v34
	v_pk_fma_f16 v19, v8, v11, v19
	;; [unrolled: 1-line block ×4, first 2 shown]
	ds_load_b128 v[10:13], v85 offset:10096
	v_mul_u32_u24_e32 v23, 0x10001, v23
	v_mul_u32_u24_e32 v32, 0x10001, v32
	v_pk_fma_f16 v18, v8, v20, v18
	v_pk_fma_f16 v20, v8, v22, v21
	s_delay_alu instid0(VALU_DEP_4) | instskip(NEXT) | instid1(VALU_DEP_4)
	v_pk_fma_f16 v16, v8, v23, v16
	v_pk_fma_f16 v8, v8, v32, v17
	s_wait_dscnt 0x0
	v_dual_lshrrev_b32 v17, 16, v10 :: v_dual_lshrrev_b32 v21, 16, v11
	v_and_b32_e32 v10, 0xffff, v10
	v_dual_lshrrev_b32 v22, 16, v12 :: v_dual_lshrrev_b32 v23, 16, v13
	v_and_b32_e32 v11, 0xffff, v11
	v_and_b32_e32 v12, 0xffff, v12
	s_delay_alu instid0(VALU_DEP_4)
	v_mul_u32_u24_e32 v10, 0x10001, v10
	v_and_b32_e32 v13, 0xffff, v13
	v_mul_u32_u24_e32 v17, 0x10001, v17
	v_mul_u32_u24_e32 v11, 0x10001, v11
	;; [unrolled: 1-line block ×7, first 2 shown]
	v_pk_fma_f16 v32, v9, v10, v33
	v_add_nc_u32_e32 v10, 0x1c00, v86
	v_pk_fma_f16 v17, v9, v17, v18
	v_pk_fma_f16 v11, v9, v11, v19
	v_pk_fma_f16 v18, v9, v21, v20
	v_pk_fma_f16 v19, v9, v12, v14
	v_pk_fma_f16 v16, v9, v22, v16
	v_pk_fma_f16 v20, v9, v13, v15
	v_pk_fma_f16 v21, v9, v23, v8
	ds_load_2addr_b32 v[8:9], v10 offset1:32
	ds_load_b128 v[12:15], v85 offset:10112
	s_wait_dscnt 0x0
	v_dual_lshrrev_b32 v22, 16, v12 :: v_dual_lshrrev_b32 v23, 16, v13
	v_dual_lshrrev_b32 v33, 16, v14 :: v_dual_lshrrev_b32 v34, 16, v15
	v_and_b32_e32 v12, 0xffff, v12
	v_and_b32_e32 v13, 0xffff, v13
	v_and_b32_e32 v14, 0xffff, v14
	v_and_b32_e32 v15, 0xffff, v15
	v_mul_u32_u24_e32 v22, 0x10001, v22
	v_mul_u32_u24_e32 v12, 0x10001, v12
	v_mul_u32_u24_e32 v13, 0x10001, v13
	v_mul_u32_u24_e32 v14, 0x10001, v14
	v_mul_u32_u24_e32 v15, 0x10001, v15
	v_mul_u32_u24_e32 v23, 0x10001, v23
	v_pk_fma_f16 v32, v8, v12, v32
	v_pk_fma_f16 v11, v8, v13, v11
	v_pk_fma_f16 v19, v8, v14, v19
	v_pk_fma_f16 v20, v8, v15, v20
	ds_load_b128 v[12:15], v85 offset:10128
	v_mul_u32_u24_e32 v33, 0x10001, v33
	v_mul_u32_u24_e32 v34, 0x10001, v34
	v_pk_fma_f16 v17, v8, v22, v17
	v_pk_fma_f16 v18, v8, v23, v18
	s_delay_alu instid0(VALU_DEP_4) | instskip(NEXT) | instid1(VALU_DEP_4)
	v_pk_fma_f16 v16, v8, v33, v16
	v_pk_fma_f16 v8, v8, v34, v21
	s_wait_dscnt 0x0
	v_dual_lshrrev_b32 v21, 16, v12 :: v_dual_lshrrev_b32 v22, 16, v13
	v_dual_lshrrev_b32 v23, 16, v14 :: v_dual_lshrrev_b32 v33, 16, v15
	v_and_b32_e32 v12, 0xffff, v12
	v_and_b32_e32 v13, 0xffff, v13
	v_and_b32_e32 v14, 0xffff, v14
	v_and_b32_e32 v15, 0xffff, v15
	v_mul_u32_u24_e32 v21, 0x10001, v21
	v_mul_u32_u24_e32 v12, 0x10001, v12
	v_mul_u32_u24_e32 v13, 0x10001, v13
	v_mul_u32_u24_e32 v22, 0x10001, v22
	v_mul_u32_u24_e32 v14, 0x10001, v14
	v_mul_u32_u24_e32 v23, 0x10001, v23
	v_mul_u32_u24_e32 v15, 0x10001, v15
	v_mul_u32_u24_e32 v33, 0x10001, v33
	v_pk_fma_f16 v32, v9, v12, v32
	v_pk_fma_f16 v17, v9, v21, v17
	v_pk_fma_f16 v11, v9, v13, v11
	v_pk_fma_f16 v18, v9, v22, v18
	v_pk_fma_f16 v19, v9, v14, v19
	v_pk_fma_f16 v16, v9, v23, v16
	v_pk_fma_f16 v20, v9, v15, v20
	v_pk_fma_f16 v21, v9, v33, v8
	ds_load_2addr_b32 v[8:9], v10 offset0:64 offset1:96
	ds_load_b128 v[12:15], v85 offset:10144
	s_wait_dscnt 0x0
	v_dual_lshrrev_b32 v22, 16, v12 :: v_dual_lshrrev_b32 v23, 16, v13
	v_dual_lshrrev_b32 v33, 16, v14 :: v_dual_lshrrev_b32 v34, 16, v15
	v_and_b32_e32 v12, 0xffff, v12
	v_and_b32_e32 v13, 0xffff, v13
	v_and_b32_e32 v14, 0xffff, v14
	v_and_b32_e32 v15, 0xffff, v15
	v_mul_u32_u24_e32 v22, 0x10001, v22
	v_mul_u32_u24_e32 v12, 0x10001, v12
	v_mul_u32_u24_e32 v13, 0x10001, v13
	v_mul_u32_u24_e32 v14, 0x10001, v14
	v_mul_u32_u24_e32 v15, 0x10001, v15
	v_mul_u32_u24_e32 v23, 0x10001, v23
	v_pk_fma_f16 v32, v8, v12, v32
	v_pk_fma_f16 v11, v8, v13, v11
	v_pk_fma_f16 v19, v8, v14, v19
	v_pk_fma_f16 v20, v8, v15, v20
	ds_load_b128 v[12:15], v85 offset:10160
	v_mul_u32_u24_e32 v33, 0x10001, v33
	v_mul_u32_u24_e32 v34, 0x10001, v34
	v_pk_fma_f16 v17, v8, v22, v17
	v_pk_fma_f16 v18, v8, v23, v18
	s_delay_alu instid0(VALU_DEP_4) | instskip(NEXT) | instid1(VALU_DEP_4)
	v_pk_fma_f16 v16, v8, v33, v16
	v_pk_fma_f16 v8, v8, v34, v21
	s_wait_dscnt 0x0
	v_dual_lshrrev_b32 v21, 16, v12 :: v_dual_lshrrev_b32 v22, 16, v13
	v_dual_lshrrev_b32 v23, 16, v14 :: v_dual_lshrrev_b32 v33, 16, v15
	v_and_b32_e32 v12, 0xffff, v12
	v_and_b32_e32 v13, 0xffff, v13
	v_and_b32_e32 v14, 0xffff, v14
	v_and_b32_e32 v15, 0xffff, v15
	v_mul_u32_u24_e32 v21, 0x10001, v21
	v_mul_u32_u24_e32 v12, 0x10001, v12
	v_mul_u32_u24_e32 v13, 0x10001, v13
	v_mul_u32_u24_e32 v22, 0x10001, v22
	v_mul_u32_u24_e32 v14, 0x10001, v14
	v_mul_u32_u24_e32 v23, 0x10001, v23
	v_mul_u32_u24_e32 v15, 0x10001, v15
	v_mul_u32_u24_e32 v33, 0x10001, v33
	v_pk_fma_f16 v32, v9, v12, v32
	v_pk_fma_f16 v17, v9, v21, v17
	v_pk_fma_f16 v11, v9, v13, v11
	v_pk_fma_f16 v18, v9, v22, v18
	v_pk_fma_f16 v19, v9, v14, v19
	v_pk_fma_f16 v16, v9, v23, v16
	v_pk_fma_f16 v20, v9, v15, v20
	v_pk_fma_f16 v21, v9, v33, v8
	ds_load_2addr_b32 v[8:9], v10 offset0:128 offset1:160
	;; [unrolled: 50-line block ×3, first 2 shown]
	ds_load_b128 v[10:13], v85 offset:10208
	s_wait_dscnt 0x0
	v_dual_lshrrev_b32 v20, 16, v10 :: v_dual_lshrrev_b32 v22, 16, v11
	v_dual_lshrrev_b32 v23, 16, v12 :: v_dual_lshrrev_b32 v33, 16, v13
	v_and_b32_e32 v10, 0xffff, v10
	v_and_b32_e32 v11, 0xffff, v11
	;; [unrolled: 1-line block ×4, first 2 shown]
	v_mul_u32_u24_e32 v20, 0x10001, v20
	v_mul_u32_u24_e32 v10, 0x10001, v10
	;; [unrolled: 1-line block ×5, first 2 shown]
	v_pk_fma_f16 v17, v8, v20, v17
	v_pk_fma_f16 v32, v8, v10, v32
	;; [unrolled: 1-line block ×5, first 2 shown]
	ds_load_b128 v[10:13], v85 offset:10224
	v_mul_u32_u24_e32 v22, 0x10001, v22
	v_mul_u32_u24_e32 v23, 0x10001, v23
	;; [unrolled: 1-line block ×3, first 2 shown]
	s_wait_dscnt 0x0
	s_barrier_signal -1
	v_pk_fma_f16 v18, v8, v22, v18
	v_pk_fma_f16 v16, v8, v23, v16
	;; [unrolled: 1-line block ×3, first 2 shown]
	s_barrier_wait -1
	v_dual_lshrrev_b32 v19, 16, v10 :: v_dual_lshrrev_b32 v21, 16, v11
	v_dual_lshrrev_b32 v22, 16, v12 :: v_dual_lshrrev_b32 v23, 16, v13
	v_and_b32_e32 v10, 0xffff, v10
	v_and_b32_e32 v11, 0xffff, v11
	;; [unrolled: 1-line block ×4, first 2 shown]
	v_mul_u32_u24_e32 v19, 0x10001, v19
	v_mul_u32_u24_e32 v10, 0x10001, v10
	;; [unrolled: 1-line block ×8, first 2 shown]
	v_pk_fma_f16 v109, v9, v10, v32
	v_pk_fma_f16 v108, v9, v19, v17
	;; [unrolled: 1-line block ×6, first 2 shown]
	v_mov_b64_e32 v[38:39], v[30:31]
	v_mov_b64_e32 v[22:23], v[6:7]
	;; [unrolled: 1-line block ×8, first 2 shown]
	v_pk_fma_f16 v93, v9, v12, v14
	v_pk_fma_f16 v90, v9, v13, v15
.LBB56_121:
	v_cmp_lt_i32_e32 vcc_lo, v64, v62
	s_cmp_eq_u64 s[12:13], 0
	s_cselect_b32 s2, -1, 0
	s_cmp_lg_u32 s20, 0
	v_cndmask_b32_e32 v0, v84, v64, vcc_lo
	v_cmp_lt_i32_e32 vcc_lo, v63, v62
	s_cselect_b32 s3, -1, 0
	s_delay_alu instid0(SALU_CYCLE_1)
	s_or_b32 s2, s3, s2
	v_cndmask_b32_e32 v8, v84, v63, vcc_lo
	v_cmp_lt_i32_e32 vcc_lo, v61, v62
	v_lshlrev_b32_e32 v7, 2, v0
	ds_bpermute_b32 v0, v7, v16
	ds_bpermute_b32 v1, v7, v17
	s_wait_dscnt 0x0
	v_pk_add_f32 v[0:1], v[16:17], v[0:1]
	v_cndmask_b32_e32 v16, v84, v61, vcc_lo
	ds_bpermute_b32 v2, v7, v18
	ds_bpermute_b32 v3, v7, v19
	;; [unrolled: 1-line block ×6, first 2 shown]
	v_cmp_lt_i32_e32 vcc_lo, v58, v62
	v_lshlrev_b32_e32 v15, 2, v8
	v_lshlrev_b32_e32 v16, 2, v16
	ds_bpermute_b32 v8, v15, v0
	ds_bpermute_b32 v9, v15, v1
	s_wait_dscnt 0x6
	v_pk_add_f32 v[2:3], v[18:19], v[2:3]
	s_wait_dscnt 0x4
	v_pk_add_f32 v[4:5], v[20:21], v[4:5]
	;; [unrolled: 2-line block ×3, first 2 shown]
	ds_bpermute_b32 v10, v15, v2
	ds_bpermute_b32 v11, v15, v3
	;; [unrolled: 1-line block ×6, first 2 shown]
	s_wait_dscnt 0x6
	v_pk_add_f32 v[0:1], v[0:1], v[8:9]
	ds_bpermute_b32 v8, v16, v0
	ds_bpermute_b32 v9, v16, v1
	s_wait_dscnt 0x6
	v_pk_add_f32 v[2:3], v[2:3], v[10:11]
	s_wait_dscnt 0x4
	v_pk_add_f32 v[4:5], v[4:5], v[12:13]
	;; [unrolled: 2-line block ×3, first 2 shown]
	ds_bpermute_b32 v10, v16, v2
	ds_bpermute_b32 v11, v16, v3
	;; [unrolled: 1-line block ×6, first 2 shown]
	v_cndmask_b32_e32 v16, v84, v58, vcc_lo
	s_wait_dscnt 0x6
	v_pk_add_f32 v[0:1], v[0:1], v[8:9]
	v_cmp_lt_i32_e32 vcc_lo, v59, v62
	s_delay_alu instid0(VALU_DEP_3)
	v_lshlrev_b32_e32 v16, 2, v16
	ds_bpermute_b32 v8, v16, v0
	ds_bpermute_b32 v9, v16, v1
	s_wait_dscnt 0x6
	v_pk_add_f32 v[2:3], v[2:3], v[10:11]
	s_wait_dscnt 0x4
	v_pk_add_f32 v[4:5], v[4:5], v[12:13]
	s_wait_dscnt 0x2
	v_pk_add_f32 v[6:7], v[6:7], v[14:15]
	ds_bpermute_b32 v10, v16, v2
	ds_bpermute_b32 v11, v16, v3
	;; [unrolled: 1-line block ×6, first 2 shown]
	v_cndmask_b32_e32 v16, v84, v59, vcc_lo
	s_and_b32 vcc_lo, exec_lo, s2
	s_delay_alu instid0(VALU_DEP_1)
	v_lshlrev_b32_e32 v19, 2, v16
	s_wait_dscnt 0x6
	v_pk_add_f32 v[0:1], v[0:1], v[8:9]
	ds_bpermute_b32 v8, v19, v0
	ds_bpermute_b32 v9, v19, v1
	s_wait_dscnt 0x6
	v_pk_add_f32 v[2:3], v[2:3], v[10:11]
	s_wait_dscnt 0x4
	v_pk_add_f32 v[4:5], v[4:5], v[12:13]
	;; [unrolled: 2-line block ×3, first 2 shown]
	ds_bpermute_b32 v10, v19, v2
	ds_bpermute_b32 v11, v19, v3
	;; [unrolled: 1-line block ×6, first 2 shown]
	s_wait_dscnt 0x6
	v_pk_add_f32 v[14:15], v[0:1], v[8:9]
	s_wait_dscnt 0x4
	v_pk_add_f32 v[12:13], v[2:3], v[10:11]
	;; [unrolled: 2-line block ×4, first 2 shown]
	s_cbranch_vccnz .LBB56_123
; %bb.122:
	v_dual_mov_b32 v0, s33 :: v_dual_max_num_f32 v1, v33, v33
	v_dual_max_num_f32 v4, v36, v36 :: v_dual_max_num_f32 v5, v37, v37
	v_dual_max_num_f32 v6, v38, v38 :: v_dual_max_num_f32 v17, v39, v39
	global_load_b32 v16, v0, s[12:13] scale_offset
	s_wait_xcnt 0x0
	v_dual_max_num_f32 v0, v32, v32 :: v_dual_max_num_f32 v2, v34, v34
	s_wait_loadcnt 0x0
	v_dual_max_num_f32 v3, v35, v35 :: v_dual_max_num_f32 v7, v16, v16
	s_delay_alu instid0(VALU_DEP_1) | instskip(NEXT) | instid1(VALU_DEP_2)
	v_dual_max_num_f32 v0, v0, v7 :: v_dual_max_num_f32 v1, v1, v7
	v_dual_max_num_f32 v2, v2, v7 :: v_dual_max_num_f32 v3, v3, v7
	;; [unrolled: 1-line block ×4, first 2 shown]
	s_delay_alu instid0(VALU_DEP_4)
	v_dual_sub_f32 v17, v32, v0 :: v_dual_sub_f32 v19, v33, v1
	v_dual_sub_f32 v18, v16, v0 :: v_dual_sub_f32 v20, v16, v1
	;; [unrolled: 1-line block ×8, first 2 shown]
	v_dual_mul_f32 v16, 0x3fb8aa3b, v17 :: v_dual_mul_f32 v33, 0x3fb8aa3b, v18
	v_dual_mul_f32 v34, 0x3fb8aa3b, v19 :: v_dual_mul_f32 v35, 0x3fb8aa3b, v20
	;; [unrolled: 1-line block ×4, first 2 shown]
	s_delay_alu instid0(VALU_DEP_4)
	v_fma_f32 v49, 0x3fb8aa3b, v17, -v16
	v_rndne_f32_e32 v50, v16
	v_dual_mul_f32 v36, 0x3fb8aa3b, v21 :: v_dual_mul_f32 v37, 0x3fb8aa3b, v22
	v_dual_mul_f32 v38, 0x3fb8aa3b, v23 :: v_dual_mul_f32 v39, 0x3fb8aa3b, v24
	;; [unrolled: 1-line block ×3, first 2 shown]
	v_fma_f32 v51, 0x3fb8aa3b, v18, -v33
	v_rndne_f32_e32 v52, v33
	v_fma_f32 v55, 0x3fb8aa3b, v20, -v35
	v_rndne_f32_e32 v56, v35
	;; [unrolled: 2-line block ×3, first 2 shown]
	v_rndne_f32_e32 v87, v43
	v_rndne_f32_e32 v92, v44
	v_dual_fmac_f32 v49, 0x32a5705f, v17 :: v_dual_sub_f32 v16, v16, v50
	v_fma_f32 v53, 0x3fb8aa3b, v19, -v34
	v_rndne_f32_e32 v54, v34
	v_fma_f32 v57, 0x3fb8aa3b, v21, -v36
	v_rndne_f32_e32 v61, v37
	;; [unrolled: 2-line block ×4, first 2 shown]
	v_fma_f32 v86, 0x3fb8aa3b, v27, -v43
	v_fma_f32 v88, 0x3fb8aa3b, v28, -v44
	;; [unrolled: 1-line block ×3, first 2 shown]
	v_rndne_f32_e32 v97, v46
	v_dual_fmac_f32 v51, 0x32a5705f, v18 :: v_dual_fmac_f32 v62, 0x32a5705f, v23
	v_dual_sub_f32 v33, v33, v52 :: v_dual_sub_f32 v34, v34, v54
	v_dual_fmac_f32 v55, 0x32a5705f, v20 :: v_dual_sub_f32 v38, v38, v63
	v_dual_sub_f32 v35, v35, v56 :: v_dual_fmac_f32 v84, 0x32a5705f, v26
	v_dual_sub_f32 v43, v43, v87 :: v_dual_sub_f32 v42, v42, v85
	v_sub_f32_e32 v44, v44, v92
	v_add_f32_e32 v16, v16, v49
	v_rndne_f32_e32 v58, v36
	v_fma_f32 v59, 0x3fb8aa3b, v22, -v37
	v_rndne_f32_e32 v67, v41
	v_fmac_f32_e32 v53, 0x32a5705f, v19
	v_dual_fmac_f32 v57, 0x32a5705f, v21 :: v_dual_fmac_f32 v64, 0x32a5705f, v24
	v_sub_f32_e32 v37, v37, v61
	v_dual_sub_f32 v39, v39, v65 :: v_dual_fmac_f32 v96, 0x32a5705f, v30
	v_dual_add_f32 v33, v33, v51 :: v_dual_sub_f32 v46, v46, v97
	v_dual_add_f32 v35, v35, v55 :: v_dual_add_f32 v42, v42, v84
	v_exp_f32_e32 v16, v16
	v_cvt_i32_f32_e32 v50, v50
	v_dual_mul_f32 v47, 0x3fb8aa3b, v31 :: v_dual_mul_f32 v48, 0x3fb8aa3b, v32
	v_fma_f32 v66, 0x3fb8aa3b, v25, -v41
	v_dual_sub_f32 v36, v36, v58 :: v_dual_sub_f32 v41, v41, v67
	v_dual_fmac_f32 v86, 0x32a5705f, v27 :: v_dual_add_f32 v39, v39, v64
	v_add_f32_e32 v34, v34, v53
	v_exp_f32_e32 v33, v33
	v_exp_f32_e32 v35, v35
	v_cvt_i32_f32_e32 v52, v52
	v_cvt_i32_f32_e32 v56, v56
	v_ldexp_f32 v16, v16, v50
	v_cmp_ngt_f32_e32 vcc_lo, 0xc2ce8ed0, v17
	v_fma_f32 v94, 0x3fb8aa3b, v29, -v45
	v_rndne_f32_e32 v95, v45
	v_rndne_f32_e32 v99, v47
	v_add_f32_e32 v43, v43, v86
	v_exp_f32_e32 v34, v34
	v_fma_f32 v100, 0x3fb8aa3b, v32, -v48
	v_rndne_f32_e32 v101, v48
	v_cvt_i32_f32_e32 v54, v54
	v_ldexp_f32 v33, v33, v52
	v_ldexp_f32 v35, v35, v56
	v_cndmask_b32_e32 v16, 0, v16, vcc_lo
	v_cmp_ngt_f32_e32 vcc_lo, 0xc2ce8ed0, v18
	v_fma_f32 v98, 0x3fb8aa3b, v31, -v47
	v_dual_fmac_f32 v59, 0x32a5705f, v22 :: v_dual_fmac_f32 v66, 0x32a5705f, v25
	v_dual_fmac_f32 v88, 0x32a5705f, v28 :: v_dual_sub_f32 v45, v45, v95
	v_dual_fmac_f32 v94, 0x32a5705f, v29 :: v_dual_sub_f32 v47, v47, v99
	v_add_f32_e32 v36, v36, v57
	s_delay_alu instid0(VALU_DEP_4)
	v_dual_fmac_f32 v100, 0x32a5705f, v32 :: v_dual_add_f32 v37, v37, v59
	v_dual_sub_f32 v48, v48, v101 :: v_dual_add_f32 v38, v38, v62
	v_dual_add_f32 v46, v46, v96 :: v_dual_cndmask_b32 v33, 0, v33
	v_ldexp_f32 v34, v34, v54
	v_cmp_ngt_f32_e32 vcc_lo, 0xc2ce8ed0, v19
	v_add_f32_e32 v45, v45, v94
	v_exp_f32_e32 v36, v36
	v_cvt_i32_f32_e32 v58, v58
	v_dual_add_f32 v48, v48, v100 :: v_dual_cndmask_b32 v34, 0, v34, vcc_lo
	v_cmp_ngt_f32_e32 vcc_lo, 0xc2ce8ed0, v20
	v_exp_f32_e32 v37, v37
	v_cvt_i32_f32_e32 v61, v61
	s_delay_alu instid0(TRANS32_DEP_2)
	v_ldexp_f32 v36, v36, v58
	v_exp_f32_e32 v38, v38
	v_cndmask_b32_e32 v35, 0, v35, vcc_lo
	v_cmp_ngt_f32_e32 vcc_lo, 0xc2ce8ed0, v21
	v_cvt_i32_f32_e32 v63, v63
	v_ldexp_f32 v37, v37, v61
	v_dual_fmac_f32 v98, 0x32a5705f, v31 :: v_dual_add_f32 v41, v41, v66
	v_cndmask_b32_e32 v36, 0, v36, vcc_lo
	v_cmp_ngt_f32_e32 vcc_lo, 0xc2ce8ed0, v22
	v_exp_f32_e32 v39, v39
	v_cvt_i32_f32_e32 v65, v65
	v_ldexp_f32 v38, v38, v63
	v_exp_f32_e32 v41, v41
	v_cndmask_b32_e32 v37, 0, v37, vcc_lo
	v_cmp_ngt_f32_e32 vcc_lo, 0xc2ce8ed0, v23
	v_cvt_i32_f32_e32 v67, v67
	v_ldexp_f32 v39, v39, v65
	v_exp_f32_e32 v42, v42
	v_cvt_i32_f32_e32 v85, v85
	v_cndmask_b32_e32 v38, 0, v38, vcc_lo
	v_cmp_ngt_f32_e32 vcc_lo, 0xc2ce8ed0, v24
	v_ldexp_f32 v41, v41, v67
	v_dual_add_f32 v44, v44, v88 :: v_dual_add_f32 v47, v47, v98
	v_exp_f32_e32 v43, v43
	v_cndmask_b32_e32 v39, 0, v39, vcc_lo
	v_cmp_ngt_f32_e32 vcc_lo, 0xc2ce8ed0, v25
	v_cvt_i32_f32_e32 v87, v87
	v_ldexp_f32 v42, v42, v85
	v_exp_f32_e32 v44, v44
	v_cvt_i32_f32_e32 v92, v92
	v_cndmask_b32_e32 v41, 0, v41, vcc_lo
	v_cmp_ngt_f32_e32 vcc_lo, 0xc2ce8ed0, v26
	v_ldexp_f32 v43, v43, v87
	v_exp_f32_e32 v45, v45
	v_cvt_i32_f32_e32 v95, v95
	v_ldexp_f32 v44, v44, v92
	v_cndmask_b32_e32 v42, 0, v42, vcc_lo
	v_cmp_ngt_f32_e32 vcc_lo, 0xc2ce8ed0, v27
	v_exp_f32_e32 v46, v46
	v_cvt_i32_f32_e32 v97, v97
	v_ldexp_f32 v45, v45, v95
	v_exp_f32_e32 v47, v47
	v_cndmask_b32_e32 v43, 0, v43, vcc_lo
	v_cmp_ngt_f32_e32 vcc_lo, 0xc2ce8ed0, v28
	v_cvt_i32_f32_e32 v99, v99
	v_ldexp_f32 v46, v46, v97
	v_exp_f32_e32 v48, v48
	v_cvt_i32_f32_e32 v101, v101
	v_cndmask_b32_e32 v44, 0, v44, vcc_lo
	v_cmp_ngt_f32_e32 vcc_lo, 0xc2ce8ed0, v29
	v_ldexp_f32 v47, v47, v99
	s_delay_alu instid0(TRANS32_DEP_1) | instid1(VALU_DEP_4)
	v_ldexp_f32 v48, v48, v101
	v_cndmask_b32_e32 v45, 0, v45, vcc_lo
	v_cmp_ngt_f32_e32 vcc_lo, 0xc2ce8ed0, v30
	v_cndmask_b32_e32 v46, 0, v46, vcc_lo
	v_cmp_ngt_f32_e32 vcc_lo, 0xc2ce8ed0, v31
	;; [unrolled: 2-line block ×3, first 2 shown]
	v_cndmask_b32_e32 v48, 0, v48, vcc_lo
	v_cmp_nlt_f32_e32 vcc_lo, 0x42b17218, v17
	v_cndmask_b32_e32 v16, 0x7f800000, v16, vcc_lo
	v_cmp_nlt_f32_e32 vcc_lo, 0x42b17218, v18
	;; [unrolled: 2-line block ×4, first 2 shown]
	s_delay_alu instid0(VALU_DEP_2) | instskip(SKIP_2) | instid1(VALU_DEP_2)
	v_cvt_f16_f32_e32 v33, v17
	v_cndmask_b32_e32 v19, 0x7f800000, v35, vcc_lo
	v_cmp_nlt_f32_e32 vcc_lo, 0x42b17218, v21
	v_pk_fma_f32 v[14:15], v[14:15], v[16:17], v[18:19]
	v_cndmask_b32_e32 v20, 0x7f800000, v36, vcc_lo
	v_cmp_nlt_f32_e32 vcc_lo, 0x42b17218, v22
	v_and_b32_e32 v18, 0xffff, v33
	s_delay_alu instid0(VALU_DEP_3) | instskip(SKIP_2) | instid1(VALU_DEP_4)
	v_cvt_f16_f32_e32 v34, v20
	v_cndmask_b32_e32 v22, 0x7f800000, v37, vcc_lo
	v_cmp_nlt_f32_e32 vcc_lo, 0x42b17218, v23
	v_mul_u32_u24_e32 v18, 0x10001, v18
	s_delay_alu instid0(VALU_DEP_4) | instskip(SKIP_2) | instid1(VALU_DEP_4)
	v_and_b32_e32 v19, 0xffff, v34
	v_cndmask_b32_e32 v21, 0x7f800000, v38, vcc_lo
	v_cmp_nlt_f32_e32 vcc_lo, 0x42b17218, v24
	v_pk_mul_f16 v108, v108, v18
	s_delay_alu instid0(VALU_DEP_4) | instskip(NEXT) | instid1(VALU_DEP_4)
	v_mul_u32_u24_e32 v19, 0x10001, v19
	v_cvt_f16_f32_e32 v35, v21
	v_cndmask_b32_e32 v23, 0x7f800000, v39, vcc_lo
	v_cmp_nlt_f32_e32 vcc_lo, 0x42b17218, v25
	s_delay_alu instid0(VALU_DEP_4) | instskip(NEXT) | instid1(VALU_DEP_3)
	v_pk_mul_f16 v107, v107, v19
	v_pk_fma_f32 v[12:13], v[12:13], v[20:21], v[22:23]
	v_cndmask_b32_e32 v24, 0x7f800000, v41, vcc_lo
	v_cmp_nlt_f32_e32 vcc_lo, 0x42b17218, v26
	v_and_b32_e32 v20, 0xffff, v35
	s_delay_alu instid0(VALU_DEP_3) | instskip(SKIP_2) | instid1(VALU_DEP_4)
	v_cvt_f16_f32_e32 v36, v24
	v_cndmask_b32_e32 v26, 0x7f800000, v42, vcc_lo
	v_cmp_nlt_f32_e32 vcc_lo, 0x42b17218, v27
	v_mul_u32_u24_e32 v20, 0x10001, v20
	s_delay_alu instid0(VALU_DEP_4) | instskip(SKIP_2) | instid1(VALU_DEP_4)
	v_and_b32_e32 v21, 0xffff, v36
	v_cndmask_b32_e32 v25, 0x7f800000, v43, vcc_lo
	v_cmp_nlt_f32_e32 vcc_lo, 0x42b17218, v28
	v_pk_mul_f16 v106, v106, v20
	s_delay_alu instid0(VALU_DEP_4) | instskip(NEXT) | instid1(VALU_DEP_4)
	v_mul_u32_u24_e32 v21, 0x10001, v21
	v_cvt_f16_f32_e32 v37, v25
	v_cndmask_b32_e32 v27, 0x7f800000, v44, vcc_lo
	v_cmp_nlt_f32_e32 vcc_lo, 0x42b17218, v29
	s_delay_alu instid0(VALU_DEP_4) | instskip(NEXT) | instid1(VALU_DEP_4)
	v_pk_mul_f16 v93, v93, v21
	v_and_b32_e32 v22, 0xffff, v37
	s_delay_alu instid0(VALU_DEP_4) | instskip(SKIP_2) | instid1(VALU_DEP_4)
	v_pk_fma_f32 v[10:11], v[10:11], v[24:25], v[26:27]
	v_cndmask_b32_e32 v28, 0x7f800000, v45, vcc_lo
	v_cmp_nlt_f32_e32 vcc_lo, 0x42b17218, v30
	v_mul_u32_u24_e32 v22, 0x10001, v22
	s_delay_alu instid0(VALU_DEP_3) | instskip(SKIP_2) | instid1(VALU_DEP_4)
	v_cvt_f16_f32_e32 v38, v28
	v_cndmask_b32_e32 v30, 0x7f800000, v46, vcc_lo
	v_cmp_nlt_f32_e32 vcc_lo, 0x42b17218, v31
	v_pk_mul_f16 v91, v91, v22
	s_delay_alu instid0(VALU_DEP_4) | instskip(SKIP_3) | instid1(VALU_DEP_4)
	v_and_b32_e32 v23, 0xffff, v38
	v_cndmask_b32_e32 v29, 0x7f800000, v47, vcc_lo
	v_cmp_nlt_f32_e32 vcc_lo, 0x42b17218, v32
	v_cvt_f16_f32_e32 v32, v16
	v_mul_u32_u24_e32 v23, 0x10001, v23
	s_delay_alu instid0(VALU_DEP_4) | instskip(SKIP_1) | instid1(VALU_DEP_4)
	v_cvt_f16_f32_e32 v16, v29
	v_cndmask_b32_e32 v31, 0x7f800000, v48, vcc_lo
	v_and_b32_e32 v17, 0xffff, v32
	v_mov_b64_e32 v[38:39], v[6:7]
	v_mov_b64_e32 v[36:37], v[4:5]
	v_and_b32_e32 v16, 0xffff, v16
	v_mov_b64_e32 v[34:35], v[2:3]
	v_mul_u32_u24_e32 v17, 0x10001, v17
	v_mov_b64_e32 v[32:33], v[0:1]
	v_pk_fma_f32 v[8:9], v[8:9], v[28:29], v[30:31]
	v_mul_u32_u24_e32 v16, 0x10001, v16
	v_pk_mul_f16 v90, v90, v23
	v_pk_mul_f16 v109, v109, v17
	s_delay_alu instid0(VALU_DEP_3)
	v_pk_mul_f16 v89, v89, v16
.LBB56_123:
	s_mov_b32 s2, exec_lo
	v_cmpx_gt_i32_e64 s22, v83
	s_cbranch_execz .LBB56_163
; %bb.124:
	s_load_b32 s0, s[0:1], 0xd4
	v_mov_b32_e32 v0, 1.0
	s_wait_kmcnt 0x0
	s_cmp_lg_u32 s0, 1
	s_cselect_b32 s2, -1, 0
	s_cmp_eq_u32 s0, 1
	s_cselect_b32 s3, -1, 0
	s_and_b32 vcc_lo, exec_lo, s2
	s_cbranch_vccnz .LBB56_126
; %bb.125:
	v_div_scale_f32 v0, null, v14, v14, 1.0
	s_delay_alu instid0(VALU_DEP_1) | instskip(SKIP_1) | instid1(TRANS32_DEP_1)
	v_rcp_f32_e32 v1, v0
	v_nop
	v_fma_f32 v2, -v0, v1, 1.0
	s_delay_alu instid0(VALU_DEP_1) | instskip(SKIP_1) | instid1(VALU_DEP_1)
	v_fmac_f32_e32 v1, v2, v1
	v_div_scale_f32 v2, vcc_lo, 1.0, v14, 1.0
	v_mul_f32_e32 v3, v2, v1
	s_delay_alu instid0(VALU_DEP_1) | instskip(NEXT) | instid1(VALU_DEP_1)
	v_fma_f32 v4, -v0, v3, v2
	v_fmac_f32_e32 v3, v4, v1
	s_delay_alu instid0(VALU_DEP_1) | instskip(NEXT) | instid1(VALU_DEP_1)
	v_fma_f32 v0, -v0, v3, v2
	v_div_fmas_f32 v0, v0, v1, v3
	s_delay_alu instid0(VALU_DEP_1)
	v_div_fixup_f32 v0, v0, v14, 1.0
.LBB56_126:
	s_mul_i32 s1, s34, s22
	v_mov_b32_e32 v3, 0
	s_add_co_i32 s1, s1, s42
	v_cvt_f32_f16_e32 v4, v109
	v_dual_add_nc_u32 v1, s1, v80 :: v_dual_lshrrev_b32 v5, 16, v109
	v_cmp_eq_u32_e32 vcc_lo, 0, v40
	s_delay_alu instid0(VALU_DEP_2) | instskip(NEXT) | instid1(VALU_DEP_3)
	v_mad_u32 v1, v1, s23, s33
	v_cvt_f32_f16_e32 v5, v5
	s_and_b32 s2, vcc_lo, s2
	s_delay_alu instid0(VALU_DEP_2) | instskip(NEXT) | instid1(VALU_DEP_1)
	v_mad_u32 v1, s0, v1, s20
	v_lshl_add_u32 v2, v1, 6, v60
	s_delay_alu instid0(VALU_DEP_3) | instskip(NEXT) | instid1(VALU_DEP_2)
	v_pk_mul_f32 v[4:5], v[0:1], v[4:5] op_sel_hi:[0,1]
	v_lshl_add_u64 v[2:3], v[2:3], 2, s[16:17]
	global_store_b64 v[2:3], v[4:5], off
	s_wait_xcnt 0x0
	s_and_saveexec_b32 s4, s2
	s_cbranch_execz .LBB56_128
; %bb.127:
	v_dual_mov_b32 v2, v32 :: v_dual_mov_b32 v3, v14
	global_store_b64 v1, v[2:3], s[18:19] scale_offset
.LBB56_128:
	s_wait_xcnt 0x0
	s_or_b32 exec_lo, exec_lo, s4
	v_cmp_gt_i32_e32 vcc_lo, s22, v82
	s_and_b32 exec_lo, exec_lo, vcc_lo
	s_cbranch_execz .LBB56_163
; %bb.129:
	v_cndmask_b32_e64 v1, 0, 1, s3
	v_mov_b32_e32 v0, 1.0
	s_and_not1_b32 vcc_lo, exec_lo, s3
	s_cbranch_vccnz .LBB56_131
; %bb.130:
	v_div_scale_f32 v0, null, v15, v15, 1.0
	s_delay_alu instid0(VALU_DEP_1) | instskip(SKIP_1) | instid1(TRANS32_DEP_1)
	v_rcp_f32_e32 v2, v0
	v_nop
	v_fma_f32 v3, -v0, v2, 1.0
	s_delay_alu instid0(VALU_DEP_1) | instskip(SKIP_1) | instid1(VALU_DEP_1)
	v_fmac_f32_e32 v2, v3, v2
	v_div_scale_f32 v3, vcc_lo, 1.0, v15, 1.0
	v_mul_f32_e32 v4, v3, v2
	s_delay_alu instid0(VALU_DEP_1) | instskip(NEXT) | instid1(VALU_DEP_1)
	v_fma_f32 v5, -v0, v4, v3
	v_fmac_f32_e32 v4, v5, v2
	s_delay_alu instid0(VALU_DEP_1) | instskip(NEXT) | instid1(VALU_DEP_1)
	v_fma_f32 v0, -v0, v4, v3
	v_div_fmas_f32 v0, v0, v2, v4
	s_delay_alu instid0(VALU_DEP_1)
	v_div_fixup_f32 v0, v0, v15, 1.0
.LBB56_131:
	v_dual_add_nc_u32 v2, s1, v78 :: v_dual_lshrrev_b32 v3, 16, v108
	v_mov_b32_e32 v5, 0
	v_cvt_f32_f16_e32 v6, v108
	s_delay_alu instid0(VALU_DEP_3) | instskip(NEXT) | instid1(VALU_DEP_4)
	v_mad_u32 v2, v2, s23, s33
	v_cvt_f32_f16_e32 v7, v3
	s_delay_alu instid0(VALU_DEP_1) | instskip(NEXT) | instid1(VALU_DEP_3)
	v_pk_mul_f32 v[6:7], v[0:1], v[6:7] op_sel_hi:[0,1]
	v_mad_u32 v2, s0, v2, s20
	s_delay_alu instid0(VALU_DEP_1) | instskip(NEXT) | instid1(VALU_DEP_1)
	v_lshl_add_u32 v4, v2, 6, v60
	v_lshl_add_u64 v[4:5], v[4:5], 2, s[16:17]
	global_store_b64 v[4:5], v[6:7], off
	s_wait_xcnt 0x0
	s_and_saveexec_b32 s3, s2
	s_cbranch_execz .LBB56_133
; %bb.132:
	v_mov_b32_e32 v14, v33
	global_store_b64 v2, v[14:15], s[18:19] scale_offset
.LBB56_133:
	s_wait_xcnt 0x0
	s_or_b32 exec_lo, exec_lo, s3
	v_cmp_gt_i32_e32 vcc_lo, s22, v81
	s_and_b32 exec_lo, exec_lo, vcc_lo
	s_cbranch_execz .LBB56_163
; %bb.134:
	v_cmp_ne_u32_e32 vcc_lo, 1, v1
	v_mov_b32_e32 v0, 1.0
	s_cbranch_vccnz .LBB56_136
; %bb.135:
	v_div_scale_f32 v0, null, v12, v12, 1.0
	s_delay_alu instid0(VALU_DEP_1) | instskip(SKIP_1) | instid1(TRANS32_DEP_1)
	v_rcp_f32_e32 v2, v0
	v_nop
	v_fma_f32 v3, -v0, v2, 1.0
	s_delay_alu instid0(VALU_DEP_1) | instskip(SKIP_1) | instid1(VALU_DEP_1)
	v_fmac_f32_e32 v2, v3, v2
	v_div_scale_f32 v3, vcc_lo, 1.0, v12, 1.0
	v_mul_f32_e32 v4, v3, v2
	s_delay_alu instid0(VALU_DEP_1) | instskip(NEXT) | instid1(VALU_DEP_1)
	v_fma_f32 v5, -v0, v4, v3
	v_fmac_f32_e32 v4, v5, v2
	s_delay_alu instid0(VALU_DEP_1) | instskip(NEXT) | instid1(VALU_DEP_1)
	v_fma_f32 v0, -v0, v4, v3
	v_div_fmas_f32 v0, v0, v2, v4
	s_delay_alu instid0(VALU_DEP_1)
	v_div_fixup_f32 v0, v0, v12, 1.0
.LBB56_136:
	v_dual_add_nc_u32 v2, s1, v77 :: v_dual_lshrrev_b32 v3, 16, v107
	v_mov_b32_e32 v5, 0
	v_cvt_f32_f16_e32 v6, v107
	s_delay_alu instid0(VALU_DEP_3) | instskip(NEXT) | instid1(VALU_DEP_4)
	v_mad_u32 v2, v2, s23, s33
	v_cvt_f32_f16_e32 v7, v3
	s_delay_alu instid0(VALU_DEP_1) | instskip(NEXT) | instid1(VALU_DEP_3)
	v_pk_mul_f32 v[6:7], v[0:1], v[6:7] op_sel_hi:[0,1]
	v_mad_u32 v2, s0, v2, s20
	s_delay_alu instid0(VALU_DEP_1) | instskip(NEXT) | instid1(VALU_DEP_1)
	v_lshl_add_u32 v4, v2, 6, v60
	v_lshl_add_u64 v[4:5], v[4:5], 2, s[16:17]
	global_store_b64 v[4:5], v[6:7], off
	s_wait_xcnt 0x0
	s_and_saveexec_b32 s3, s2
	s_cbranch_execz .LBB56_138
; %bb.137:
	v_dual_mov_b32 v4, v34 :: v_dual_mov_b32 v5, v12
	global_store_b64 v2, v[4:5], s[18:19] scale_offset
.LBB56_138:
	s_wait_xcnt 0x0
	s_or_b32 exec_lo, exec_lo, s3
	v_cmp_gt_i32_e32 vcc_lo, s22, v79
	s_and_b32 exec_lo, exec_lo, vcc_lo
	s_cbranch_execz .LBB56_163
; %bb.139:
	v_cmp_ne_u32_e32 vcc_lo, 1, v1
	v_mov_b32_e32 v0, 1.0
	s_cbranch_vccnz .LBB56_141
; %bb.140:
	v_div_scale_f32 v0, null, v13, v13, 1.0
	s_delay_alu instid0(VALU_DEP_1) | instskip(SKIP_1) | instid1(TRANS32_DEP_1)
	v_rcp_f32_e32 v2, v0
	v_nop
	v_fma_f32 v3, -v0, v2, 1.0
	s_delay_alu instid0(VALU_DEP_1) | instskip(SKIP_1) | instid1(VALU_DEP_1)
	v_fmac_f32_e32 v2, v3, v2
	v_div_scale_f32 v3, vcc_lo, 1.0, v13, 1.0
	v_mul_f32_e32 v4, v3, v2
	s_delay_alu instid0(VALU_DEP_1) | instskip(NEXT) | instid1(VALU_DEP_1)
	v_fma_f32 v5, -v0, v4, v3
	v_fmac_f32_e32 v4, v5, v2
	s_delay_alu instid0(VALU_DEP_1) | instskip(NEXT) | instid1(VALU_DEP_1)
	v_fma_f32 v0, -v0, v4, v3
	v_div_fmas_f32 v0, v0, v2, v4
	s_delay_alu instid0(VALU_DEP_1)
	v_div_fixup_f32 v0, v0, v13, 1.0
.LBB56_141:
	v_dual_add_nc_u32 v2, s1, v75 :: v_dual_lshrrev_b32 v3, 16, v106
	v_mov_b32_e32 v5, 0
	v_cvt_f32_f16_e32 v6, v106
	s_delay_alu instid0(VALU_DEP_3) | instskip(NEXT) | instid1(VALU_DEP_4)
	v_mad_u32 v2, v2, s23, s33
	v_cvt_f32_f16_e32 v7, v3
	s_delay_alu instid0(VALU_DEP_1) | instskip(NEXT) | instid1(VALU_DEP_3)
	v_pk_mul_f32 v[6:7], v[0:1], v[6:7] op_sel_hi:[0,1]
	v_mad_u32 v2, s0, v2, s20
	s_delay_alu instid0(VALU_DEP_1) | instskip(NEXT) | instid1(VALU_DEP_1)
	v_lshl_add_u32 v4, v2, 6, v60
	v_lshl_add_u64 v[4:5], v[4:5], 2, s[16:17]
	global_store_b64 v[4:5], v[6:7], off
	s_wait_xcnt 0x0
	s_and_saveexec_b32 s3, s2
	s_cbranch_execz .LBB56_143
; %bb.142:
	v_mov_b32_e32 v12, v35
	global_store_b64 v2, v[12:13], s[18:19] scale_offset
.LBB56_143:
	s_wait_xcnt 0x0
	s_or_b32 exec_lo, exec_lo, s3
	v_cmp_gt_i32_e32 vcc_lo, s22, v76
	s_and_b32 exec_lo, exec_lo, vcc_lo
	s_cbranch_execz .LBB56_163
; %bb.144:
	v_cmp_ne_u32_e32 vcc_lo, 1, v1
	v_mov_b32_e32 v0, 1.0
	s_cbranch_vccnz .LBB56_146
; %bb.145:
	v_div_scale_f32 v0, null, v10, v10, 1.0
	s_delay_alu instid0(VALU_DEP_1) | instskip(SKIP_1) | instid1(TRANS32_DEP_1)
	v_rcp_f32_e32 v2, v0
	v_nop
	v_fma_f32 v3, -v0, v2, 1.0
	s_delay_alu instid0(VALU_DEP_1) | instskip(SKIP_1) | instid1(VALU_DEP_1)
	v_fmac_f32_e32 v2, v3, v2
	v_div_scale_f32 v3, vcc_lo, 1.0, v10, 1.0
	v_mul_f32_e32 v4, v3, v2
	s_delay_alu instid0(VALU_DEP_1) | instskip(NEXT) | instid1(VALU_DEP_1)
	v_fma_f32 v5, -v0, v4, v3
	v_fmac_f32_e32 v4, v5, v2
	s_delay_alu instid0(VALU_DEP_1) | instskip(NEXT) | instid1(VALU_DEP_1)
	v_fma_f32 v0, -v0, v4, v3
	v_div_fmas_f32 v0, v0, v2, v4
	s_delay_alu instid0(VALU_DEP_1)
	v_div_fixup_f32 v0, v0, v10, 1.0
.LBB56_146:
	v_dual_mov_b32 v5, 0 :: v_dual_add_nc_u32 v2, s1, v73
	v_lshrrev_b32_e32 v3, 16, v93
	v_cvt_f32_f16_e32 v6, v93
	s_delay_alu instid0(VALU_DEP_3) | instskip(NEXT) | instid1(VALU_DEP_3)
	v_mad_u32 v2, v2, s23, s33
	v_cvt_f32_f16_e32 v7, v3
	s_delay_alu instid0(VALU_DEP_1) | instskip(NEXT) | instid1(VALU_DEP_3)
	v_pk_mul_f32 v[6:7], v[0:1], v[6:7] op_sel_hi:[0,1]
	v_mad_u32 v2, s0, v2, s20
	s_delay_alu instid0(VALU_DEP_1) | instskip(NEXT) | instid1(VALU_DEP_1)
	v_lshl_add_u32 v4, v2, 6, v60
	v_lshl_add_u64 v[4:5], v[4:5], 2, s[16:17]
	global_store_b64 v[4:5], v[6:7], off
	s_wait_xcnt 0x0
	s_and_saveexec_b32 s3, s2
	s_cbranch_execz .LBB56_148
; %bb.147:
	v_dual_mov_b32 v4, v36 :: v_dual_mov_b32 v5, v10
	global_store_b64 v2, v[4:5], s[18:19] scale_offset
.LBB56_148:
	s_wait_xcnt 0x0
	s_or_b32 exec_lo, exec_lo, s3
	v_cmp_gt_i32_e32 vcc_lo, s22, v74
	s_and_b32 exec_lo, exec_lo, vcc_lo
	s_cbranch_execz .LBB56_163
; %bb.149:
	v_cmp_ne_u32_e32 vcc_lo, 1, v1
	v_mov_b32_e32 v0, 1.0
	s_cbranch_vccnz .LBB56_151
; %bb.150:
	v_div_scale_f32 v0, null, v11, v11, 1.0
	s_delay_alu instid0(VALU_DEP_1) | instskip(SKIP_1) | instid1(TRANS32_DEP_1)
	v_rcp_f32_e32 v2, v0
	v_nop
	v_fma_f32 v3, -v0, v2, 1.0
	s_delay_alu instid0(VALU_DEP_1) | instskip(SKIP_1) | instid1(VALU_DEP_1)
	v_fmac_f32_e32 v2, v3, v2
	v_div_scale_f32 v3, vcc_lo, 1.0, v11, 1.0
	v_mul_f32_e32 v4, v3, v2
	s_delay_alu instid0(VALU_DEP_1) | instskip(NEXT) | instid1(VALU_DEP_1)
	v_fma_f32 v5, -v0, v4, v3
	v_fmac_f32_e32 v4, v5, v2
	s_delay_alu instid0(VALU_DEP_1) | instskip(NEXT) | instid1(VALU_DEP_1)
	v_fma_f32 v0, -v0, v4, v3
	v_div_fmas_f32 v0, v0, v2, v4
	s_delay_alu instid0(VALU_DEP_1)
	v_div_fixup_f32 v0, v0, v11, 1.0
.LBB56_151:
	v_dual_mov_b32 v5, 0 :: v_dual_add_nc_u32 v2, s1, v71
	v_lshrrev_b32_e32 v3, 16, v91
	v_cvt_f32_f16_e32 v6, v91
	s_delay_alu instid0(VALU_DEP_3) | instskip(NEXT) | instid1(VALU_DEP_3)
	v_mad_u32 v2, v2, s23, s33
	v_cvt_f32_f16_e32 v7, v3
	s_delay_alu instid0(VALU_DEP_1) | instskip(NEXT) | instid1(VALU_DEP_3)
	v_pk_mul_f32 v[6:7], v[0:1], v[6:7] op_sel_hi:[0,1]
	v_mad_u32 v2, s0, v2, s20
	s_delay_alu instid0(VALU_DEP_1) | instskip(NEXT) | instid1(VALU_DEP_1)
	v_lshl_add_u32 v4, v2, 6, v60
	v_lshl_add_u64 v[4:5], v[4:5], 2, s[16:17]
	global_store_b64 v[4:5], v[6:7], off
	s_wait_xcnt 0x0
	s_and_saveexec_b32 s3, s2
	s_cbranch_execz .LBB56_153
; %bb.152:
	v_mov_b32_e32 v10, v37
	global_store_b64 v2, v[10:11], s[18:19] scale_offset
.LBB56_153:
	s_wait_xcnt 0x0
	s_or_b32 exec_lo, exec_lo, s3
	v_cmp_gt_i32_e32 vcc_lo, s22, v72
	s_and_b32 exec_lo, exec_lo, vcc_lo
	s_cbranch_execz .LBB56_163
; %bb.154:
	v_cmp_ne_u32_e32 vcc_lo, 1, v1
	v_mov_b32_e32 v0, 1.0
	s_cbranch_vccnz .LBB56_156
; %bb.155:
	v_div_scale_f32 v0, null, v8, v8, 1.0
	s_delay_alu instid0(VALU_DEP_1) | instskip(SKIP_1) | instid1(TRANS32_DEP_1)
	v_rcp_f32_e32 v2, v0
	v_nop
	v_fma_f32 v3, -v0, v2, 1.0
	s_delay_alu instid0(VALU_DEP_1) | instskip(SKIP_1) | instid1(VALU_DEP_1)
	v_fmac_f32_e32 v2, v3, v2
	v_div_scale_f32 v3, vcc_lo, 1.0, v8, 1.0
	v_mul_f32_e32 v4, v3, v2
	s_delay_alu instid0(VALU_DEP_1) | instskip(NEXT) | instid1(VALU_DEP_1)
	v_fma_f32 v5, -v0, v4, v3
	v_fmac_f32_e32 v4, v5, v2
	s_delay_alu instid0(VALU_DEP_1) | instskip(NEXT) | instid1(VALU_DEP_1)
	v_fma_f32 v0, -v0, v4, v3
	v_div_fmas_f32 v0, v0, v2, v4
	s_delay_alu instid0(VALU_DEP_1)
	v_div_fixup_f32 v0, v0, v8, 1.0
.LBB56_156:
	v_dual_add_nc_u32 v2, s1, v69 :: v_dual_lshrrev_b32 v3, 16, v90
	v_mov_b32_e32 v5, 0
	v_cvt_f32_f16_e32 v6, v90
	s_delay_alu instid0(VALU_DEP_3) | instskip(NEXT) | instid1(VALU_DEP_4)
	v_mad_u32 v2, v2, s23, s33
	v_cvt_f32_f16_e32 v7, v3
	s_delay_alu instid0(VALU_DEP_1) | instskip(NEXT) | instid1(VALU_DEP_3)
	v_pk_mul_f32 v[6:7], v[0:1], v[6:7] op_sel_hi:[0,1]
	v_mad_u32 v2, s0, v2, s20
	s_delay_alu instid0(VALU_DEP_1) | instskip(NEXT) | instid1(VALU_DEP_1)
	v_lshl_add_u32 v4, v2, 6, v60
	v_lshl_add_u64 v[4:5], v[4:5], 2, s[16:17]
	global_store_b64 v[4:5], v[6:7], off
	s_wait_xcnt 0x0
	s_and_saveexec_b32 s3, s2
	s_cbranch_execz .LBB56_158
; %bb.157:
	v_dual_mov_b32 v4, v38 :: v_dual_mov_b32 v5, v8
	global_store_b64 v2, v[4:5], s[18:19] scale_offset
.LBB56_158:
	s_wait_xcnt 0x0
	s_or_b32 exec_lo, exec_lo, s3
	v_cmp_gt_i32_e32 vcc_lo, s22, v70
	s_and_b32 exec_lo, exec_lo, vcc_lo
	s_cbranch_execz .LBB56_163
; %bb.159:
	v_cmp_ne_u32_e32 vcc_lo, 1, v1
	v_mov_b32_e32 v0, 1.0
	s_cbranch_vccnz .LBB56_161
; %bb.160:
	v_div_scale_f32 v0, null, v9, v9, 1.0
	s_delay_alu instid0(VALU_DEP_1) | instskip(SKIP_1) | instid1(TRANS32_DEP_1)
	v_rcp_f32_e32 v1, v0
	v_nop
	v_fma_f32 v2, -v0, v1, 1.0
	s_delay_alu instid0(VALU_DEP_1) | instskip(SKIP_1) | instid1(VALU_DEP_1)
	v_fmac_f32_e32 v1, v2, v1
	v_div_scale_f32 v2, vcc_lo, 1.0, v9, 1.0
	v_mul_f32_e32 v3, v2, v1
	s_delay_alu instid0(VALU_DEP_1) | instskip(NEXT) | instid1(VALU_DEP_1)
	v_fma_f32 v4, -v0, v3, v2
	v_fmac_f32_e32 v3, v4, v1
	s_delay_alu instid0(VALU_DEP_1) | instskip(NEXT) | instid1(VALU_DEP_1)
	v_fma_f32 v0, -v0, v3, v2
	v_div_fmas_f32 v0, v0, v1, v3
	s_delay_alu instid0(VALU_DEP_1)
	v_div_fixup_f32 v0, v0, v9, 1.0
.LBB56_161:
	v_dual_add_nc_u32 v1, s1, v68 :: v_dual_lshrrev_b32 v5, 16, v89
	v_mov_b32_e32 v3, 0
	v_cvt_f32_f16_e32 v4, v89
	s_delay_alu instid0(VALU_DEP_3) | instskip(NEXT) | instid1(VALU_DEP_4)
	v_mad_u32 v1, v1, s23, s33
	v_cvt_f32_f16_e32 v5, v5
	s_delay_alu instid0(VALU_DEP_2) | instskip(NEXT) | instid1(VALU_DEP_1)
	v_mad_u32 v1, s0, v1, s20
	v_lshl_add_u32 v2, v1, 6, v60
	s_delay_alu instid0(VALU_DEP_3) | instskip(NEXT) | instid1(VALU_DEP_2)
	v_pk_mul_f32 v[4:5], v[0:1], v[4:5] op_sel_hi:[0,1]
	v_lshl_add_u64 v[2:3], v[2:3], 2, s[16:17]
	global_store_b64 v[2:3], v[4:5], off
	s_wait_xcnt 0x0
	s_and_b32 exec_lo, exec_lo, s2
	s_cbranch_execz .LBB56_163
; %bb.162:
	v_mov_b32_e32 v8, v39
	global_store_b64 v1, v[8:9], s[18:19] scale_offset
.LBB56_163:
	s_sendmsg sendmsg(MSG_DEALLOC_VGPRS)
	s_endpgm
	.section	.rodata,"a",@progbits
	.p2align	6, 0x0
	.amdhsa_kernel _ZL15flash_attn_tileILi64ELi64ELi32ELi1ELb0EEvPKcS1_S1_S1_S1_PKiPfP15HIP_vector_typeIfLj2EEffffjfiS5_IjLj3EEiiiiiiiiiiiliiliiiiil
		.amdhsa_group_segment_fixed_size 17408
		.amdhsa_private_segment_fixed_size 32
		.amdhsa_kernarg_size 464
		.amdhsa_user_sgpr_count 2
		.amdhsa_user_sgpr_dispatch_ptr 0
		.amdhsa_user_sgpr_queue_ptr 0
		.amdhsa_user_sgpr_kernarg_segment_ptr 1
		.amdhsa_user_sgpr_dispatch_id 0
		.amdhsa_user_sgpr_kernarg_preload_length 0
		.amdhsa_user_sgpr_kernarg_preload_offset 0
		.amdhsa_user_sgpr_private_segment_size 0
		.amdhsa_wavefront_size32 1
		.amdhsa_uses_dynamic_stack 0
		.amdhsa_enable_private_segment 1
		.amdhsa_system_sgpr_workgroup_id_x 1
		.amdhsa_system_sgpr_workgroup_id_y 1
		.amdhsa_system_sgpr_workgroup_id_z 1
		.amdhsa_system_sgpr_workgroup_info 0
		.amdhsa_system_vgpr_workitem_id 1
		.amdhsa_next_free_vgpr 156
		.amdhsa_next_free_sgpr 47
		.amdhsa_named_barrier_count 0
		.amdhsa_reserve_vcc 1
		.amdhsa_float_round_mode_32 0
		.amdhsa_float_round_mode_16_64 0
		.amdhsa_float_denorm_mode_32 3
		.amdhsa_float_denorm_mode_16_64 3
		.amdhsa_fp16_overflow 0
		.amdhsa_memory_ordered 1
		.amdhsa_forward_progress 1
		.amdhsa_inst_pref_size 255
		.amdhsa_round_robin_scheduling 0
		.amdhsa_exception_fp_ieee_invalid_op 0
		.amdhsa_exception_fp_denorm_src 0
		.amdhsa_exception_fp_ieee_div_zero 0
		.amdhsa_exception_fp_ieee_overflow 0
		.amdhsa_exception_fp_ieee_underflow 0
		.amdhsa_exception_fp_ieee_inexact 0
		.amdhsa_exception_int_div_zero 0
	.end_amdhsa_kernel
	.section	.text._ZL15flash_attn_tileILi64ELi64ELi32ELi1ELb0EEvPKcS1_S1_S1_S1_PKiPfP15HIP_vector_typeIfLj2EEffffjfiS5_IjLj3EEiiiiiiiiiiiliiliiiiil,"axG",@progbits,_ZL15flash_attn_tileILi64ELi64ELi32ELi1ELb0EEvPKcS1_S1_S1_S1_PKiPfP15HIP_vector_typeIfLj2EEffffjfiS5_IjLj3EEiiiiiiiiiiiliiliiiiil,comdat
.Lfunc_end56:
	.size	_ZL15flash_attn_tileILi64ELi64ELi32ELi1ELb0EEvPKcS1_S1_S1_S1_PKiPfP15HIP_vector_typeIfLj2EEffffjfiS5_IjLj3EEiiiiiiiiiiiliiliiiiil, .Lfunc_end56-_ZL15flash_attn_tileILi64ELi64ELi32ELi1ELb0EEvPKcS1_S1_S1_S1_PKiPfP15HIP_vector_typeIfLj2EEffffjfiS5_IjLj3EEiiiiiiiiiiiliiliiiiil
                                        ; -- End function
	.set _ZL15flash_attn_tileILi64ELi64ELi32ELi1ELb0EEvPKcS1_S1_S1_S1_PKiPfP15HIP_vector_typeIfLj2EEffffjfiS5_IjLj3EEiiiiiiiiiiiliiliiiiil.num_vgpr, 156
	.set _ZL15flash_attn_tileILi64ELi64ELi32ELi1ELb0EEvPKcS1_S1_S1_S1_PKiPfP15HIP_vector_typeIfLj2EEffffjfiS5_IjLj3EEiiiiiiiiiiiliiliiiiil.num_agpr, 0
	.set _ZL15flash_attn_tileILi64ELi64ELi32ELi1ELb0EEvPKcS1_S1_S1_S1_PKiPfP15HIP_vector_typeIfLj2EEffffjfiS5_IjLj3EEiiiiiiiiiiiliiliiiiil.numbered_sgpr, 47
	.set _ZL15flash_attn_tileILi64ELi64ELi32ELi1ELb0EEvPKcS1_S1_S1_S1_PKiPfP15HIP_vector_typeIfLj2EEffffjfiS5_IjLj3EEiiiiiiiiiiiliiliiiiil.num_named_barrier, 0
	.set _ZL15flash_attn_tileILi64ELi64ELi32ELi1ELb0EEvPKcS1_S1_S1_S1_PKiPfP15HIP_vector_typeIfLj2EEffffjfiS5_IjLj3EEiiiiiiiiiiiliiliiiiil.private_seg_size, 32
	.set _ZL15flash_attn_tileILi64ELi64ELi32ELi1ELb0EEvPKcS1_S1_S1_S1_PKiPfP15HIP_vector_typeIfLj2EEffffjfiS5_IjLj3EEiiiiiiiiiiiliiliiiiil.uses_vcc, 1
	.set _ZL15flash_attn_tileILi64ELi64ELi32ELi1ELb0EEvPKcS1_S1_S1_S1_PKiPfP15HIP_vector_typeIfLj2EEffffjfiS5_IjLj3EEiiiiiiiiiiiliiliiiiil.uses_flat_scratch, 1
	.set _ZL15flash_attn_tileILi64ELi64ELi32ELi1ELb0EEvPKcS1_S1_S1_S1_PKiPfP15HIP_vector_typeIfLj2EEffffjfiS5_IjLj3EEiiiiiiiiiiiliiliiiiil.has_dyn_sized_stack, 0
	.set _ZL15flash_attn_tileILi64ELi64ELi32ELi1ELb0EEvPKcS1_S1_S1_S1_PKiPfP15HIP_vector_typeIfLj2EEffffjfiS5_IjLj3EEiiiiiiiiiiiliiliiiiil.has_recursion, 0
	.set _ZL15flash_attn_tileILi64ELi64ELi32ELi1ELb0EEvPKcS1_S1_S1_S1_PKiPfP15HIP_vector_typeIfLj2EEffffjfiS5_IjLj3EEiiiiiiiiiiiliiliiiiil.has_indirect_call, 0
	.section	.AMDGPU.csdata,"",@progbits
; Kernel info:
; codeLenInByte = 50088
; TotalNumSgprs: 49
; NumVgprs: 156
; ScratchSize: 32
; MemoryBound: 0
; FloatMode: 240
; IeeeMode: 1
; LDSByteSize: 17408 bytes/workgroup (compile time only)
; SGPRBlocks: 0
; VGPRBlocks: 9
; NumSGPRsForWavesPerEU: 49
; NumVGPRsForWavesPerEU: 156
; NamedBarCnt: 0
; Occupancy: 6
; WaveLimiterHint : 0
; COMPUTE_PGM_RSRC2:SCRATCH_EN: 1
; COMPUTE_PGM_RSRC2:USER_SGPR: 2
; COMPUTE_PGM_RSRC2:TRAP_HANDLER: 0
; COMPUTE_PGM_RSRC2:TGID_X_EN: 1
; COMPUTE_PGM_RSRC2:TGID_Y_EN: 1
; COMPUTE_PGM_RSRC2:TGID_Z_EN: 1
; COMPUTE_PGM_RSRC2:TIDIG_COMP_CNT: 1
	.section	.text._ZL33flash_attn_stream_k_fixup_uniformILi64ELi32ELi1EEvPfPK15HIP_vector_typeIfLj2EEiiiiiiS1_IjLj3EES5_S5_,"axG",@progbits,_ZL33flash_attn_stream_k_fixup_uniformILi64ELi32ELi1EEvPfPK15HIP_vector_typeIfLj2EEiiiiiiS1_IjLj3EES5_S5_,comdat
	.globl	_ZL33flash_attn_stream_k_fixup_uniformILi64ELi32ELi1EEvPfPK15HIP_vector_typeIfLj2EEiiiiiiS1_IjLj3EES5_S5_ ; -- Begin function _ZL33flash_attn_stream_k_fixup_uniformILi64ELi32ELi1EEvPfPK15HIP_vector_typeIfLj2EEiiiiiiS1_IjLj3EES5_S5_
	.p2align	8
	.type	_ZL33flash_attn_stream_k_fixup_uniformILi64ELi32ELi1EEvPfPK15HIP_vector_typeIfLj2EEiiiiiiS1_IjLj3EES5_S5_,@function
_ZL33flash_attn_stream_k_fixup_uniformILi64ELi32ELi1EEvPfPK15HIP_vector_typeIfLj2EEiiiiiiS1_IjLj3EES5_S5_: ; @_ZL33flash_attn_stream_k_fixup_uniformILi64ELi32ELi1EEvPfPK15HIP_vector_typeIfLj2EEiiiiiiS1_IjLj3EES5_S5_
; %bb.0:
	s_load_b256 s[4:11], s[0:1], 0x1c
	s_bfe_u32 s2, ttmp6, 0x40014
	s_lshr_b32 s3, ttmp7, 16
	s_add_co_i32 s2, s2, 1
	s_bfe_u32 s13, ttmp6, 0x40010
	s_mul_i32 s2, s3, s2
	s_bfe_u32 s12, ttmp6, 0x40008
	s_and_b32 s14, ttmp7, 0xffff
	s_add_co_i32 s13, s13, 1
	s_bfe_u32 s15, ttmp6, 0x4000c
	s_add_co_i32 s2, s12, s2
	s_mul_i32 s12, s14, s13
	s_bfe_u32 s13, ttmp6, 0x40004
	s_add_co_i32 s15, s15, 1
	s_add_co_i32 s13, s13, s12
	s_and_b32 s12, ttmp6, 15
	s_mul_i32 s15, ttmp9, s15
	s_getreg_b32 s20, hwreg(HW_REG_IB_STS2, 6, 4)
	s_add_co_i32 s12, s12, s15
	s_load_b128 s[16:19], s[0:1], 0x3c
	s_cmp_eq_u32 s20, 0
	s_cselect_b32 s12, ttmp9, s12
	s_cselect_b32 s13, s14, s13
	s_wait_kmcnt 0x0
	s_mul_hi_u32 s7, s7, s12
	s_cselect_b32 s14, s3, s2
	s_add_co_i32 s2, s12, s7
	s_delay_alu instid0(SALU_CYCLE_1) | instskip(NEXT) | instid1(SALU_CYCLE_1)
	s_lshr_b32 s7, s2, s8
	s_mul_i32 s2, s7, s9
	s_delay_alu instid0(SALU_CYCLE_1) | instskip(NEXT) | instid1(SALU_CYCLE_1)
	s_sub_co_i32 s8, s12, s2
	s_mul_hi_u32 s2, s8, s10
	s_delay_alu instid0(SALU_CYCLE_1) | instskip(SKIP_2) | instid1(SALU_CYCLE_1)
	s_add_co_i32 s9, s8, s2
	s_load_b64 s[2:3], s[0:1], 0x10
	s_lshr_b32 s15, s9, s11
	s_mul_i32 s9, s15, s16
	s_delay_alu instid0(SALU_CYCLE_1) | instskip(NEXT) | instid1(SALU_CYCLE_1)
	s_sub_co_i32 s8, s8, s9
	s_mul_hi_u32 s9, s8, s17
	s_delay_alu instid0(SALU_CYCLE_1) | instskip(NEXT) | instid1(SALU_CYCLE_1)
	s_add_co_i32 s9, s8, s9
	s_lshr_b32 s16, s9, s18
	s_delay_alu instid0(SALU_CYCLE_1) | instskip(NEXT) | instid1(SALU_CYCLE_1)
	s_mul_i32 s9, s16, s19
	s_sub_co_i32 s17, s8, s9
	s_delay_alu instid0(SALU_CYCLE_1) | instskip(NEXT) | instid1(SALU_CYCLE_1)
	s_lshl_b32 s8, s17, 5
	s_add_co_i32 s8, s8, s13
	s_wait_kmcnt 0x0
	s_cmp_lt_i32 s8, s2
	s_cselect_b32 s8, -1, 0
	s_add_co_i32 s9, s16, s14
	s_delay_alu instid0(SALU_CYCLE_1) | instskip(SKIP_1) | instid1(SALU_CYCLE_1)
	s_cmp_lt_i32 s9, s5
	s_cselect_b32 s9, -1, 0
	s_and_b32 s8, s8, s9
	s_delay_alu instid0(SALU_CYCLE_1)
	s_and_not1_b32 vcc_lo, exec_lo, s8
	s_cbranch_vccnz .LBB57_6
; %bb.1:
	s_mul_i32 s2, s7, s2
	s_load_b128 s[8:11], s[0:1], 0x0
	s_wait_xcnt 0x0
	s_add_co_i32 s0, s2, s13
	s_mul_i32 s15, s15, s5
	s_mul_i32 s0, s0, s3
	;; [unrolled: 1-line block ×3, first 2 shown]
	s_add_co_i32 s0, s0, s14
	s_lshl_b32 s1, s1, 11
	s_add_co_i32 s0, s0, s15
	s_mul_i32 s7, s6, s12
	s_add_co_i32 s0, s0, s16
	s_add_co_i32 s5, s7, s6
	s_lshl_b32 s0, s0, 6
	s_add_co_i32 s13, s13, s14
	s_add_co_i32 s1, s1, s0
	s_lshl_b32 s0, s5, 5
	v_or_b32_e32 v4, s1, v0
	s_add_co_i32 s0, s13, s0
	s_add_co_i32 s2, s5, -2
	s_sub_co_i32 s0, s0, 32
	s_delay_alu instid0(SALU_CYCLE_1)
	s_ashr_i32 s1, s0, 31
	s_wait_kmcnt 0x0
	global_load_b32 v3, v4, s[8:9] scale_offset
	s_lshl_b64 s[0:1], s[0:1], 3
	v_ashrrev_i32_e32 v5, 31, v4
	s_add_nc_u64 s[0:1], s[10:11], s[0:1]
	s_cmp_lt_i32 s2, s7
	s_load_b32 s14, s[0:1], 0x4
	s_cbranch_scc1 .LBB57_4
; %bb.2:
	s_wait_xcnt 0x0
	s_load_b32 s0, s[0:1], 0x0
	s_add_co_i32 s12, s12, 1
	s_lshl_b32 s3, s13, 6
	s_wait_xcnt 0x0
	s_mul_i32 s1, s6, s12
	s_lshl_b32 s2, s4, 7
	s_lshl_b32 s6, s1, 11
	;; [unrolled: 1-line block ×3, first 2 shown]
	s_add_co_i32 s6, s3, s6
	s_ashr_i32 s3, s2, 31
	s_wait_kmcnt 0x0
	v_dual_mov_b32 v2, s14 :: v_dual_bitop2_b32 v0, s6, v0 bitop3:0x54
	s_add_co_i32 s1, s13, s1
	s_lshl_b32 s4, s4, 5
	s_lshl_b64 s[2:3], s[2:3], 2
	s_delay_alu instid0(VALU_DEP_1)
	v_add_nc_u32_e32 v0, 0xfffff000, v0
	s_add_co_i32 s4, s1, s4
	s_add_nc_u64 s[2:3], s[10:11], s[2:3]
	s_add_co_i32 s1, s5, -1
	s_sub_co_i32 s4, s4, 64
.LBB57_3:                               ; =>This Inner Loop Header: Depth=1
	global_load_b32 v7, v0, s[2:3] scale_offset
	s_ashr_i32 s5, s4, 31
	v_max_num_f32_e64 v1, s0, s0
	s_lshl_b64 s[12:13], s[4:5], 3
	s_delay_alu instid0(SALU_CYCLE_1) | instskip(SKIP_1) | instid1(VALU_DEP_1)
	s_add_nc_u64 s[12:13], s[10:11], s[12:13]
	s_load_b64 s[12:13], s[12:13], 0x0
	v_readfirstlane_b32 s5, v1
	v_add_nc_u32_e32 v0, 0xfffff800, v0
	s_wait_kmcnt 0x0
	v_max_num_f32_e64 v1, s12, s12
	s_delay_alu instid0(VALU_DEP_1) | instskip(SKIP_1) | instid1(SALU_CYCLE_3)
	v_readfirstlane_b32 s6, v1
	s_max_num_f32 s5, s5, s6
	s_sub_f32 s0, s0, s5
	s_sub_f32 s6, s12, s5
	s_delay_alu instid0(SALU_CYCLE_2) | instskip(NEXT) | instid1(SALU_CYCLE_2)
	s_mul_f32 s12, s0, 0x3fb8aa3b
	s_mul_f32 s14, s6, 0x3fb8aa3b
	s_delay_alu instid0(SALU_CYCLE_2)
	s_xor_b32 s15, s12, 0x80000000
	s_rndne_f32 s16, s12
	s_fmamk_f32 s15, s0, 0x3fb8aa3b, s15
	s_cmp_nlt_f32 s0, 0xc2ce8ed0
	s_rndne_f32 s17, s14
	s_sub_f32 s12, s12, s16
	s_fmamk_f32 s15, s0, 0x32a5705f, s15
	s_cselect_b32 vcc_lo, -1, 0
	s_cmp_ngt_f32 s0, 0x42b17218
	s_delay_alu instid0(SALU_CYCLE_1) | instskip(SKIP_2) | instid1(SALU_CYCLE_1)
	s_add_f32 s12, s12, s15
	s_cvt_i32_f32 s15, s16
	s_sub_f32 s16, s14, s17
	v_s_exp_f32 s12, s12
	v_nop
	s_delay_alu instid0(TRANS32_DEP_1) | instskip(SKIP_1) | instid1(VALU_DEP_1)
	v_ldexp_f32 v1, s12, s15
	s_cvt_i32_f32 s12, s17
	v_cndmask_b32_e32 v1, 0, v1, vcc_lo
	s_cselect_b32 vcc_lo, -1, 0
	s_cmp_ge_f32 s0, 0xc1a00000
	s_delay_alu instid0(VALU_DEP_1)
	v_cndmask_b32_e32 v1, 0x7f800000, v1, vcc_lo
	s_cselect_b32 vcc_lo, -1, 0
	s_xor_b32 s0, s14, 0x80000000
	s_cmp_nlt_f32 s6, 0xc2ce8ed0
	s_fmamk_f32 s0, s6, 0x3fb8aa3b, s0
	v_cndmask_b32_e32 v10, 0, v1, vcc_lo
	s_delay_alu instid0(SALU_CYCLE_2) | instskip(NEXT) | instid1(SALU_CYCLE_3)
	s_fmamk_f32 s0, s6, 0x32a5705f, s0
	s_add_f32 s0, s16, s0
	s_delay_alu instid0(SALU_CYCLE_3) | instskip(SKIP_1) | instid1(TRANS32_DEP_1)
	v_s_exp_f32 s0, s0
	v_nop
	v_ldexp_f32 v6, s0, s12
	s_cselect_b32 s0, -1, 0
	s_cmp_ngt_f32 s6, 0x42b17218
	s_delay_alu instid0(VALU_DEP_1) | instskip(SKIP_2) | instid1(VALU_DEP_1)
	v_cndmask_b32_e64 v6, 0, v6, s0
	s_cselect_b32 s0, -1, 0
	s_cmp_ge_f32 s6, 0xc1a00000
	v_cndmask_b32_e64 v8, 0x7f800000, v6, s0
	s_cselect_b32 s0, -1, 0
	v_mov_b32_e32 v6, s13
	s_add_co_i32 s1, s1, -1
	s_sub_co_i32 s4, s4, 32
	v_cndmask_b32_e64 v8, 0, v8, s0
	s_cmp_le_i32 s1, s7
	s_mov_b32 s0, s5
	s_wait_loadcnt 0x0
	s_delay_alu instid0(VALU_DEP_1) | instskip(NEXT) | instid1(VALU_DEP_1)
	v_pk_mul_f32 v[6:7], v[6:7], v[8:9] op_sel_hi:[1,0]
	v_pk_fma_f32 v[2:3], v[2:3], v[10:11], v[6:7] op_sel_hi:[1,0,1]
	s_cbranch_scc0 .LBB57_3
	s_branch .LBB57_5
.LBB57_4:
	s_wait_kmcnt 0x0
	v_mov_b32_e32 v2, s14
.LBB57_5:
	v_lshl_add_u64 v[0:1], v[4:5], 2, s[8:9]
	s_wait_loadcnt 0x0
	s_delay_alu instid0(VALU_DEP_2) | instskip(NEXT) | instid1(VALU_DEP_1)
	v_div_scale_f32 v4, null, v2, v2, v3
	v_rcp_f32_e32 v5, v4
	v_nop
	s_delay_alu instid0(TRANS32_DEP_1) | instskip(NEXT) | instid1(VALU_DEP_1)
	v_fma_f32 v6, -v4, v5, 1.0
	v_fmac_f32_e32 v5, v6, v5
	v_div_scale_f32 v6, vcc_lo, v3, v2, v3
	s_delay_alu instid0(VALU_DEP_1) | instskip(NEXT) | instid1(VALU_DEP_1)
	v_mul_f32_e32 v7, v6, v5
	v_fma_f32 v8, -v4, v7, v6
	s_delay_alu instid0(VALU_DEP_1) | instskip(NEXT) | instid1(VALU_DEP_1)
	v_fmac_f32_e32 v7, v8, v5
	v_fma_f32 v4, -v4, v7, v6
	s_delay_alu instid0(VALU_DEP_1) | instskip(NEXT) | instid1(VALU_DEP_1)
	v_div_fmas_f32 v4, v4, v5, v7
	v_div_fixup_f32 v2, v4, v2, v3
	global_store_b32 v[0:1], v2, off
.LBB57_6:
	s_endpgm
	.section	.rodata,"a",@progbits
	.p2align	6, 0x0
	.amdhsa_kernel _ZL33flash_attn_stream_k_fixup_uniformILi64ELi32ELi1EEvPfPK15HIP_vector_typeIfLj2EEiiiiiiS1_IjLj3EES5_S5_
		.amdhsa_group_segment_fixed_size 0
		.amdhsa_private_segment_fixed_size 0
		.amdhsa_kernarg_size 76
		.amdhsa_user_sgpr_count 2
		.amdhsa_user_sgpr_dispatch_ptr 0
		.amdhsa_user_sgpr_queue_ptr 0
		.amdhsa_user_sgpr_kernarg_segment_ptr 1
		.amdhsa_user_sgpr_dispatch_id 0
		.amdhsa_user_sgpr_kernarg_preload_length 0
		.amdhsa_user_sgpr_kernarg_preload_offset 0
		.amdhsa_user_sgpr_private_segment_size 0
		.amdhsa_wavefront_size32 1
		.amdhsa_uses_dynamic_stack 0
		.amdhsa_enable_private_segment 0
		.amdhsa_system_sgpr_workgroup_id_x 1
		.amdhsa_system_sgpr_workgroup_id_y 1
		.amdhsa_system_sgpr_workgroup_id_z 1
		.amdhsa_system_sgpr_workgroup_info 0
		.amdhsa_system_vgpr_workitem_id 0
		.amdhsa_next_free_vgpr 12
		.amdhsa_next_free_sgpr 21
		.amdhsa_named_barrier_count 0
		.amdhsa_reserve_vcc 1
		.amdhsa_float_round_mode_32 0
		.amdhsa_float_round_mode_16_64 0
		.amdhsa_float_denorm_mode_32 3
		.amdhsa_float_denorm_mode_16_64 3
		.amdhsa_fp16_overflow 0
		.amdhsa_memory_ordered 1
		.amdhsa_forward_progress 1
		.amdhsa_inst_pref_size 9
		.amdhsa_round_robin_scheduling 0
		.amdhsa_exception_fp_ieee_invalid_op 0
		.amdhsa_exception_fp_denorm_src 0
		.amdhsa_exception_fp_ieee_div_zero 0
		.amdhsa_exception_fp_ieee_overflow 0
		.amdhsa_exception_fp_ieee_underflow 0
		.amdhsa_exception_fp_ieee_inexact 0
		.amdhsa_exception_int_div_zero 0
	.end_amdhsa_kernel
	.section	.text._ZL33flash_attn_stream_k_fixup_uniformILi64ELi32ELi1EEvPfPK15HIP_vector_typeIfLj2EEiiiiiiS1_IjLj3EES5_S5_,"axG",@progbits,_ZL33flash_attn_stream_k_fixup_uniformILi64ELi32ELi1EEvPfPK15HIP_vector_typeIfLj2EEiiiiiiS1_IjLj3EES5_S5_,comdat
.Lfunc_end57:
	.size	_ZL33flash_attn_stream_k_fixup_uniformILi64ELi32ELi1EEvPfPK15HIP_vector_typeIfLj2EEiiiiiiS1_IjLj3EES5_S5_, .Lfunc_end57-_ZL33flash_attn_stream_k_fixup_uniformILi64ELi32ELi1EEvPfPK15HIP_vector_typeIfLj2EEiiiiiiS1_IjLj3EES5_S5_
                                        ; -- End function
	.set _ZL33flash_attn_stream_k_fixup_uniformILi64ELi32ELi1EEvPfPK15HIP_vector_typeIfLj2EEiiiiiiS1_IjLj3EES5_S5_.num_vgpr, 12
	.set _ZL33flash_attn_stream_k_fixup_uniformILi64ELi32ELi1EEvPfPK15HIP_vector_typeIfLj2EEiiiiiiS1_IjLj3EES5_S5_.num_agpr, 0
	.set _ZL33flash_attn_stream_k_fixup_uniformILi64ELi32ELi1EEvPfPK15HIP_vector_typeIfLj2EEiiiiiiS1_IjLj3EES5_S5_.numbered_sgpr, 21
	.set _ZL33flash_attn_stream_k_fixup_uniformILi64ELi32ELi1EEvPfPK15HIP_vector_typeIfLj2EEiiiiiiS1_IjLj3EES5_S5_.num_named_barrier, 0
	.set _ZL33flash_attn_stream_k_fixup_uniformILi64ELi32ELi1EEvPfPK15HIP_vector_typeIfLj2EEiiiiiiS1_IjLj3EES5_S5_.private_seg_size, 0
	.set _ZL33flash_attn_stream_k_fixup_uniformILi64ELi32ELi1EEvPfPK15HIP_vector_typeIfLj2EEiiiiiiS1_IjLj3EES5_S5_.uses_vcc, 1
	.set _ZL33flash_attn_stream_k_fixup_uniformILi64ELi32ELi1EEvPfPK15HIP_vector_typeIfLj2EEiiiiiiS1_IjLj3EES5_S5_.uses_flat_scratch, 0
	.set _ZL33flash_attn_stream_k_fixup_uniformILi64ELi32ELi1EEvPfPK15HIP_vector_typeIfLj2EEiiiiiiS1_IjLj3EES5_S5_.has_dyn_sized_stack, 0
	.set _ZL33flash_attn_stream_k_fixup_uniformILi64ELi32ELi1EEvPfPK15HIP_vector_typeIfLj2EEiiiiiiS1_IjLj3EES5_S5_.has_recursion, 0
	.set _ZL33flash_attn_stream_k_fixup_uniformILi64ELi32ELi1EEvPfPK15HIP_vector_typeIfLj2EEiiiiiiS1_IjLj3EES5_S5_.has_indirect_call, 0
	.section	.AMDGPU.csdata,"",@progbits
; Kernel info:
; codeLenInByte = 1080
; TotalNumSgprs: 23
; NumVgprs: 12
; ScratchSize: 0
; MemoryBound: 0
; FloatMode: 240
; IeeeMode: 1
; LDSByteSize: 0 bytes/workgroup (compile time only)
; SGPRBlocks: 0
; VGPRBlocks: 0
; NumSGPRsForWavesPerEU: 23
; NumVGPRsForWavesPerEU: 12
; NamedBarCnt: 0
; Occupancy: 16
; WaveLimiterHint : 0
; COMPUTE_PGM_RSRC2:SCRATCH_EN: 0
; COMPUTE_PGM_RSRC2:USER_SGPR: 2
; COMPUTE_PGM_RSRC2:TRAP_HANDLER: 0
; COMPUTE_PGM_RSRC2:TGID_X_EN: 1
; COMPUTE_PGM_RSRC2:TGID_Y_EN: 1
; COMPUTE_PGM_RSRC2:TGID_Z_EN: 1
; COMPUTE_PGM_RSRC2:TIDIG_COMP_CNT: 0
	.section	.text._ZL33flash_attn_stream_k_fixup_generalILi64ELi32ELi1EEvPfPK15HIP_vector_typeIfLj2EEiiiiS1_IjLj3EES5_S5_S5_,"axG",@progbits,_ZL33flash_attn_stream_k_fixup_generalILi64ELi32ELi1EEvPfPK15HIP_vector_typeIfLj2EEiiiiS1_IjLj3EES5_S5_S5_,comdat
	.globl	_ZL33flash_attn_stream_k_fixup_generalILi64ELi32ELi1EEvPfPK15HIP_vector_typeIfLj2EEiiiiS1_IjLj3EES5_S5_S5_ ; -- Begin function _ZL33flash_attn_stream_k_fixup_generalILi64ELi32ELi1EEvPfPK15HIP_vector_typeIfLj2EEiiiiS1_IjLj3EES5_S5_S5_
	.p2align	8
	.type	_ZL33flash_attn_stream_k_fixup_generalILi64ELi32ELi1EEvPfPK15HIP_vector_typeIfLj2EEiiiiS1_IjLj3EES5_S5_S5_,@function
_ZL33flash_attn_stream_k_fixup_generalILi64ELi32ELi1EEvPfPK15HIP_vector_typeIfLj2EEiiiiS1_IjLj3EES5_S5_S5_: ; @_ZL33flash_attn_stream_k_fixup_generalILi64ELi32ELi1EEvPfPK15HIP_vector_typeIfLj2EEiiiiS1_IjLj3EES5_S5_S5_
; %bb.0:
	s_clause 0x1
	s_load_b128 s[4:7], s[0:1], 0x10
	s_load_b32 s16, s[0:1], 0x50
	s_bfe_u32 s2, ttmp6, 0x4000c
	s_and_b32 s3, ttmp6, 15
	s_add_co_i32 s2, s2, 1
	s_getreg_b32 s15, hwreg(HW_REG_IB_STS2, 6, 4)
	s_mul_i32 s2, ttmp9, s2
	s_mov_b32 s17, 0
	s_add_co_i32 s3, s3, s2
	s_cmp_eq_u32 s15, 0
	s_cselect_b32 s2, ttmp9, s3
	s_delay_alu instid0(SALU_CYCLE_1) | instskip(SKIP_3) | instid1(SALU_CYCLE_1)
	s_ashr_i32 s3, s2, 31
	s_wait_kmcnt 0x0
	s_ashr_i32 s19, s7, 31
	s_mov_b32 s18, s7
	s_mul_u64 s[8:9], s[18:19], s[2:3]
	s_delay_alu instid0(SALU_CYCLE_1) | instskip(NEXT) | instid1(SALU_CYCLE_1)
	s_and_b64 s[10:11], s[8:9], 0xffffffff00000000
	s_cmp_lg_u64 s[10:11], 0
	s_cbranch_scc0 .LBB58_21
; %bb.1:
	s_add_nc_u64 s[10:11], s[16:17], 0
	s_mov_b32 s23, s17
	s_xor_b64 s[10:11], s[10:11], 0
	s_mov_b32 s27, s17
	s_cvt_f32_u32 s3, s10
	s_cvt_f32_u32 s7, s11
	s_sub_nc_u64 s[20:21], 0, s[10:11]
	s_delay_alu instid0(SALU_CYCLE_2) | instskip(NEXT) | instid1(SALU_CYCLE_3)
	s_fmamk_f32 s3, s7, 0x4f800000, s3
	v_s_rcp_f32 s3, s3
	s_delay_alu instid0(TRANS32_DEP_1) | instskip(NEXT) | instid1(SALU_CYCLE_3)
	s_mul_f32 s3, s3, 0x5f7ffffc
	s_mul_f32 s7, s3, 0x2f800000
	s_delay_alu instid0(SALU_CYCLE_3) | instskip(NEXT) | instid1(SALU_CYCLE_3)
	s_trunc_f32 s7, s7
	s_fmamk_f32 s3, s7, 0xcf800000, s3
	s_cvt_u32_f32 s13, s7
	s_delay_alu instid0(SALU_CYCLE_2) | instskip(NEXT) | instid1(SALU_CYCLE_3)
	s_cvt_u32_f32 s12, s3
	s_mul_u64 s[24:25], s[20:21], s[12:13]
	s_delay_alu instid0(SALU_CYCLE_1)
	s_mul_hi_u32 s29, s12, s25
	s_mul_i32 s28, s12, s25
	s_mul_hi_u32 s22, s12, s24
	s_mul_i32 s7, s13, s24
	s_add_nc_u64 s[22:23], s[22:23], s[28:29]
	s_mul_hi_u32 s3, s13, s24
	s_mul_hi_u32 s14, s13, s25
	s_add_co_u32 s7, s22, s7
	s_add_co_ci_u32 s26, s23, s3
	s_mul_i32 s24, s13, s25
	s_add_co_ci_u32 s25, s14, 0
	s_delay_alu instid0(SALU_CYCLE_1) | instskip(SKIP_3) | instid1(SALU_CYCLE_1)
	s_add_nc_u64 s[22:23], s[26:27], s[24:25]
	s_mov_b32 s25, s17
	s_add_co_u32 s12, s12, s22
	s_cselect_b32 s3, -1, 0
	s_cmp_lg_u32 s3, 0
	s_add_co_ci_u32 s13, s13, s23
	s_mov_b32 s23, s17
	s_mul_u64 s[20:21], s[20:21], s[12:13]
	s_delay_alu instid0(SALU_CYCLE_1)
	s_mul_hi_u32 s27, s12, s21
	s_mul_i32 s26, s12, s21
	s_mul_hi_u32 s22, s12, s20
	s_mul_i32 s7, s13, s20
	s_add_nc_u64 s[22:23], s[22:23], s[26:27]
	s_mul_hi_u32 s3, s13, s20
	s_mul_hi_u32 s14, s13, s21
	s_add_co_u32 s7, s22, s7
	s_add_co_ci_u32 s24, s23, s3
	s_mul_i32 s20, s13, s21
	s_add_co_ci_u32 s21, s14, 0
	s_mov_b32 s23, s17
	s_add_nc_u64 s[20:21], s[24:25], s[20:21]
	s_delay_alu instid0(SALU_CYCLE_1) | instskip(SKIP_1) | instid1(SALU_CYCLE_1)
	s_add_co_u32 s3, s12, s20
	s_cselect_b32 s7, -1, 0
	s_cmp_lg_u32 s7, 0
	s_add_co_ci_u32 s7, s13, s21
	s_ashr_i32 s12, s9, 31
	s_delay_alu instid0(SALU_CYCLE_1) | instskip(NEXT) | instid1(SALU_CYCLE_1)
	s_mov_b32 s13, s12
	s_add_nc_u64 s[20:21], s[8:9], s[12:13]
	s_delay_alu instid0(SALU_CYCLE_1) | instskip(NEXT) | instid1(SALU_CYCLE_1)
	s_xor_b64 s[20:21], s[20:21], s[12:13]
	s_mul_hi_u32 s27, s20, s7
	s_mul_i32 s26, s20, s7
	s_mul_hi_u32 s22, s20, s3
	s_mul_hi_u32 s14, s21, s3
	s_mul_i32 s3, s21, s3
	s_add_nc_u64 s[22:23], s[22:23], s[26:27]
	s_mul_hi_u32 s9, s21, s7
	s_add_co_u32 s3, s22, s3
	s_add_co_ci_u32 s24, s23, s14
	s_mul_i32 s26, s21, s7
	s_add_co_ci_u32 s27, s9, 0
	s_delay_alu instid0(SALU_CYCLE_1) | instskip(NEXT) | instid1(SALU_CYCLE_1)
	s_add_nc_u64 s[22:23], s[24:25], s[26:27]
	s_and_b64 s[24:25], s[22:23], 0xffffffff00000000
	s_delay_alu instid0(SALU_CYCLE_1) | instskip(NEXT) | instid1(SALU_CYCLE_1)
	s_or_b32 s24, s24, s22
	s_mul_u64 s[22:23], s[10:11], s[24:25]
	s_add_nc_u64 s[26:27], s[24:25], 1
	s_sub_co_u32 s3, s20, s22
	s_cselect_b32 s7, -1, 0
	s_sub_co_i32 s9, s21, s23
	s_cmp_lg_u32 s7, 0
	s_add_nc_u64 s[28:29], s[24:25], 2
	s_sub_co_ci_u32 s9, s9, s11
	s_sub_co_u32 s14, s3, s10
	s_cselect_b32 s20, -1, 0
	s_delay_alu instid0(SALU_CYCLE_1) | instskip(SKIP_1) | instid1(SALU_CYCLE_1)
	s_cmp_lg_u32 s20, 0
	s_sub_co_ci_u32 s9, s9, 0
	s_cmp_ge_u32 s9, s11
	s_cselect_b32 s20, -1, 0
	s_cmp_ge_u32 s14, s10
	s_cselect_b32 s14, -1, 0
	s_cmp_eq_u32 s9, s11
	s_cselect_b32 s9, s14, s20
	s_delay_alu instid0(SALU_CYCLE_1) | instskip(SKIP_4) | instid1(SALU_CYCLE_1)
	s_cmp_lg_u32 s9, 0
	s_cselect_b32 s9, s28, s26
	s_cselect_b32 s14, s29, s27
	s_cmp_lg_u32 s7, 0
	s_sub_co_ci_u32 s7, s21, s23
	s_cmp_ge_u32 s7, s11
	s_cselect_b32 s20, -1, 0
	s_cmp_ge_u32 s3, s10
	s_cselect_b32 s3, -1, 0
	s_cmp_eq_u32 s7, s11
	s_cselect_b32 s3, s3, s20
	s_delay_alu instid0(SALU_CYCLE_1) | instskip(SKIP_4) | instid1(SALU_CYCLE_1)
	s_cmp_lg_u32 s3, 0
	s_mov_b32 s3, s17
	s_cselect_b32 s11, s14, s25
	s_cselect_b32 s10, s9, s24
	s_xor_b64 s[12:13], s[12:13], 0
	s_xor_b64 s[10:11], s[10:11], s[12:13]
	s_delay_alu instid0(SALU_CYCLE_1)
	s_sub_nc_u64 s[20:21], s[10:11], s[12:13]
	s_and_not1_b32 vcc_lo, exec_lo, s3
	s_cbranch_vccnz .LBB58_3
.LBB58_2:
	v_cvt_f32_u32_e32 v1, s16
	s_sub_co_i32 s7, 0, s16
	s_mov_b32 s21, 0
	s_delay_alu instid0(VALU_DEP_1) | instskip(SKIP_1) | instid1(TRANS32_DEP_1)
	v_rcp_iflag_f32_e32 v1, v1
	v_nop
	v_mul_f32_e32 v1, 0x4f7ffffe, v1
	s_delay_alu instid0(VALU_DEP_1) | instskip(NEXT) | instid1(VALU_DEP_1)
	v_cvt_u32_f32_e32 v1, v1
	v_readfirstlane_b32 s3, v1
	s_mul_i32 s7, s7, s3
	s_delay_alu instid0(SALU_CYCLE_1) | instskip(NEXT) | instid1(SALU_CYCLE_1)
	s_mul_hi_u32 s7, s3, s7
	s_add_co_i32 s3, s3, s7
	s_delay_alu instid0(SALU_CYCLE_1) | instskip(NEXT) | instid1(SALU_CYCLE_1)
	s_mul_hi_u32 s3, s8, s3
	s_mul_i32 s7, s3, s16
	s_delay_alu instid0(SALU_CYCLE_1)
	s_sub_co_i32 s7, s8, s7
	s_add_co_i32 s8, s3, 1
	s_sub_co_i32 s9, s7, s16
	s_cmp_ge_u32 s7, s16
	s_cselect_b32 s3, s8, s3
	s_cselect_b32 s7, s9, s7
	s_add_co_i32 s8, s3, 1
	s_cmp_ge_u32 s7, s16
	s_cselect_b32 s20, s8, s3
.LBB58_3:
	s_add_co_i32 s8, s2, 1
	s_delay_alu instid0(SALU_CYCLE_1) | instskip(NEXT) | instid1(SALU_CYCLE_1)
	s_ashr_i32 s9, s8, 31
	s_mul_u64 s[8:9], s[18:19], s[8:9]
	s_delay_alu instid0(SALU_CYCLE_1) | instskip(NEXT) | instid1(SALU_CYCLE_1)
	s_and_b64 s[10:11], s[8:9], 0xffffffff00000000
	s_cmp_lg_u64 s[10:11], 0
	s_cbranch_scc0 .LBB58_22
; %bb.4:
	s_add_nc_u64 s[10:11], s[16:17], 0
	s_delay_alu instid0(SALU_CYCLE_1) | instskip(SKIP_4) | instid1(SALU_CYCLE_2)
	s_xor_b64 s[12:13], s[10:11], 0
	s_mov_b32 s11, 0
	s_cvt_f32_u32 s3, s12
	s_cvt_f32_u32 s7, s13
	s_sub_nc_u64 s[24:25], 0, s[12:13]
	s_fmamk_f32 s3, s7, 0x4f800000, s3
	s_delay_alu instid0(SALU_CYCLE_3) | instskip(NEXT) | instid1(TRANS32_DEP_1)
	v_s_rcp_f32 s3, s3
	s_mul_f32 s3, s3, 0x5f7ffffc
	s_delay_alu instid0(SALU_CYCLE_3) | instskip(NEXT) | instid1(SALU_CYCLE_3)
	s_mul_f32 s7, s3, 0x2f800000
	s_trunc_f32 s7, s7
	s_delay_alu instid0(SALU_CYCLE_3) | instskip(SKIP_1) | instid1(SALU_CYCLE_2)
	s_fmamk_f32 s3, s7, 0xcf800000, s3
	s_cvt_u32_f32 s23, s7
	s_cvt_u32_f32 s22, s3
	s_delay_alu instid0(SALU_CYCLE_3) | instskip(NEXT) | instid1(SALU_CYCLE_1)
	s_mul_u64 s[26:27], s[24:25], s[22:23]
	s_mul_hi_u32 s29, s22, s27
	s_mul_i32 s28, s22, s27
	s_mul_hi_u32 s10, s22, s26
	s_mul_i32 s7, s23, s26
	s_add_nc_u64 s[28:29], s[10:11], s[28:29]
	s_mul_hi_u32 s3, s23, s26
	s_mul_hi_u32 s14, s23, s27
	s_add_co_u32 s7, s28, s7
	s_add_co_ci_u32 s10, s29, s3
	s_mul_i32 s26, s23, s27
	s_add_co_ci_u32 s27, s14, 0
	s_delay_alu instid0(SALU_CYCLE_1) | instskip(NEXT) | instid1(SALU_CYCLE_1)
	s_add_nc_u64 s[26:27], s[10:11], s[26:27]
	s_add_co_u32 s22, s22, s26
	s_cselect_b32 s3, -1, 0
	s_delay_alu instid0(SALU_CYCLE_1) | instskip(SKIP_1) | instid1(SALU_CYCLE_1)
	s_cmp_lg_u32 s3, 0
	s_add_co_ci_u32 s23, s23, s27
	s_mul_u64 s[24:25], s[24:25], s[22:23]
	s_delay_alu instid0(SALU_CYCLE_1)
	s_mul_hi_u32 s27, s22, s25
	s_mul_i32 s26, s22, s25
	s_mul_hi_u32 s10, s22, s24
	s_mul_i32 s7, s23, s24
	s_add_nc_u64 s[26:27], s[10:11], s[26:27]
	s_mul_hi_u32 s3, s23, s24
	s_mul_hi_u32 s14, s23, s25
	s_add_co_u32 s7, s26, s7
	s_add_co_ci_u32 s10, s27, s3
	s_mul_i32 s24, s23, s25
	s_add_co_ci_u32 s25, s14, 0
	s_delay_alu instid0(SALU_CYCLE_1) | instskip(NEXT) | instid1(SALU_CYCLE_1)
	s_add_nc_u64 s[24:25], s[10:11], s[24:25]
	s_add_co_u32 s3, s22, s24
	s_cselect_b32 s7, -1, 0
	s_delay_alu instid0(SALU_CYCLE_1) | instskip(SKIP_2) | instid1(SALU_CYCLE_1)
	s_cmp_lg_u32 s7, 0
	s_add_co_ci_u32 s7, s23, s25
	s_ashr_i32 s22, s9, 31
	s_mov_b32 s23, s22
	s_delay_alu instid0(SALU_CYCLE_1) | instskip(NEXT) | instid1(SALU_CYCLE_1)
	s_add_nc_u64 s[24:25], s[8:9], s[22:23]
	s_xor_b64 s[24:25], s[24:25], s[22:23]
	s_delay_alu instid0(SALU_CYCLE_1)
	s_mul_hi_u32 s27, s24, s7
	s_mul_i32 s26, s24, s7
	s_mul_hi_u32 s10, s24, s3
	s_mul_hi_u32 s14, s25, s3
	s_mul_i32 s3, s25, s3
	s_add_nc_u64 s[26:27], s[10:11], s[26:27]
	s_mul_hi_u32 s9, s25, s7
	s_add_co_u32 s3, s26, s3
	s_add_co_ci_u32 s10, s27, s14
	s_mul_i32 s28, s25, s7
	s_add_co_ci_u32 s29, s9, 0
	s_delay_alu instid0(SALU_CYCLE_1) | instskip(NEXT) | instid1(SALU_CYCLE_1)
	s_add_nc_u64 s[26:27], s[10:11], s[28:29]
	s_and_b64 s[28:29], s[26:27], 0xffffffff00000000
	s_delay_alu instid0(SALU_CYCLE_1) | instskip(NEXT) | instid1(SALU_CYCLE_1)
	s_or_b32 s28, s28, s26
	s_mul_u64 s[26:27], s[12:13], s[28:29]
	s_add_nc_u64 s[30:31], s[28:29], 1
	s_sub_co_u32 s3, s24, s26
	s_cselect_b32 s7, -1, 0
	s_sub_co_i32 s9, s25, s27
	s_cmp_lg_u32 s7, 0
	s_add_nc_u64 s[34:35], s[28:29], 2
	s_sub_co_ci_u32 s9, s9, s13
	s_sub_co_u32 s10, s3, s12
	s_cselect_b32 s14, -1, 0
	s_delay_alu instid0(SALU_CYCLE_1) | instskip(SKIP_1) | instid1(SALU_CYCLE_1)
	s_cmp_lg_u32 s14, 0
	s_sub_co_ci_u32 s9, s9, 0
	s_cmp_ge_u32 s9, s13
	s_cselect_b32 s14, -1, 0
	s_cmp_ge_u32 s10, s12
	s_cselect_b32 s10, -1, 0
	s_cmp_eq_u32 s9, s13
	s_cselect_b32 s9, s10, s14
	s_delay_alu instid0(SALU_CYCLE_1) | instskip(SKIP_4) | instid1(SALU_CYCLE_1)
	s_cmp_lg_u32 s9, 0
	s_cselect_b32 s9, s34, s30
	s_cselect_b32 s10, s35, s31
	s_cmp_lg_u32 s7, 0
	s_sub_co_ci_u32 s7, s25, s27
	s_cmp_ge_u32 s7, s13
	s_cselect_b32 s14, -1, 0
	s_cmp_ge_u32 s3, s12
	s_cselect_b32 s3, -1, 0
	s_cmp_eq_u32 s7, s13
	s_cselect_b32 s3, s3, s14
	s_delay_alu instid0(SALU_CYCLE_1) | instskip(SKIP_3) | instid1(SALU_CYCLE_1)
	s_cmp_lg_u32 s3, 0
	s_cselect_b32 s13, s10, s29
	s_cselect_b32 s12, s9, s28
	s_xor_b64 s[22:23], s[22:23], 0
	s_xor_b64 s[12:13], s[12:13], s[22:23]
	s_delay_alu instid0(SALU_CYCLE_1)
	s_sub_nc_u64 s[24:25], s[12:13], s[22:23]
	s_load_b96 s[12:14], s[0:1], 0x44
	s_cbranch_execnz .LBB58_6
.LBB58_5:
	v_cvt_f32_u32_e32 v1, s16
	s_sub_co_i32 s7, 0, s16
	s_delay_alu instid0(VALU_DEP_1) | instskip(SKIP_1) | instid1(TRANS32_DEP_1)
	v_rcp_iflag_f32_e32 v1, v1
	v_nop
	v_mul_f32_e32 v1, 0x4f7ffffe, v1
	s_delay_alu instid0(VALU_DEP_1) | instskip(NEXT) | instid1(VALU_DEP_1)
	v_cvt_u32_f32_e32 v1, v1
	v_readfirstlane_b32 s3, v1
	s_mul_i32 s7, s7, s3
	s_delay_alu instid0(SALU_CYCLE_1) | instskip(NEXT) | instid1(SALU_CYCLE_1)
	s_mul_hi_u32 s7, s3, s7
	s_add_co_i32 s3, s3, s7
	s_delay_alu instid0(SALU_CYCLE_1) | instskip(NEXT) | instid1(SALU_CYCLE_1)
	s_mul_hi_u32 s3, s8, s3
	s_mul_i32 s7, s3, s16
	s_delay_alu instid0(SALU_CYCLE_1)
	s_sub_co_i32 s7, s8, s7
	s_add_co_i32 s8, s3, 1
	s_sub_co_i32 s9, s7, s16
	s_cmp_ge_u32 s7, s16
	s_cselect_b32 s3, s8, s3
	s_cselect_b32 s7, s9, s7
	s_add_co_i32 s8, s3, 1
	s_cmp_ge_u32 s7, s16
	s_cselect_b32 s24, s8, s3
.LBB58_6:
	s_delay_alu instid0(SALU_CYCLE_1)
	s_cmp_eq_u32 s20, s24
	s_mov_b64 s[8:9], 0xffffffff
	s_cselect_b32 s3, -1, 0
	s_and_b64 s[8:9], s[20:21], s[8:9]
	s_mov_b32 s23, 0
	s_wait_kmcnt 0x0
	s_mov_b32 s22, s12
	s_mov_b32 s25, s23
	s_mul_u64 s[10:11], s[8:9], s[22:23]
	s_delay_alu instid0(SALU_CYCLE_1) | instskip(SKIP_2) | instid1(SALU_CYCLE_1)
	s_add_co_i32 s7, s11, s20
	s_mul_u64 s[10:11], s[24:25], s[22:23]
	s_lshr_b32 s12, s7, s13
	s_mul_i32 s7, s12, s14
	s_delay_alu instid0(SALU_CYCLE_1) | instskip(SKIP_2) | instid1(SALU_CYCLE_1)
	s_cmp_eq_u32 s7, s20
	s_cselect_b32 s7, -1, 0
	s_add_co_i32 s10, s11, s24
	s_lshr_b32 s10, s10, s13
	s_delay_alu instid0(SALU_CYCLE_1)
	s_cmp_eq_u32 s12, s10
	s_mul_i32 s10, s10, s14
	s_cselect_b32 s11, -1, 0
	s_cmp_lg_u32 s10, s24
	s_cselect_b32 s10, -1, 0
	s_or_b32 s3, s3, s7
	s_and_b32 s10, s11, s10
	s_delay_alu instid0(SALU_CYCLE_1) | instskip(NEXT) | instid1(SALU_CYCLE_1)
	s_or_b32 s3, s3, s10
	s_and_b32 vcc_lo, exec_lo, s3
	s_cbranch_vccnz .LBB58_24
; %bb.7:
	s_load_b256 s[24:31], s[0:1], 0x20
	s_bfe_u32 s7, ttmp6, 0x40014
	s_bfe_u32 s33, ttmp6, 0x40010
	s_lshr_b32 s3, ttmp7, 16
	s_add_co_i32 s7, s7, 1
	s_and_b32 s21, ttmp7, 0xffff
	s_add_co_i32 s33, s33, 1
	s_bfe_u32 s10, ttmp6, 0x40008
	s_mul_i32 s7, s3, s7
	s_bfe_u32 s34, ttmp6, 0x40004
	s_mul_i32 s33, s21, s33
	s_mov_b32 s11, s23
	s_add_co_i32 s7, s10, s7
	s_add_co_i32 s34, s34, s33
	s_cmp_eq_u32 s15, 0
	s_cselect_b32 s15, s21, s34
	s_cselect_b32 s3, s3, s7
	s_wait_kmcnt 0x0
	s_mov_b32 s10, s24
	s_delay_alu instid0(SALU_CYCLE_1) | instskip(SKIP_2) | instid1(SALU_CYCLE_1)
	s_mul_u64 s[8:9], s[8:9], s[10:11]
	s_load_b32 s8, s[0:1], 0x40
	s_add_co_i32 s7, s9, s20
	s_lshr_b32 s7, s7, s25
	s_delay_alu instid0(SALU_CYCLE_1) | instskip(NEXT) | instid1(SALU_CYCLE_1)
	s_mul_i32 s9, s7, s26
	s_sub_co_i32 s9, s20, s9
	s_delay_alu instid0(SALU_CYCLE_1) | instskip(NEXT) | instid1(SALU_CYCLE_1)
	s_mul_hi_u32 s10, s9, s27
	s_add_co_i32 s10, s9, s10
	s_delay_alu instid0(SALU_CYCLE_1) | instskip(NEXT) | instid1(SALU_CYCLE_1)
	s_lshr_b32 s21, s10, s28
	s_mul_i32 s10, s21, s29
	s_delay_alu instid0(SALU_CYCLE_1) | instskip(NEXT) | instid1(SALU_CYCLE_1)
	s_sub_co_i32 s10, s9, s10
	s_mul_hi_u32 s9, s10, s30
	s_delay_alu instid0(SALU_CYCLE_1) | instskip(NEXT) | instid1(SALU_CYCLE_1)
	s_add_co_i32 s9, s10, s9
	s_lshr_b32 s24, s9, s31
	s_mov_b32 s9, s23
	s_wait_kmcnt 0x0
	s_mul_i32 s8, s24, s8
	s_delay_alu instid0(SALU_CYCLE_1) | instskip(NEXT) | instid1(SALU_CYCLE_1)
	s_sub_co_i32 s8, s10, s8
	s_mul_u64 s[10:11], s[8:9], s[22:23]
	s_delay_alu instid0(SALU_CYCLE_1) | instskip(NEXT) | instid1(SALU_CYCLE_1)
	s_add_co_i32 s8, s8, s11
	s_lshr_b32 s25, s8, s13
	s_delay_alu instid0(SALU_CYCLE_1) | instskip(NEXT) | instid1(SALU_CYCLE_1)
	s_lshl_b32 s8, s25, 5
	s_add_co_i32 s8, s8, s15
	s_delay_alu instid0(SALU_CYCLE_1) | instskip(SKIP_2) | instid1(SALU_CYCLE_1)
	s_cmp_lt_i32 s8, s4
	s_cselect_b32 s8, -1, 0
	s_add_co_i32 s9, s24, s3
	s_cmp_lt_i32 s9, s6
	s_cselect_b32 s9, -1, 0
	s_delay_alu instid0(SALU_CYCLE_1) | instskip(NEXT) | instid1(SALU_CYCLE_1)
	s_and_b32 s8, s8, s9
	s_and_not1_b32 vcc_lo, exec_lo, s8
	s_cbranch_vccnz .LBB58_24
; %bb.8:
	s_mul_i32 s4, s7, s4
	s_load_b128 s[8:11], s[0:1], 0x0
	s_wait_xcnt 0x0
	s_add_co_i32 s0, s4, s15
	s_mul_i32 s21, s21, s6
	s_mul_i32 s0, s0, s5
	;; [unrolled: 1-line block ×3, first 2 shown]
	s_add_co_i32 s0, s0, s3
	s_lshl_b32 s1, s1, 11
	s_add_co_i32 s0, s0, s21
	s_add_co_i32 s15, s15, s3
	;; [unrolled: 1-line block ×3, first 2 shown]
	v_lshl_or_b32 v6, s15, 6, v0
	s_lshl_b32 s0, s0, 6
	v_cvt_f32_u32_e32 v4, s16
	s_add_co_i32 s1, s1, s0
	s_lshl_b32 s24, s16, 7
	v_or_b32_e32 v2, s1, v0
	s_add_nc_u64 s[0:1], s[16:17], 0
	v_rcp_iflag_f32_e32 v4, v4
	s_xor_b64 s[6:7], s[0:1], 0
	s_lshl_b32 s0, s2, 5
	s_cvt_f32_u32 s3, s6
	s_add_co_i32 s0, s0, s15
	s_cvt_f32_u32 s4, s7
	s_ashr_i32 s1, s0, 31
	s_mov_b32 s25, 0
	s_lshl_b64 s[0:1], s[0:1], 3
	s_fmamk_f32 s3, s4, 0x4f800000, s3
	s_wait_kmcnt 0x0
	s_add_nc_u64 s[0:1], s[10:11], s[0:1]
	s_add_co_i32 s36, s2, -1
	s_load_b64 s[28:29], s[0:1], 0x0
	v_s_rcp_f32 s3, s3
	s_wait_xcnt 0x0
	s_lshl_b64 s[0:1], s[24:25], 2
	s_sub_nc_u64 s[34:35], 0, s[6:7]
	s_add_nc_u64 s[26:27], s[10:11], s[0:1]
	v_mul_f32_e32 v4, 0x4f7ffffe, v4
	s_delay_alu instid0(TRANS32_DEP_1) | instskip(NEXT) | instid1(VALU_DEP_1)
	s_mul_f32 s3, s3, 0x5f7ffffc
	v_cvt_u32_f32_e32 v7, v4
	s_delay_alu instid0(SALU_CYCLE_2) | instskip(NEXT) | instid1(SALU_CYCLE_3)
	s_mul_f32 s4, s3, 0x2f800000
	s_trunc_f32 s4, s4
	s_wait_kmcnt 0x0
	v_mov_b32_e32 v0, s29
	global_load_b32 v1, v2, s[8:9] scale_offset
	v_ashrrev_i32_e32 v3, 31, v2
	s_fmamk_f32 s0, s4, 0xcf800000, s3
	s_cvt_u32_f32 s31, s4
	s_wait_xcnt 0x0
	s_delay_alu instid0(VALU_DEP_1)
	v_lshl_add_u64 v[2:3], v[2:3], 2, s[8:9]
	s_cvt_u32_f32 s30, s0
	s_mov_b64 s[8:9], 0xffffffff
.LBB58_9:                               ; =>This Inner Loop Header: Depth=1
	s_ashr_i32 s37, s36, 31
                                        ; implicit-def: $sgpr40_sgpr41
	s_delay_alu instid0(SALU_CYCLE_1) | instskip(NEXT) | instid1(SALU_CYCLE_1)
	s_mul_u64 s[0:1], s[36:37], s[18:19]
	s_and_b64 s[2:3], s[0:1], 0xffffffff00000000
	s_delay_alu instid0(SALU_CYCLE_1)
	s_cmp_lg_u64 s[2:3], 0
	s_mov_b32 s2, -1
	s_cbranch_scc0 .LBB58_11
; %bb.10:                               ;   in Loop: Header=BB58_9 Depth=1
	s_mul_u64 s[2:3], s[34:35], s[30:31]
	s_delay_alu instid0(SALU_CYCLE_1)
	s_mul_hi_u32 s5, s30, s3
	s_mul_i32 s4, s30, s3
	s_mul_hi_u32 s24, s30, s2
	s_mul_hi_u32 s17, s31, s2
	s_add_nc_u64 s[4:5], s[24:25], s[4:5]
	s_mul_i32 s2, s31, s2
	s_mul_hi_u32 s21, s31, s3
	s_add_co_u32 s2, s4, s2
	s_add_co_ci_u32 s24, s5, s17
	s_add_co_ci_u32 s5, s21, 0
	s_mul_i32 s4, s31, s3
	s_delay_alu instid0(SALU_CYCLE_1) | instskip(NEXT) | instid1(SALU_CYCLE_1)
	s_add_nc_u64 s[2:3], s[24:25], s[4:5]
	s_add_co_u32 s2, s30, s2
	s_cselect_b32 s4, -1, 0
	s_delay_alu instid0(SALU_CYCLE_1) | instskip(SKIP_1) | instid1(SALU_CYCLE_1)
	s_cmp_lg_u32 s4, 0
	s_add_co_ci_u32 s3, s31, s3
	s_mul_u64 s[4:5], s[34:35], s[2:3]
	s_delay_alu instid0(SALU_CYCLE_1)
	s_mul_hi_u32 s39, s2, s5
	s_mul_i32 s38, s2, s5
	s_mul_hi_u32 s24, s2, s4
	s_mul_hi_u32 s17, s3, s4
	s_mul_i32 s4, s3, s4
	s_add_nc_u64 s[38:39], s[24:25], s[38:39]
	s_mul_hi_u32 s21, s3, s5
	s_add_co_u32 s4, s38, s4
	s_add_co_ci_u32 s24, s39, s17
	s_mul_i32 s4, s3, s5
	s_add_co_ci_u32 s5, s21, 0
	s_delay_alu instid0(SALU_CYCLE_1) | instskip(NEXT) | instid1(SALU_CYCLE_1)
	s_add_nc_u64 s[4:5], s[24:25], s[4:5]
	s_add_co_u32 s17, s2, s4
	s_cselect_b32 s2, -1, 0
	s_delay_alu instid0(SALU_CYCLE_1) | instskip(SKIP_2) | instid1(SALU_CYCLE_1)
	s_cmp_lg_u32 s2, 0
	s_add_co_ci_u32 s21, s3, s5
	s_ashr_i32 s2, s1, 31
	s_mov_b32 s3, s2
	s_delay_alu instid0(SALU_CYCLE_1) | instskip(NEXT) | instid1(SALU_CYCLE_1)
	s_add_nc_u64 s[4:5], s[0:1], s[2:3]
	s_xor_b64 s[4:5], s[4:5], s[2:3]
	s_delay_alu instid0(SALU_CYCLE_1)
	s_mul_hi_u32 s39, s4, s21
	s_mul_i32 s38, s4, s21
	s_mul_hi_u32 s24, s4, s17
	s_mul_hi_u32 s29, s5, s17
	s_mul_i32 s17, s5, s17
	s_add_nc_u64 s[38:39], s[24:25], s[38:39]
	s_mul_hi_u32 s1, s5, s21
	s_add_co_u32 s17, s38, s17
	s_add_co_ci_u32 s24, s39, s29
	s_mul_i32 s40, s5, s21
	s_add_co_ci_u32 s41, s1, 0
	s_delay_alu instid0(SALU_CYCLE_1) | instskip(NEXT) | instid1(SALU_CYCLE_1)
	s_add_nc_u64 s[38:39], s[24:25], s[40:41]
	s_and_b64 s[40:41], s[38:39], 0xffffffff00000000
	s_delay_alu instid0(SALU_CYCLE_1) | instskip(NEXT) | instid1(SALU_CYCLE_1)
	s_or_b32 s40, s40, s38
	s_mul_u64 s[38:39], s[6:7], s[40:41]
	s_add_nc_u64 s[42:43], s[40:41], 1
	s_sub_co_u32 s1, s4, s38
	s_cselect_b32 s4, -1, 0
	s_sub_co_i32 s17, s5, s39
	s_cmp_lg_u32 s4, 0
	s_add_nc_u64 s[44:45], s[40:41], 2
	s_sub_co_ci_u32 s17, s17, s7
	s_sub_co_u32 s21, s1, s6
	s_cselect_b32 s24, -1, 0
	s_delay_alu instid0(SALU_CYCLE_1) | instskip(SKIP_1) | instid1(SALU_CYCLE_1)
	s_cmp_lg_u32 s24, 0
	s_sub_co_ci_u32 s17, s17, 0
	s_cmp_ge_u32 s17, s7
	s_cselect_b32 s24, -1, 0
	s_cmp_ge_u32 s21, s6
	s_cselect_b32 s21, -1, 0
	s_cmp_eq_u32 s17, s7
	s_cselect_b32 s17, s21, s24
	s_delay_alu instid0(SALU_CYCLE_1) | instskip(SKIP_4) | instid1(SALU_CYCLE_1)
	s_cmp_lg_u32 s17, 0
	s_cselect_b32 s17, s44, s42
	s_cselect_b32 s21, s45, s43
	s_cmp_lg_u32 s4, 0
	s_sub_co_ci_u32 s4, s5, s39
	s_cmp_ge_u32 s4, s7
	s_cselect_b32 s5, -1, 0
	s_cmp_ge_u32 s1, s6
	s_cselect_b32 s1, -1, 0
	s_cmp_eq_u32 s4, s7
	s_cselect_b32 s1, s1, s5
	s_delay_alu instid0(SALU_CYCLE_1) | instskip(SKIP_3) | instid1(SALU_CYCLE_1)
	s_cmp_lg_u32 s1, 0
	s_cselect_b32 s5, s21, s41
	s_cselect_b32 s4, s17, s40
	s_xor_b64 s[2:3], s[2:3], 0
	s_xor_b64 s[4:5], s[4:5], s[2:3]
	s_delay_alu instid0(SALU_CYCLE_1)
	s_sub_nc_u64 s[40:41], s[4:5], s[2:3]
	s_mov_b32 s2, 0
.LBB58_11:                              ;   in Loop: Header=BB58_9 Depth=1
	s_delay_alu instid0(SALU_CYCLE_1)
	s_and_not1_b32 vcc_lo, exec_lo, s2
	s_cbranch_vccnz .LBB58_13
; %bb.12:                               ;   in Loop: Header=BB58_9 Depth=1
	v_readfirstlane_b32 s1, v7
	s_sub_co_i32 s2, 0, s16
	s_delay_alu instid0(SALU_CYCLE_1) | instskip(NEXT) | instid1(SALU_CYCLE_1)
	s_mul_i32 s2, s2, s1
	s_mul_hi_u32 s2, s1, s2
	s_delay_alu instid0(SALU_CYCLE_1) | instskip(NEXT) | instid1(SALU_CYCLE_1)
	s_add_co_i32 s1, s1, s2
	s_mul_hi_u32 s1, s0, s1
	s_delay_alu instid0(SALU_CYCLE_1) | instskip(NEXT) | instid1(SALU_CYCLE_1)
	s_mul_i32 s2, s1, s16
	s_sub_co_i32 s0, s0, s2
	s_add_co_i32 s2, s1, 1
	s_sub_co_i32 s3, s0, s16
	s_cmp_ge_u32 s0, s16
	s_cselect_b32 s1, s2, s1
	s_cselect_b32 s0, s3, s0
	s_add_co_i32 s2, s1, 1
	s_cmp_ge_u32 s0, s16
	s_cselect_b32 s24, s2, s1
	s_delay_alu instid0(SALU_CYCLE_1)
	s_mov_b64 s[40:41], s[24:25]
.LBB58_13:                              ;   in Loop: Header=BB58_9 Depth=1
	s_delay_alu instid0(SALU_CYCLE_1)
	s_cmp_lg_u32 s20, s40
	s_mov_b32 s0, -1
                                        ; implicit-def: $vgpr4_vgpr5
                                        ; implicit-def: $sgpr24
                                        ; implicit-def: $sgpr17
                                        ; implicit-def: $sgpr21
                                        ; implicit-def: $sgpr29
	s_cbranch_scc0 .LBB58_18
; %bb.14:                               ;   in Loop: Header=BB58_9 Depth=1
	s_add_co_i32 s0, s36, s16
	v_max_num_f32_e64 v4, s28, s28
	s_lshl_b32 s0, s0, 5
	s_mov_b32 s29, s20
	s_add_co_i32 s0, s0, s15
	s_load_b64 s[38:39], s[10:11], s0 offset:0x0 scale_offset
	s_wait_xcnt 0x0
	v_readfirstlane_b32 s0, v4
	s_wait_kmcnt 0x0
	v_max_num_f32_e64 v5, s38, s38
	s_delay_alu instid0(VALU_DEP_1) | instskip(SKIP_1) | instid1(SALU_CYCLE_3)
	v_readfirstlane_b32 s1, v5
	s_max_num_f32 s17, s0, s1
	s_sub_f32 s33, s28, s17
	s_sub_f32 s37, s38, s17
	s_delay_alu instid0(SALU_CYCLE_2)
	s_cmp_nlt_f32 s33, 0xc2ce8ed0
	s_cselect_b32 s1, -1, 0
	s_cmp_ngt_f32 s33, 0x42b17218
	s_cselect_b32 s2, -1, 0
	s_cmp_ge_f32 s33, 0xc1a00000
	s_cselect_b32 s0, -1, 0
	s_cmp_nlt_f32 s37, 0xc2ce8ed0
	s_cselect_b32 s3, -1, 0
	s_cmp_ngt_f32 s37, 0x42b17218
	s_cselect_b32 s4, -1, 0
	s_cmp_ge_f32 s37, 0xc1a00000
	s_cselect_b32 s5, -1, 0
	s_and_b64 s[42:43], s[40:41], s[8:9]
	s_delay_alu instid0(SALU_CYCLE_1) | instskip(NEXT) | instid1(SALU_CYCLE_1)
	s_mul_u64 s[42:43], s[42:43], s[22:23]
	s_add_co_i32 s21, s43, s40
	s_delay_alu instid0(SALU_CYCLE_1) | instskip(NEXT) | instid1(SALU_CYCLE_1)
	s_lshr_b32 s21, s21, s13
	s_mul_i32 s24, s21, s14
	s_delay_alu instid0(SALU_CYCLE_1) | instskip(SKIP_3) | instid1(SALU_CYCLE_1)
	s_cmp_eq_u32 s24, s40
	s_cselect_b32 s24, -1, 0
	s_cmp_lt_u32 s21, s12
	s_cselect_b32 s21, -1, 0
	s_or_b32 s21, s21, s24
	s_mov_b32 s24, -1
	s_and_b32 vcc_lo, exec_lo, s21
	s_mov_b32 s21, s36
	s_cbranch_vccnz .LBB58_16
; %bb.15:                               ;   in Loop: Header=BB58_9 Depth=1
	s_add_co_i32 s21, s36, -1
	s_mov_b32 s24, 0
	s_mov_b32 s29, s40
.LBB58_16:                              ;   in Loop: Header=BB58_9 Depth=1
	v_lshl_add_u32 v4, s36, 11, v6
	s_mul_f32 s40, s33, 0x3fb8aa3b
	s_mul_f32 s38, s37, 0x3fb8aa3b
	s_delay_alu instid0(SALU_CYCLE_2)
	s_xor_b32 s42, s40, 0x80000000
	global_load_b32 v5, v4, s[26:27] scale_offset
	s_fmamk_f32 s42, s33, 0x3fb8aa3b, s42
	s_rndne_f32 s44, s40
	s_xor_b32 s41, s38, 0x80000000
	s_rndne_f32 s43, s38
	s_fmamk_f32 s33, s33, 0x32a5705f, s42
	s_sub_f32 s40, s40, s44
	s_fmamk_f32 s41, s37, 0x3fb8aa3b, s41
	s_sub_f32 s38, s38, s43
	s_delay_alu instid0(SALU_CYCLE_1) | instskip(NEXT) | instid1(SALU_CYCLE_1)
	s_add_f32 s33, s40, s33
	s_fmamk_f32 s37, s37, 0x32a5705f, s41
	s_cvt_i32_f32 s40, s44
	s_delay_alu instid0(SALU_CYCLE_1) | instskip(NEXT) | instid1(SALU_CYCLE_1)
	v_s_exp_f32 s33, s33
	s_add_f32 s37, s38, s37
	s_cvt_i32_f32 s38, s43
	s_delay_alu instid0(SALU_CYCLE_2) | instskip(NEXT) | instid1(TRANS32_DEP_2)
	v_s_exp_f32 s37, s37
	v_ldexp_f32 v8, s33, s40
	s_wait_xcnt 0x0
	s_delay_alu instid0(TRANS32_DEP_1) | instskip(NEXT) | instid1(VALU_DEP_2)
	v_ldexp_f32 v4, s37, s38
	v_cndmask_b32_e64 v8, 0, v8, s1
	s_delay_alu instid0(VALU_DEP_1) | instskip(NEXT) | instid1(VALU_DEP_1)
	v_cndmask_b32_e64 v9, 0x7f800000, v8, s2
	v_dual_cndmask_b32 v4, 0, v4, s3 :: v_dual_cndmask_b32 v10, 0, v9, s0
	s_delay_alu instid0(VALU_DEP_1) | instskip(NEXT) | instid1(VALU_DEP_1)
	v_cndmask_b32_e64 v4, 0x7f800000, v4, s4
	v_dual_cndmask_b32 v8, 0, v4, s5 :: v_dual_mov_b32 v4, s39
	s_wait_loadcnt 0x0
	s_delay_alu instid0(VALU_DEP_1) | instskip(NEXT) | instid1(VALU_DEP_1)
	v_pk_mul_f32 v[4:5], v[4:5], v[8:9] op_sel_hi:[1,0]
	v_pk_fma_f32 v[4:5], v[0:1], v[10:11], v[4:5] op_sel_hi:[1,0,1]
	s_cbranch_execz .LBB58_19
.LBB58_17:                              ;   in Loop: Header=BB58_9 Depth=1
	s_and_not1_b32 vcc_lo, exec_lo, s24
	s_cbranch_vccnz .LBB58_20
	s_branch .LBB58_23
.LBB58_18:                              ;   in Loop: Header=BB58_9 Depth=1
	s_and_not1_b32 vcc_lo, exec_lo, s0
	s_cbranch_vccnz .LBB58_17
.LBB58_19:                              ;   in Loop: Header=BB58_9 Depth=1
	s_wait_loadcnt 0x0
	v_mov_b64_e32 v[4:5], v[0:1]
	s_add_co_i32 s21, s36, -1
	s_mov_b32 s29, s20
	s_mov_b32 s17, s28
	s_cbranch_execz .LBB58_23
.LBB58_20:                              ;   in Loop: Header=BB58_9 Depth=1
	s_wait_loadcnt 0x0
	s_delay_alu instid0(VALU_DEP_1)
	v_mov_b64_e32 v[0:1], v[4:5]
	s_mov_b32 s20, s29
	s_mov_b32 s36, s21
	;; [unrolled: 1-line block ×3, first 2 shown]
	s_branch .LBB58_9
.LBB58_21:
                                        ; implicit-def: $sgpr20_sgpr21
	s_branch .LBB58_2
.LBB58_22:
                                        ; implicit-def: $sgpr24_sgpr25
	s_load_b96 s[12:14], s[0:1], 0x44
	s_branch .LBB58_5
.LBB58_23:
	s_delay_alu instid0(VALU_DEP_1) | instskip(SKIP_1) | instid1(VALU_DEP_1)
	v_div_scale_f32 v0, null, v4, v4, v5
	s_wait_loadcnt 0x0
	v_rcp_f32_e32 v1, v0
	v_nop
	s_delay_alu instid0(TRANS32_DEP_1) | instskip(NEXT) | instid1(VALU_DEP_1)
	v_fma_f32 v6, -v0, v1, 1.0
	v_fmac_f32_e32 v1, v6, v1
	v_div_scale_f32 v6, vcc_lo, v5, v4, v5
	s_delay_alu instid0(VALU_DEP_1) | instskip(NEXT) | instid1(VALU_DEP_1)
	v_mul_f32_e32 v7, v6, v1
	v_fma_f32 v8, -v0, v7, v6
	s_delay_alu instid0(VALU_DEP_1) | instskip(NEXT) | instid1(VALU_DEP_1)
	v_fmac_f32_e32 v7, v8, v1
	v_fma_f32 v0, -v0, v7, v6
	s_delay_alu instid0(VALU_DEP_1) | instskip(NEXT) | instid1(VALU_DEP_1)
	v_div_fmas_f32 v0, v0, v1, v7
	v_div_fixup_f32 v0, v0, v4, v5
	global_store_b32 v[2:3], v0, off
.LBB58_24:
	s_endpgm
	.section	.rodata,"a",@progbits
	.p2align	6, 0x0
	.amdhsa_kernel _ZL33flash_attn_stream_k_fixup_generalILi64ELi32ELi1EEvPfPK15HIP_vector_typeIfLj2EEiiiiS1_IjLj3EES5_S5_S5_
		.amdhsa_group_segment_fixed_size 0
		.amdhsa_private_segment_fixed_size 0
		.amdhsa_kernarg_size 336
		.amdhsa_user_sgpr_count 2
		.amdhsa_user_sgpr_dispatch_ptr 0
		.amdhsa_user_sgpr_queue_ptr 0
		.amdhsa_user_sgpr_kernarg_segment_ptr 1
		.amdhsa_user_sgpr_dispatch_id 0
		.amdhsa_user_sgpr_kernarg_preload_length 0
		.amdhsa_user_sgpr_kernarg_preload_offset 0
		.amdhsa_user_sgpr_private_segment_size 0
		.amdhsa_wavefront_size32 1
		.amdhsa_uses_dynamic_stack 0
		.amdhsa_enable_private_segment 0
		.amdhsa_system_sgpr_workgroup_id_x 1
		.amdhsa_system_sgpr_workgroup_id_y 1
		.amdhsa_system_sgpr_workgroup_id_z 1
		.amdhsa_system_sgpr_workgroup_info 0
		.amdhsa_system_vgpr_workitem_id 0
		.amdhsa_next_free_vgpr 12
		.amdhsa_next_free_sgpr 46
		.amdhsa_named_barrier_count 0
		.amdhsa_reserve_vcc 1
		.amdhsa_float_round_mode_32 0
		.amdhsa_float_round_mode_16_64 0
		.amdhsa_float_denorm_mode_32 3
		.amdhsa_float_denorm_mode_16_64 3
		.amdhsa_fp16_overflow 0
		.amdhsa_memory_ordered 1
		.amdhsa_forward_progress 1
		.amdhsa_inst_pref_size 27
		.amdhsa_round_robin_scheduling 0
		.amdhsa_exception_fp_ieee_invalid_op 0
		.amdhsa_exception_fp_denorm_src 0
		.amdhsa_exception_fp_ieee_div_zero 0
		.amdhsa_exception_fp_ieee_overflow 0
		.amdhsa_exception_fp_ieee_underflow 0
		.amdhsa_exception_fp_ieee_inexact 0
		.amdhsa_exception_int_div_zero 0
	.end_amdhsa_kernel
	.section	.text._ZL33flash_attn_stream_k_fixup_generalILi64ELi32ELi1EEvPfPK15HIP_vector_typeIfLj2EEiiiiS1_IjLj3EES5_S5_S5_,"axG",@progbits,_ZL33flash_attn_stream_k_fixup_generalILi64ELi32ELi1EEvPfPK15HIP_vector_typeIfLj2EEiiiiS1_IjLj3EES5_S5_S5_,comdat
.Lfunc_end58:
	.size	_ZL33flash_attn_stream_k_fixup_generalILi64ELi32ELi1EEvPfPK15HIP_vector_typeIfLj2EEiiiiS1_IjLj3EES5_S5_S5_, .Lfunc_end58-_ZL33flash_attn_stream_k_fixup_generalILi64ELi32ELi1EEvPfPK15HIP_vector_typeIfLj2EEiiiiS1_IjLj3EES5_S5_S5_
                                        ; -- End function
	.set _ZL33flash_attn_stream_k_fixup_generalILi64ELi32ELi1EEvPfPK15HIP_vector_typeIfLj2EEiiiiS1_IjLj3EES5_S5_S5_.num_vgpr, 12
	.set _ZL33flash_attn_stream_k_fixup_generalILi64ELi32ELi1EEvPfPK15HIP_vector_typeIfLj2EEiiiiS1_IjLj3EES5_S5_S5_.num_agpr, 0
	.set _ZL33flash_attn_stream_k_fixup_generalILi64ELi32ELi1EEvPfPK15HIP_vector_typeIfLj2EEiiiiS1_IjLj3EES5_S5_S5_.numbered_sgpr, 46
	.set _ZL33flash_attn_stream_k_fixup_generalILi64ELi32ELi1EEvPfPK15HIP_vector_typeIfLj2EEiiiiS1_IjLj3EES5_S5_S5_.num_named_barrier, 0
	.set _ZL33flash_attn_stream_k_fixup_generalILi64ELi32ELi1EEvPfPK15HIP_vector_typeIfLj2EEiiiiS1_IjLj3EES5_S5_S5_.private_seg_size, 0
	.set _ZL33flash_attn_stream_k_fixup_generalILi64ELi32ELi1EEvPfPK15HIP_vector_typeIfLj2EEiiiiS1_IjLj3EES5_S5_S5_.uses_vcc, 1
	.set _ZL33flash_attn_stream_k_fixup_generalILi64ELi32ELi1EEvPfPK15HIP_vector_typeIfLj2EEiiiiS1_IjLj3EES5_S5_S5_.uses_flat_scratch, 0
	.set _ZL33flash_attn_stream_k_fixup_generalILi64ELi32ELi1EEvPfPK15HIP_vector_typeIfLj2EEiiiiS1_IjLj3EES5_S5_S5_.has_dyn_sized_stack, 0
	.set _ZL33flash_attn_stream_k_fixup_generalILi64ELi32ELi1EEvPfPK15HIP_vector_typeIfLj2EEiiiiS1_IjLj3EES5_S5_S5_.has_recursion, 0
	.set _ZL33flash_attn_stream_k_fixup_generalILi64ELi32ELi1EEvPfPK15HIP_vector_typeIfLj2EEiiiiS1_IjLj3EES5_S5_S5_.has_indirect_call, 0
	.section	.AMDGPU.csdata,"",@progbits
; Kernel info:
; codeLenInByte = 3352
; TotalNumSgprs: 48
; NumVgprs: 12
; ScratchSize: 0
; MemoryBound: 0
; FloatMode: 240
; IeeeMode: 1
; LDSByteSize: 0 bytes/workgroup (compile time only)
; SGPRBlocks: 0
; VGPRBlocks: 0
; NumSGPRsForWavesPerEU: 48
; NumVGPRsForWavesPerEU: 12
; NamedBarCnt: 0
; Occupancy: 16
; WaveLimiterHint : 0
; COMPUTE_PGM_RSRC2:SCRATCH_EN: 0
; COMPUTE_PGM_RSRC2:USER_SGPR: 2
; COMPUTE_PGM_RSRC2:TRAP_HANDLER: 0
; COMPUTE_PGM_RSRC2:TGID_X_EN: 1
; COMPUTE_PGM_RSRC2:TGID_Y_EN: 1
; COMPUTE_PGM_RSRC2:TGID_Z_EN: 1
; COMPUTE_PGM_RSRC2:TIDIG_COMP_CNT: 0
	.section	.text._ZL15flash_attn_tileILi64ELi64ELi16ELi1ELb0EEvPKcS1_S1_S1_S1_PKiPfP15HIP_vector_typeIfLj2EEffffjfiS5_IjLj3EEiiiiiiiiiiiliiliiiiil,"axG",@progbits,_ZL15flash_attn_tileILi64ELi64ELi16ELi1ELb0EEvPKcS1_S1_S1_S1_PKiPfP15HIP_vector_typeIfLj2EEffffjfiS5_IjLj3EEiiiiiiiiiiiliiliiiiil,comdat
	.globl	_ZL15flash_attn_tileILi64ELi64ELi16ELi1ELb0EEvPKcS1_S1_S1_S1_PKiPfP15HIP_vector_typeIfLj2EEffffjfiS5_IjLj3EEiiiiiiiiiiiliiliiiiil ; -- Begin function _ZL15flash_attn_tileILi64ELi64ELi16ELi1ELb0EEvPKcS1_S1_S1_S1_PKiPfP15HIP_vector_typeIfLj2EEffffjfiS5_IjLj3EEiiiiiiiiiiiliiliiiiil
	.p2align	8
	.type	_ZL15flash_attn_tileILi64ELi64ELi16ELi1ELb0EEvPKcS1_S1_S1_S1_PKiPfP15HIP_vector_typeIfLj2EEffffjfiS5_IjLj3EEiiiiiiiiiiiliiliiiiil,@function
_ZL15flash_attn_tileILi64ELi64ELi16ELi1ELb0EEvPKcS1_S1_S1_S1_PKiPfP15HIP_vector_typeIfLj2EEffffjfiS5_IjLj3EEiiiiiiiiiiiliiliiiiil: ; @_ZL15flash_attn_tileILi64ELi64ELi16ELi1ELb0EEvPKcS1_S1_S1_S1_PKiPfP15HIP_vector_typeIfLj2EEffffjfiS5_IjLj3EEiiiiiiiiiiiliiliiiiil
; %bb.0:
	s_clause 0x1
	s_load_b128 s[24:27], s[0:1], 0x5c
	s_load_b64 s[2:3], s[0:1], 0x80
	s_bfe_u32 s6, ttmp6, 0x40014
	s_lshr_b32 s5, ttmp7, 16
	s_add_co_i32 s6, s6, 1
	s_bfe_u32 s7, ttmp6, 0x40008
	s_mul_i32 s6, s5, s6
	s_getreg_b32 s40, hwreg(HW_REG_IB_STS2, 6, 4)
	s_add_co_i32 s7, s7, s6
	s_load_b64 s[38:39], s[0:1], 0xb8
	s_mov_b32 s31, 0
	s_mov_b64 s[28:29], 0
	s_wait_kmcnt 0x0
	s_cvt_f32_u32 s4, s27
	s_sub_co_i32 s8, 0, s27
	s_delay_alu instid0(SALU_CYCLE_2) | instskip(SKIP_1) | instid1(TRANS32_DEP_1)
	v_rcp_iflag_f32_e32 v1, s4
	v_nop
	v_readfirstlane_b32 s4, v1
	s_mul_f32 s4, s4, 0x4f7ffffe
	s_delay_alu instid0(SALU_CYCLE_3) | instskip(NEXT) | instid1(SALU_CYCLE_3)
	s_cvt_u32_f32 s4, s4
	s_mul_i32 s8, s8, s4
	s_delay_alu instid0(SALU_CYCLE_1) | instskip(NEXT) | instid1(SALU_CYCLE_1)
	s_mul_hi_u32 s8, s4, s8
	s_add_co_i32 s4, s4, s8
	s_cmp_eq_u32 s40, 0
	s_cselect_b32 s5, s5, s7
	s_delay_alu instid0(SALU_CYCLE_1) | instskip(NEXT) | instid1(SALU_CYCLE_1)
	s_mul_hi_u32 s4, s5, s4
	s_mul_i32 s6, s4, s27
	s_add_co_i32 s7, s4, 1
	s_sub_co_i32 s6, s5, s6
	s_delay_alu instid0(SALU_CYCLE_1)
	s_sub_co_i32 s8, s6, s27
	s_cmp_ge_u32 s6, s27
	s_cselect_b32 s4, s7, s4
	s_cselect_b32 s6, s8, s6
	s_add_co_i32 s7, s4, 1
	s_cmp_ge_u32 s6, s27
	s_cselect_b32 s34, s7, s4
	s_abs_i32 s4, s3
	s_mul_i32 s8, s34, s27
	s_cvt_f32_u32 s6, s4
	s_sub_co_i32 s7, 0, s4
	s_abs_i32 s9, s27
	s_sub_co_i32 s33, s5, s8
	v_rcp_iflag_f32_e32 v1, s6
	s_xor_b32 s3, s27, s3
	s_delay_alu instid0(SALU_CYCLE_1) | instskip(SKIP_1) | instid1(TRANS32_DEP_1)
	s_ashr_i32 s3, s3, 31
	v_nop
	v_readfirstlane_b32 s6, v1
	s_mul_f32 s6, s6, 0x4f7ffffe
	s_delay_alu instid0(SALU_CYCLE_3) | instskip(NEXT) | instid1(SALU_CYCLE_3)
	s_cvt_u32_f32 s6, s6
	s_mul_i32 s7, s7, s6
	s_delay_alu instid0(SALU_CYCLE_1) | instskip(NEXT) | instid1(SALU_CYCLE_1)
	s_mul_hi_u32 s7, s6, s7
	s_add_co_i32 s6, s6, s7
	s_delay_alu instid0(SALU_CYCLE_1) | instskip(NEXT) | instid1(SALU_CYCLE_1)
	s_mul_hi_u32 s5, s9, s6
	s_mul_i32 s6, s5, s4
	s_add_co_i32 s7, s5, 1
	s_sub_co_i32 s6, s9, s6
	s_delay_alu instid0(SALU_CYCLE_1)
	s_sub_co_i32 s8, s6, s4
	s_cmp_ge_u32 s6, s4
	s_cselect_b32 s5, s7, s5
	s_cselect_b32 s6, s8, s6
	s_add_co_i32 s7, s5, 1
	s_cmp_ge_u32 s6, s4
	s_load_b512 s[8:23], s[0:1], 0x0
	s_cselect_b32 s4, s7, s5
	s_abs_i32 s30, s33
	s_xor_b32 s4, s4, s3
	s_delay_alu instid0(SALU_CYCLE_1) | instskip(NEXT) | instid1(SALU_CYCLE_1)
	s_sub_co_i32 s35, s4, s3
	s_abs_i32 s3, s35
	s_delay_alu instid0(SALU_CYCLE_1) | instskip(SKIP_1) | instid1(SALU_CYCLE_2)
	s_cvt_f32_u32 s4, s3
	s_sub_co_i32 s5, 0, s3
	v_rcp_iflag_f32_e32 v1, s4
	v_nop
	s_delay_alu instid0(TRANS32_DEP_1) | instskip(SKIP_1) | instid1(SALU_CYCLE_3)
	v_readfirstlane_b32 s4, v1
	s_mul_f32 s4, s4, 0x4f7ffffe
	s_cvt_u32_f32 s4, s4
	s_delay_alu instid0(SALU_CYCLE_3) | instskip(NEXT) | instid1(SALU_CYCLE_1)
	s_mul_i32 s5, s5, s4
	s_mul_hi_u32 s5, s4, s5
	s_delay_alu instid0(SALU_CYCLE_1)
	s_add_co_i32 s36, s4, s5
	s_wait_kmcnt 0x0
	s_cmp_eq_u64 s[14:15], 0
	s_cbranch_scc1 .LBB59_2
; %bb.1:
	s_abs_i32 s6, s38
	s_abs_i32 s7, s34
	s_cvt_f32_u32 s4, s6
	s_sub_co_i32 s5, 0, s6
	s_delay_alu instid0(SALU_CYCLE_2) | instskip(SKIP_1) | instid1(TRANS32_DEP_1)
	v_rcp_iflag_f32_e32 v1, s4
	v_nop
	v_readfirstlane_b32 s4, v1
	s_mul_f32 s4, s4, 0x4f7ffffe
	s_delay_alu instid0(SALU_CYCLE_3) | instskip(NEXT) | instid1(SALU_CYCLE_3)
	s_cvt_u32_f32 s4, s4
	s_mul_i32 s5, s5, s4
	s_delay_alu instid0(SALU_CYCLE_1) | instskip(NEXT) | instid1(SALU_CYCLE_1)
	s_mul_hi_u32 s5, s4, s5
	s_add_co_i32 s4, s4, s5
	s_delay_alu instid0(SALU_CYCLE_1) | instskip(SKIP_2) | instid1(SALU_CYCLE_1)
	s_mul_hi_u32 s28, s7, s4
	s_load_b64 s[4:5], s[0:1], 0xc8
	s_mul_i32 s28, s28, s6
	s_sub_co_i32 s7, s7, s28
	s_ashr_i32 s28, s34, 31
	s_sub_co_i32 s29, s7, s6
	s_cmp_ge_u32 s7, s6
	s_cselect_b32 s7, s29, s7
	s_delay_alu instid0(SALU_CYCLE_1) | instskip(SKIP_2) | instid1(SALU_CYCLE_1)
	s_sub_co_i32 s29, s7, s6
	s_cmp_ge_u32 s7, s6
	s_cselect_b32 s6, s29, s7
	s_xor_b32 s6, s6, s28
	s_delay_alu instid0(SALU_CYCLE_1) | instskip(NEXT) | instid1(SALU_CYCLE_1)
	s_sub_co_i32 s6, s6, s28
	s_ashr_i32 s7, s6, 31
	s_wait_kmcnt 0x0
	s_mul_u64 s[4:5], s[4:5], s[6:7]
	s_delay_alu instid0(SALU_CYCLE_1)
	s_add_nc_u64 s[28:29], s[14:15], s[4:5]
.LBB59_2:
	s_clause 0x1
	s_load_b128 s[4:7], s[0:1], 0x40
	s_load_b32 s14, s[0:1], 0x50
	v_mov_b32_e32 v78, 1.0
	s_mov_b32 s37, s31
	s_wait_kmcnt 0x0
	s_cmp_le_f32 s5, 0
	s_cbranch_scc1 .LBB59_4
; %bb.3:
	v_sub_co_u32 v1, s5, s33, s14
	s_and_b32 s15, s5, exec_lo
	s_cselect_b32 s7, s6, s7
	v_readfirstlane_b32 s14, v1
	s_lshl_b32 s6, s14, 1
	s_add_co_i32 s14, s33, 1
	s_or_b32 s6, s6, 1
	s_and_b32 s5, s5, exec_lo
	s_cselect_b32 s5, s14, s6
	s_cmp_neq_f32 s7, 1.0
	s_cvt_f32_i32 s5, s5
	s_delay_alu instid0(SALU_CYCLE_3) | instskip(NEXT) | instid1(SALU_CYCLE_1)
	s_cselect_b32 s6, s5, 1.0
	s_cmp_neq_f32 s6, 0
	s_cselect_b32 s5, s7, 1.0
	s_delay_alu instid0(SALU_CYCLE_1) | instskip(NEXT) | instid1(VALU_DEP_1)
	v_cvt_f64_f32_e64 v[2:3], |s5|
	v_frexp_exp_i32_f64_e32 v1, v[2:3]
	v_frexp_mant_f32_e64 v2, |s5|
	s_delay_alu instid0(VALU_DEP_1) | instskip(SKIP_2) | instid1(SALU_CYCLE_1)
	v_readfirstlane_b32 s7, v2
	s_cmp_lt_f32 s7, 0x3f2aaaab
	s_cselect_b32 vcc_lo, -1, 0
	s_and_b32 s14, vcc_lo, exec_lo
	s_cselect_b32 s14, 2.0, 1.0
	s_delay_alu instid0(SALU_CYCLE_1) | instskip(NEXT) | instid1(SALU_CYCLE_3)
	s_mul_f32 s7, s7, s14
	s_add_f32 s14, s7, 1.0
	s_add_f32 s38, s7, -1.0
	s_delay_alu instid0(SALU_CYCLE_2) | instskip(SKIP_2) | instid1(SALU_CYCLE_2)
	v_s_rcp_f32 s15, s14
	s_add_f32 s43, s14, -1.0
	v_subrev_co_ci_u32_e64 v1, null, 0, v1, vcc_lo
	s_sub_f32 s7, s7, s43
	s_delay_alu instid0(TRANS32_DEP_1) | instskip(SKIP_1) | instid1(SALU_CYCLE_2)
	s_mul_f32 s41, s38, s15
	v_cvt_f32_i32_e32 v1, v1
	s_mul_f32 s42, s14, s41
	s_delay_alu instid0(SALU_CYCLE_3) | instskip(SKIP_1) | instid1(SALU_CYCLE_1)
	v_dual_mov_b32 v3, s38 :: v_dual_mov_b32 v4, s42
	s_xor_b32 s44, s42, 0x80000000
	s_fmac_f32 s44, s41, s14
	s_delay_alu instid0(SALU_CYCLE_3) | instskip(NEXT) | instid1(SALU_CYCLE_3)
	s_fmac_f32 s44, s41, s7
	s_add_f32 s7, s42, s44
	s_delay_alu instid0(SALU_CYCLE_3) | instskip(SKIP_1) | instid1(SALU_CYCLE_3)
	v_dual_mov_b32 v6, s44 :: v_dual_mov_b32 v7, s7
	s_sub_f32 s14, s38, s7
	v_dual_mov_b32 v2, s7 :: v_dual_mov_b32 v5, s14
	s_delay_alu instid0(VALU_DEP_1) | instskip(NEXT) | instid1(VALU_DEP_1)
	v_pk_add_f32 v[2:3], v[2:3], v[4:5] neg_lo:[0,1] neg_hi:[0,1]
	v_pk_add_f32 v[2:3], v[2:3], v[6:7] neg_lo:[0,1] neg_hi:[0,1]
	s_delay_alu instid0(VALU_DEP_1) | instskip(NEXT) | instid1(VALU_DEP_2)
	v_readfirstlane_b32 s7, v3
	v_readfirstlane_b32 s38, v2
	s_add_f32 s7, s38, s7
	s_delay_alu instid0(SALU_CYCLE_3) | instskip(NEXT) | instid1(SALU_CYCLE_3)
	s_add_f32 s7, s14, s7
	s_mul_f32 s7, s15, s7
	s_delay_alu instid0(SALU_CYCLE_3) | instskip(NEXT) | instid1(SALU_CYCLE_3)
	s_add_f32 s14, s41, s7
	s_sub_f32 s15, s14, s41
	s_mul_f32 s38, s14, s14
	s_delay_alu instid0(SALU_CYCLE_2) | instskip(NEXT) | instid1(SALU_CYCLE_2)
	s_sub_f32 s7, s7, s15
	s_xor_b32 s15, s38, 0x80000000
	s_delay_alu instid0(SALU_CYCLE_1) | instskip(NEXT) | instid1(SALU_CYCLE_1)
	s_fmac_f32 s15, s14, s14
	s_add_f32 s41, s7, s7
	s_delay_alu instid0(SALU_CYCLE_3) | instskip(SKIP_1) | instid1(SALU_CYCLE_2)
	s_fmac_f32 s15, s14, s41
	s_mov_b32 s41, 0x3e76c4e1
	s_add_f32 s42, s38, s15
	s_delay_alu instid0(SALU_CYCLE_3) | instskip(SKIP_1) | instid1(SALU_CYCLE_2)
	s_fmaak_f32 s41, s42, s41, 0x3e91f4c4
	s_sub_f32 s38, s42, s38
	s_fmaak_f32 s41, s42, s41, 0x3ecccdef
	s_delay_alu instid0(SALU_CYCLE_2) | instskip(NEXT) | instid1(SALU_CYCLE_2)
	s_sub_f32 s38, s15, s38
	s_mul_f32 s43, s42, s41
	s_delay_alu instid0(SALU_CYCLE_3) | instskip(NEXT) | instid1(SALU_CYCLE_1)
	s_xor_b32 s44, s43, 0x80000000
	s_fmac_f32 s44, s42, s41
	s_delay_alu instid0(SALU_CYCLE_3) | instskip(NEXT) | instid1(SALU_CYCLE_3)
	s_fmac_f32 s44, s38, s41
	s_add_f32 s41, s43, s44
	s_delay_alu instid0(SALU_CYCLE_3) | instskip(SKIP_1) | instid1(SALU_CYCLE_2)
	s_sub_f32 s15, s41, s43
	s_add_f32 s45, s41, 0x3f2aaaaa
	s_sub_f32 s15, s44, s15
	s_delay_alu instid0(SALU_CYCLE_2) | instskip(NEXT) | instid1(SALU_CYCLE_2)
	s_add_f32 s43, s45, 0xbf2aaaaa
	s_add_f32 s15, s15, 0x31739010
	s_delay_alu instid0(SALU_CYCLE_2) | instskip(NEXT) | instid1(SALU_CYCLE_2)
	s_sub_f32 s43, s41, s43
	v_mov_b64_e32 v[2:3], s[14:15]
	s_delay_alu instid0(SALU_CYCLE_2) | instskip(NEXT) | instid1(VALU_DEP_1)
	v_mov_b64_e32 v[4:5], s[42:43]
	v_pk_mul_f32 v[6:7], v[2:3], v[4:5]
	v_pk_add_f32 v[2:3], v[2:3], v[4:5]
	v_mov_b32_e32 v9, s45
	s_delay_alu instid0(VALU_DEP_3) | instskip(NEXT) | instid1(VALU_DEP_3)
	v_xor_b32_e32 v8, 0x80000000, v6
	v_mov_b32_e32 v7, v3
	s_delay_alu instid0(VALU_DEP_2) | instskip(NEXT) | instid1(VALU_DEP_1)
	v_fmac_f32_e64 v8, s42, s14
	v_fmac_f32_e64 v8, s42, s7
	s_delay_alu instid0(VALU_DEP_1) | instskip(NEXT) | instid1(VALU_DEP_1)
	v_fmac_f32_e64 v8, s38, s14
	v_pk_add_f32 v[4:5], v[6:7], v[8:9]
	s_delay_alu instid0(VALU_DEP_1) | instskip(SKIP_1) | instid1(VALU_DEP_2)
	v_dual_mov_b32 v2, v5 :: v_dual_sub_f32 v7, s45, v5
	v_mul_f32_e32 v12, 0x3f317218, v1
	v_pk_mul_f32 v[10:11], v[4:5], v[2:3]
	s_delay_alu instid0(VALU_DEP_3) | instskip(NEXT) | instid1(VALU_DEP_3)
	v_add_f32_e32 v3, v3, v7
	v_xor_b32_e32 v7, 0x80000000, v12
	s_delay_alu instid0(VALU_DEP_3) | instskip(NEXT) | instid1(VALU_DEP_2)
	v_xor_b32_e32 v2, 0x80000000, v10
	v_dual_sub_f32 v6, v4, v6 :: v_dual_fmac_f32 v7, 0x3f317218, v1
	s_delay_alu instid0(VALU_DEP_2) | instskip(NEXT) | instid1(VALU_DEP_2)
	v_fmac_f32_e32 v2, v4, v5
	v_sub_f32_e32 v6, v8, v6
	s_delay_alu instid0(VALU_DEP_2) | instskip(NEXT) | instid1(VALU_DEP_1)
	v_fmac_f32_e32 v2, v4, v3
	v_fmac_f32_e32 v2, v6, v5
	v_fmamk_f32 v4, v1, 0xb102e308, v7
	v_ldexp_f32 v5, s14, 1
	v_ldexp_f32 v1, s7, 1
	s_delay_alu instid0(VALU_DEP_2) | instskip(NEXT) | instid1(VALU_DEP_1)
	v_dual_add_f32 v13, v10, v2 :: v_dual_mov_b32 v11, v5
	v_pk_add_f32 v[6:7], v[12:13], v[4:5]
	v_dual_mov_b32 v8, v13 :: v_dual_mov_b32 v3, v13
	s_delay_alu instid0(VALU_DEP_2) | instskip(SKIP_1) | instid1(VALU_DEP_2)
	v_dual_mov_b32 v9, v7 :: v_dual_mov_b32 v5, v6
	v_mov_b32_e32 v14, v7
	v_pk_add_f32 v[8:9], v[8:9], v[10:11] neg_lo:[0,1] neg_hi:[0,1]
	s_delay_alu instid0(VALU_DEP_1) | instskip(NEXT) | instid1(VALU_DEP_1)
	v_pk_add_f32 v[2:3], v[2:3], v[8:9] neg_lo:[0,1] neg_hi:[0,1]
	v_add_f32_e32 v1, v1, v2
	s_delay_alu instid0(VALU_DEP_1) | instskip(NEXT) | instid1(VALU_DEP_1)
	v_add_f32_e32 v13, v1, v3
	v_pk_add_f32 v[2:3], v[6:7], v[12:13]
	v_pk_add_f32 v[8:9], v[6:7], v[12:13] neg_lo:[0,1] neg_hi:[0,1]
	s_delay_alu instid0(VALU_DEP_2) | instskip(NEXT) | instid1(VALU_DEP_1)
	v_mov_b32_e32 v9, v3
	v_pk_add_f32 v[10:11], v[4:5], v[8:9]
	v_pk_add_f32 v[4:5], v[4:5], v[8:9] neg_lo:[0,1] neg_hi:[0,1]
	v_dual_mov_b32 v16, v3 :: v_dual_mov_b32 v5, v6
	s_delay_alu instid0(VALU_DEP_3) | instskip(NEXT) | instid1(VALU_DEP_3)
	v_dual_mov_b32 v12, v11 :: v_dual_mov_b32 v17, v11
	v_readfirstlane_b32 s7, v4
	s_delay_alu instid0(VALU_DEP_2) | instskip(NEXT) | instid1(VALU_DEP_2)
	v_pk_add_f32 v[8:9], v[12:13], v[6:7] neg_lo:[0,1] neg_hi:[0,1]
	v_dual_mov_b32 v4, v13 :: v_dual_mov_b32 v10, s7
	s_delay_alu instid0(VALU_DEP_2) | instskip(NEXT) | instid1(VALU_DEP_1)
	v_dual_mov_b32 v15, v8 :: v_dual_mov_b32 v1, v8
	v_pk_add_f32 v[6:7], v[16:17], v[14:15] neg_lo:[0,1] neg_hi:[0,1]
	s_delay_alu instid0(VALU_DEP_2) | instskip(SKIP_1) | instid1(VALU_DEP_3)
	v_pk_add_f32 v[2:3], v[2:3], v[0:1] neg_lo:[0,1] neg_hi:[0,1]
	v_mov_b32_e32 v2, s7
	v_pk_add_f32 v[4:5], v[4:5], v[6:7] neg_lo:[0,1] neg_hi:[0,1]
	s_delay_alu instid0(VALU_DEP_1) | instskip(NEXT) | instid1(VALU_DEP_1)
	v_pk_add_f32 v[2:3], v[2:3], v[4:5]
	v_readfirstlane_b32 s14, v2
	s_delay_alu instid0(VALU_DEP_2) | instskip(NEXT) | instid1(VALU_DEP_1)
	v_mov_b32_e32 v6, v3
	v_pk_add_f32 v[6:7], v[2:3], v[6:7]
	s_delay_alu instid0(VALU_DEP_3) | instskip(NEXT) | instid1(VALU_DEP_2)
	v_mov_b32_e32 v2, s14
	v_pk_add_f32 v[8:9], v[12:13], v[6:7]
	v_mov_b32_e32 v5, v6
	s_delay_alu instid0(VALU_DEP_2) | instskip(NEXT) | instid1(VALU_DEP_1)
	v_readfirstlane_b32 s15, v8
	v_mov_b32_e32 v3, s15
	s_delay_alu instid0(VALU_DEP_1) | instskip(NEXT) | instid1(VALU_DEP_1)
	v_pk_add_f32 v[2:3], v[2:3], v[10:11] neg_lo:[0,1] neg_hi:[0,1]
	v_readfirstlane_b32 s38, v2
	s_delay_alu instid0(VALU_DEP_2) | instskip(SKIP_1) | instid1(VALU_DEP_1)
	v_pk_add_f32 v[2:3], v[4:5], v[2:3] neg_lo:[0,1] neg_hi:[0,1]
	s_sub_f32 s14, s14, s38
	v_readfirstlane_b32 s38, v2
	s_delay_alu instid0(SALU_CYCLE_2) | instskip(SKIP_1) | instid1(SALU_CYCLE_2)
	s_sub_f32 s7, s7, s14
	v_readfirstlane_b32 s14, v3
	s_add_f32 s7, s38, s7
	s_delay_alu instid0(SALU_CYCLE_3) | instskip(NEXT) | instid1(SALU_CYCLE_3)
	s_add_f32 s7, s7, s14
	s_add_f32 s14, s15, s7
	s_delay_alu instid0(SALU_CYCLE_3) | instskip(SKIP_1) | instid1(SALU_CYCLE_2)
	s_mul_f32 s38, s6, s14
	s_sub_f32 s15, s14, s15
	s_xor_b32 s41, s38, 0x80000000
	s_delay_alu instid0(SALU_CYCLE_2) | instskip(SKIP_1) | instid1(SALU_CYCLE_3)
	s_sub_f32 s7, s7, s15
	s_fmac_f32 s41, s6, s14
	s_fmac_f32 s41, s6, s7
	v_cmp_class_f32_e64 s7, s38, 0x204
	s_delay_alu instid0(SALU_CYCLE_2) | instskip(SKIP_1) | instid1(SALU_CYCLE_2)
	s_add_f32 s14, s38, s41
	s_and_b32 s7, s7, exec_lo
	s_sub_f32 s7, s14, s38
	s_cselect_b32 s14, s38, s14
	s_delay_alu instid0(SALU_CYCLE_1) | instskip(NEXT) | instid1(SALU_CYCLE_1)
	s_and_b32 s15, s14, 0x7fffffff
	s_sub_f32 s7, s41, s7
	s_cmp_neq_f32 s15, 0x7f800000
	s_delay_alu instid0(SALU_CYCLE_2) | instskip(SKIP_2) | instid1(SALU_CYCLE_1)
	s_cselect_b32 s7, s7, 0
	s_cmp_eq_f32 s14, 0x42b17218
	s_cselect_b32 s15, 0x37000000, 0
	s_sub_f32 s14, s14, s15
	s_add_f32 s7, s15, s7
	s_delay_alu instid0(SALU_CYCLE_2) | instskip(NEXT) | instid1(SALU_CYCLE_3)
	s_mul_f32 s38, s14, 0x3fb8aa3b
	s_xor_b32 s41, s38, 0x80000000
	s_rndne_f32 s42, s38
	s_fmamk_f32 s41, s14, 0x3fb8aa3b, s41
	s_cmp_nlt_f32 s14, 0xc2ce8ed0
	s_delay_alu instid0(SALU_CYCLE_1) | instskip(NEXT) | instid1(SALU_CYCLE_1)
	s_sub_f32 s38, s38, s42
	s_fmamk_f32 s41, s14, 0x32a5705f, s41
	s_cselect_b32 vcc_lo, -1, 0
	s_cmp_ngt_f32 s14, 0x42b17218
	s_trunc_f32 s14, s6
	s_add_f32 s38, s38, s41
	s_cvt_i32_f32 s41, s42
	s_delay_alu instid0(SALU_CYCLE_2)
	v_s_exp_f32 s38, s38
	v_nop
	s_delay_alu instid0(TRANS32_DEP_1) | instid1(SALU_CYCLE_1)
	v_ldexp_f32 v1, s38, s41
	s_mul_f32 s38, s6, 0.5
	s_delay_alu instid0(VALU_DEP_1) | instskip(SKIP_3) | instid1(VALU_DEP_1)
	v_cndmask_b32_e32 v1, 0, v1, vcc_lo
	s_cselect_b32 vcc_lo, -1, 0
	s_cmp_eq_f32 s14, s6
	s_trunc_f32 s41, s38
	v_cndmask_b32_e32 v1, 0x7f800000, v1, vcc_lo
	s_cselect_b32 s42, -1, 0
	s_delay_alu instid0(SALU_CYCLE_1) | instskip(NEXT) | instid1(VALU_DEP_1)
	s_cmp_neq_f32 s41, s38
	v_fma_f32 v2, s7, v1, v1
	v_cmp_class_f32_e64 vcc_lo, v1, 0x204
	s_cselect_b32 s15, -1, 0
	s_delay_alu instid0(SALU_CYCLE_1)
	s_and_b32 s7, s42, s15
	v_cndmask_b32_e32 v1, v2, v1, vcc_lo
	s_and_b32 s15, s7, exec_lo
	s_cselect_b32 s15, s5, 1.0
	s_cmp_eq_f32 s14, s6
	v_cmp_class_f32_e64 s14, s5, 0x204
	v_bfi_b32 v1, 0x7fffffff, v1, s15
	s_cselect_b32 vcc_lo, -1, 0
	s_cmp_lt_f32 s5, 0
	s_delay_alu instid0(VALU_DEP_1) | instskip(SKIP_2) | instid1(VALU_DEP_1)
	v_cndmask_b32_e32 v2, 0x7fc00000, v1, vcc_lo
	s_cselect_b32 vcc_lo, -1, 0
	s_cmp_eq_f32 s5, 0
	v_cndmask_b32_e32 v1, v1, v2, vcc_lo
	s_cselect_b32 s15, -1, 0
	s_delay_alu instid0(SALU_CYCLE_1) | instskip(SKIP_2) | instid1(SALU_CYCLE_1)
	s_or_b32 vcc_lo, s15, s14
	s_cmp_lt_f32 s6, 0
	s_cselect_b32 s6, -1, 0
	s_xor_b32 s6, s6, s15
	s_delay_alu instid0(SALU_CYCLE_1)
	s_and_b32 s6, s6, exec_lo
	s_cselect_b32 s6, 0, 0x7f800000
	s_and_b32 s7, s7, exec_lo
	s_cselect_b32 s7, s5, 0
	s_cmp_o_f32 s5, s5
	v_mov_b32_e32 v2, s7
	s_delay_alu instid0(VALU_DEP_1) | instskip(NEXT) | instid1(VALU_DEP_1)
	v_bfi_b32 v2, 0x7fffffff, s6, v2
	v_cndmask_b32_e32 v1, v1, v2, vcc_lo
	s_cselect_b32 vcc_lo, -1, 0
	s_delay_alu instid0(VALU_DEP_1)
	v_cndmask_b32_e32 v78, 0x7fc00000, v1, vcc_lo
.LBB59_4:
	s_bfe_u32 s5, ttmp6, 0x4000c
	s_and_b32 s6, ttmp6, 15
	s_add_co_i32 s5, s5, 1
	s_ashr_i32 s14, s33, 31
	s_mul_i32 s5, ttmp9, s5
	v_bfe_u32 v77, v0, 10, 10
	s_ashr_i32 s15, s35, 31
	s_add_co_i32 s6, s6, s5
	s_cmp_eq_u32 s40, 0
	s_load_b96 s[44:46], s[0:1], 0x70
	s_cselect_b32 s5, ttmp9, s6
	v_and_b32_e32 v44, 0x3ff, v0
	s_lshl_b32 s38, s5, 4
	s_delay_alu instid0(VALU_DEP_1) | instskip(NEXT) | instid1(VALU_DEP_1)
	v_dual_lshlrev_b32 v73, 2, v77 :: v_dual_lshlrev_b32 v18, 3, v44
	v_or_b32_e32 v71, 1, v73
	s_delay_alu instid0(VALU_DEP_1) | instskip(SKIP_1) | instid1(VALU_DEP_2)
	v_dual_add_nc_u32 v74, s38, v71 :: v_dual_bitop2_b32 v68, 3, v73 bitop3:0x54
	v_dual_add_nc_u32 v75, s38, v73 :: v_dual_bitop2_b32 v70, 2, v73 bitop3:0x54
	v_mul_hi_u32 v2, v74, s24
	s_delay_alu instid0(VALU_DEP_2) | instskip(NEXT) | instid1(VALU_DEP_3)
	v_dual_add_nc_u32 v69, s38, v68 :: v_dual_add_nc_u32 v72, s38, v70
	v_mul_hi_u32 v1, v75, s24
	s_wait_kmcnt 0x0
	s_mul_i32 s6, s33, s45
	s_ashr_i32 s45, s44, 31
	v_mul_hi_u32 v4, v69, s24
	v_mul_hi_u32 v3, v72, s24
	s_lshr_b64 s[42:43], s[44:45], 2
	s_ashr_i32 s7, s6, 31
	s_delay_alu instid0(VALU_DEP_3) | instskip(NEXT) | instid1(VALU_DEP_1)
	v_dual_add_nc_u32 v2, v74, v2 :: v_dual_add_nc_u32 v1, v75, v1
	v_dual_lshrrev_b32 v2, s25, v2 :: v_dual_add_nc_u32 v4, v69, v4
	s_delay_alu instid0(VALU_DEP_2) | instskip(SKIP_1) | instid1(VALU_DEP_3)
	v_dual_add_nc_u32 v3, v72, v3 :: v_dual_lshrrev_b32 v1, s25, v1
	v_mov_b32_e32 v19, 0
	v_mul_lo_u32 v2, v2, s26
	s_delay_alu instid0(VALU_DEP_3) | instskip(NEXT) | instid1(VALU_DEP_3)
	v_dual_lshrrev_b32 v3, s25, v3 :: v_dual_lshrrev_b32 v4, s25, v4
	v_mov_b32_e32 v53, v19
	v_mul_lo_u32 v1, v1, s26
	v_mov_b32_e32 v7, v19
	s_delay_alu instid0(VALU_DEP_4) | instskip(SKIP_3) | instid1(VALU_DEP_1)
	v_mul_lo_u32 v6, v3, s26
	v_mul_lo_u32 v10, v4, s26
	v_dual_mov_b32 v3, v19 :: v_dual_mov_b32 v5, v19
	v_dual_sub_nc_u32 v2, v74, v2 :: v_dual_sub_nc_u32 v52, v75, v1
	v_mul_u64_e32 v[2:3], s[42:43], v[2:3]
	v_sub_nc_u32_e32 v4, v72, v6
	v_sub_nc_u32_e32 v6, v69, v10
	s_delay_alu instid0(VALU_DEP_4) | instskip(NEXT) | instid1(VALU_DEP_3)
	v_mul_u64_e32 v[8:9], s[42:43], v[52:53]
	v_mul_u64_e32 v[4:5], s[42:43], v[4:5]
	s_delay_alu instid0(VALU_DEP_3) | instskip(SKIP_1) | instid1(SALU_CYCLE_1)
	v_mul_u64_e32 v[6:7], s[42:43], v[6:7]
	s_mul_i32 s42, s34, s46
	s_ashr_i32 s43, s42, 31
	s_cmp_eq_u64 s[18:19], 0
	s_add_nc_u64 s[8:9], s[8:9], s[42:43]
	s_delay_alu instid0(SALU_CYCLE_1) | instskip(SKIP_3) | instid1(VALU_DEP_1)
	s_add_nc_u64 s[6:7], s[8:9], s[6:7]
	s_mul_u64 s[8:9], s[30:31], s[36:37]
	v_add_nc_u64_e32 v[0:1], s[6:7], v[18:19]
	s_mov_b32 s37, 0
	v_lshl_add_u64 v[2:3], v[2:3], 2, v[0:1]
	v_lshl_add_u64 v[8:9], v[8:9], 2, v[0:1]
	;; [unrolled: 1-line block ×4, first 2 shown]
	s_clause 0x3
	global_load_b64 v[8:9], v[8:9], off
	global_load_b64 v[6:7], v[2:3], off
	;; [unrolled: 1-line block ×4, first 2 shown]
	s_wait_xcnt 0x0
	v_lshl_add_u32 v0, v44, 2, 0x5800
	s_delay_alu instid0(VALU_DEP_1)
	v_lshl_add_u32 v2, v71, 7, v0
	v_lshl_add_u32 v3, v70, 7, v0
	s_wait_loadcnt 0x2
	v_fma_mixlo_f16 v6, s4, v6, 0
	v_fma_mixlo_f16 v4, s4, v8, 0
	v_fma_mixlo_f16 v5, s4, v9, 0
	s_wait_loadcnt 0x1
	v_fma_mixlo_f16 v8, s4, v10, 0
	v_fma_mixlo_f16 v9, s4, v11, 0
	;; [unrolled: 1-line block ×3, first 2 shown]
	v_lshlrev_b32_e32 v45, 9, v77
	s_wait_loadcnt 0x0
	v_fma_mixlo_f16 v10, s4, v12, 0
	v_fma_mixlo_f16 v11, s4, v13, 0
	v_and_b32_e32 v4, 0xffff, v4
	v_lshlrev_b32_e32 v9, 16, v9
	v_and_b32_e32 v8, 0xffff, v8
	v_dual_lshlrev_b32 v5, 16, v5 :: v_dual_lshlrev_b32 v7, 16, v7
	v_and_b32_e32 v6, 0xffff, v6
	v_dual_add_nc_u32 v1, v0, v45 :: v_dual_lshlrev_b32 v11, 16, v11
	v_and_b32_e32 v10, 0xffff, v10
	s_delay_alu instid0(VALU_DEP_4) | instskip(NEXT) | instid1(VALU_DEP_4)
	v_or_b32_e32 v4, v5, v4
	v_or_b32_e32 v5, v7, v6
	;; [unrolled: 1-line block ×3, first 2 shown]
	v_lshl_add_u32 v0, v68, 7, v0
	v_or_b32_e32 v7, v11, v10
	ds_store_b32 v1, v4
	ds_store_b32 v2, v5
	;; [unrolled: 1-line block ×4, first 2 shown]
	s_wait_dscnt 0x0
	s_barrier_signal -1
	s_barrier_wait -1
	s_cbranch_scc1 .LBB59_6
; %bb.5:
	s_load_b32 s2, s[0:1], 0xd0
	s_wait_kmcnt 0x0
	s_mul_i32 s2, s2, s34
	s_delay_alu instid0(SALU_CYCLE_1)
	s_add_co_i32 s2, s2, s5
	s_load_b32 s2, s[18:19], s2 offset:0x0 scale_offset
.LBB59_6:
	s_wait_xcnt 0x0
	s_clause 0x2
	s_load_b64 s[18:19], s[0:1], 0x8c
	s_load_b128 s[4:7], s[0:1], 0x98
	s_load_b64 s[42:43], s[0:1], 0xa8
	s_mul_i32 s8, s9, s3
	s_mov_b32 s36, s24
	s_sub_co_i32 s41, s30, s8
	s_ashr_i32 s39, s39, 1
	s_ashr_i32 s35, s34, 31
	s_xor_b32 s15, s14, s15
	s_add_co_i32 s24, s9, 1
	s_sub_co_i32 s44, s41, s3
	v_dual_lshrrev_b32 v83, 3, v44 :: v_dual_lshlrev_b32 v76, 2, v44
	v_mul_u32_u24_e32 v79, 0x90, v44
	v_or_b32_e32 v50, 1, v75
	v_or_b32_e32 v48, 2, v75
	;; [unrolled: 1-line block ×3, first 2 shown]
	v_mbcnt_lo_u32_b32 v53, -1, 0
	s_wait_kmcnt 0x0
	s_ashr_i32 s8, s18, 2
	s_ashr_i32 s14, s6, 2
	s_cmp_ge_u32 s41, s3
	s_mul_u64 s[4:5], s[4:5], s[34:35]
	s_cselect_b32 s6, s24, s9
	s_cselect_b32 s9, s44, s41
	s_add_co_i32 s18, s6, 1
	s_cmp_ge_u32 s9, s3
	s_add_nc_u64 s[4:5], s[10:11], s[4:5]
	s_cselect_b32 s3, s18, s6
	s_bfe_u32 s6, ttmp6, 0x40010
	s_xor_b32 s3, s3, s15
	s_and_b32 s9, ttmp7, 0xffff
	s_add_co_i32 s6, s6, 1
	s_sub_co_i32 s3, s3, s15
	s_bfe_u32 s11, ttmp6, 0x40004
	s_mul_i32 s15, s9, s6
	s_mul_i32 s6, s3, s19
	;; [unrolled: 1-line block ×3, first 2 shown]
	s_add_co_i32 s3, s11, s15
	s_ashr_i32 s7, s6, 31
	s_ashr_i32 s11, s10, 31
	s_cmp_eq_u32 s40, 0
	s_mul_u64 s[30:31], s[42:43], s[34:35]
	s_cselect_b32 s24, s9, s3
	s_add_nc_u64 s[4:5], s[4:5], s[6:7]
	s_add_co_i32 s3, s2, 0xffffff80
	s_lshl_b32 s18, s24, 7
	s_add_nc_u64 s[6:7], s[12:13], s[30:31]
	s_cmp_ge_i32 s18, s3
	s_add_nc_u64 s[30:31], s[6:7], s[10:11]
	s_cbranch_scc1 .LBB59_43
; %bb.7:
	v_dual_mov_b32 v25, 0 :: v_dual_add_nc_u32 v7, v83, v73
	s_ashr_i32 s9, s8, 31
	s_lshl_b32 s6, s8, 4
	s_cmp_lg_u64 s[28:29], 0
	s_delay_alu instid0(VALU_DEP_1) | instskip(SKIP_2) | instid1(VALU_DEP_3)
	v_dual_mov_b32 v51, v25 :: v_dual_mov_b32 v49, v25
	v_dual_mov_b32 v47, v25 :: v_dual_bitop2_b32 v6, 28, v76 bitop3:0x40
	v_mul_lo_u32 v26, s8, v7
	v_mul_u64_e32 v[0:1], s[36:37], v[50:51]
	s_delay_alu instid0(VALU_DEP_4) | instskip(NEXT) | instid1(VALU_DEP_4)
	v_mul_u64_e32 v[2:3], s[36:37], v[48:49]
	v_mul_u64_e32 v[4:5], s[36:37], v[46:47]
	v_mul_lo_u32 v28, s14, v7
	s_cselect_b32 s10, -1, 0
	s_lshl_b32 s7, s14, 4
	v_dual_mov_b32 v17, v25 :: v_dual_lshlrev_b32 v0, 2, v6
	v_lshlrev_b32_e32 v24, 2, v6
	v_lshl_add_u32 v47, v77, 10, 0x4800
	v_dual_add_nc_u32 v30, s6, v26 :: v_dual_mov_b32 v16, v25
	s_delay_alu instid0(VALU_DEP_4) | instskip(SKIP_1) | instid1(VALU_DEP_3)
	v_mad_u32_u24 v51, 0x90, v7, v0
	v_lshl_or_b32 v84, v7, 7, v0
	v_dual_add_nc_u32 v32, s7, v28 :: v_dual_add_nc_u32 v34, s6, v30
	v_ashrrev_i32_e32 v27, 31, v26
	v_dual_add_nc_u32 v49, v47, v18 :: v_dual_ashrrev_i32 v29, 31, v28
	s_delay_alu instid0(VALU_DEP_3) | instskip(NEXT) | instid1(VALU_DEP_4)
	v_dual_ashrrev_i32 v31, 31, v30 :: v_dual_add_nc_u32 v36, s7, v32
	v_dual_add_nc_u32 v38, s6, v34 :: v_dual_ashrrev_i32 v33, 31, v32
	v_dual_mov_b32 v18, v25 :: v_dual_ashrrev_i32 v35, 31, v34
	s_delay_alu instid0(VALU_DEP_3) | instskip(NEXT) | instid1(VALU_DEP_3)
	v_dual_mov_b32 v19, v25 :: v_dual_add_nc_u32 v40, s7, v36
	v_dual_add_nc_u32 v42, s6, v38 :: v_dual_ashrrev_i32 v37, 31, v36
	v_ashrrev_i32_e32 v39, 31, v38
	v_dual_mov_b32 v91, v25 :: v_dual_add_nc_u32 v88, 0x5800, v45
	s_delay_alu instid0(VALU_DEP_4) | instskip(SKIP_2) | instid1(VALU_DEP_3)
	v_dual_add_nc_u32 v54, s7, v40 :: v_dual_add_nc_u32 v0, v50, v1
	v_dual_add_nc_u32 v1, v48, v3 :: v_dual_add_nc_u32 v2, v46, v5
	v_dual_ashrrev_i32 v41, 31, v40 :: v_dual_ashrrev_i32 v43, 31, v42
	v_dual_add_nc_u32 v56, s6, v42 :: v_dual_lshrrev_b32 v0, s25, v0
	s_delay_alu instid0(VALU_DEP_3) | instskip(SKIP_1) | instid1(VALU_DEP_3)
	v_dual_lshrrev_b32 v1, s25, v1 :: v_dual_lshrrev_b32 v2, s25, v2
	v_dual_add_nc_u32 v58, s7, v54 :: v_dual_ashrrev_i32 v55, 31, v54
	v_add_nc_u32_e32 v60, s6, v56
	s_delay_alu instid0(VALU_DEP_4) | instskip(NEXT) | instid1(VALU_DEP_4)
	v_mul_lo_u32 v0, v0, s26
	v_mul_lo_u32 v1, v1, s26
	;; [unrolled: 1-line block ×3, first 2 shown]
	v_dual_add_nc_u32 v62, s7, v58 :: v_dual_ashrrev_i32 v57, 31, v56
	v_dual_add_nc_u32 v64, s6, v60 :: v_dual_ashrrev_i32 v59, 31, v58
	s_delay_alu instid0(VALU_DEP_2)
	v_dual_ashrrev_i32 v61, 31, v60 :: v_dual_add_nc_u32 v66, s7, v62
	v_ashrrev_i32_e32 v63, 31, v62
	v_dual_mov_b32 v80, v25 :: v_dual_add_nc_u32 v89, 0x3800, v84
	v_dual_sub_nc_u32 v0, v50, v0 :: v_dual_sub_nc_u32 v1, v48, v1
	v_dual_sub_nc_u32 v2, v46, v2 :: v_dual_ashrrev_i32 v65, 31, v64
	v_ashrrev_i32_e32 v67, 31, v66
	s_delay_alu instid0(VALU_DEP_3) | instskip(NEXT) | instid1(VALU_DEP_4)
	v_mul_lo_u32 v85, v0, s39
	v_mul_lo_u32 v86, v1, s39
	s_delay_alu instid0(VALU_DEP_4)
	v_mul_lo_u32 v87, v2, s39
	v_dual_mov_b32 v95, 0xfeffffff :: v_dual_mov_b32 v82, v25
	v_mbcnt_lo_u32_b32 v90, -1, 0
	v_dual_mov_b32 v81, v25 :: v_dual_mov_b32 v94, 0xfeffffff
	v_dual_mov_b32 v93, 0xfeffffff :: v_dual_mov_b32 v92, 0xfeffffff
	s_ashr_i32 s15, s14, 31
	s_add_nc_u64 s[6:7], s[0:1], 0xd0
.LBB59_8:                               ; =>This Inner Loop Header: Depth=1
	s_ashr_i32 s19, s18, 31
	v_add_nc_u32_e32 v112, 0x1200, v51
	s_mul_u64 s[12:13], s[18:19], s[8:9]
	v_add_nc_u32_e32 v113, 0x1b00, v51
	s_lshl_b64 s[12:13], s[12:13], 2
	v_add_nc_u32_e32 v114, 0x2400, v51
	s_add_nc_u64 s[12:13], s[4:5], s[12:13]
	v_add_nc_u32_e32 v115, 0x2d00, v51
	v_lshl_add_u64 v[0:1], v[26:27], 2, s[12:13]
	v_lshl_add_u64 v[2:3], v[30:31], 2, s[12:13]
	;; [unrolled: 1-line block ×6, first 2 shown]
	v_add_nc_u64_e32 v[0:1], v[0:1], v[24:25]
	v_lshl_add_u64 v[12:13], v[60:61], 2, s[12:13]
	v_lshl_add_u64 v[14:15], v[64:65], 2, s[12:13]
	v_add_nc_u64_e32 v[20:21], v[2:3], v[24:25]
	v_add_nc_u64_e32 v[22:23], v[4:5], v[24:25]
	;; [unrolled: 1-line block ×7, first 2 shown]
	s_clause 0x7
	global_load_b128 v[0:3], v[0:1], off
	global_load_b128 v[4:7], v[20:21], off
	;; [unrolled: 1-line block ×8, first 2 shown]
	s_wait_xcnt 0x3
	v_dual_mov_b32 v96, 0 :: v_dual_add_nc_u32 v99, 0x900, v51
	v_add_nc_u32_e32 v116, 0x3600, v51
	v_add_nc_u32_e32 v117, 0x3f00, v51
	v_dual_mov_b32 v97, 0 :: v_dual_mov_b32 v98, 0
	s_and_not1_b32 vcc_lo, exec_lo, s10
	s_wait_loadcnt 0x7
	ds_store_b128 v51, v[0:3]
	s_wait_loadcnt 0x6
	ds_store_b128 v99, v[4:7]
	;; [unrolled: 2-line block ×8, first 2 shown]
	s_wait_dscnt 0x0
	s_barrier_signal -1
	s_barrier_wait -1
	ds_load_b128 v[4:7], v79
	ds_load_b128 v[0:3], v88
	ds_load_b128 v[8:11], v88 offset:128
	ds_load_b128 v[112:115], v79 offset:4608
	;; [unrolled: 1-line block ×6, first 2 shown]
	v_dual_mov_b32 v103, 0 :: v_dual_mov_b32 v108, 0
	v_dual_mov_b32 v99, 0 :: v_dual_mov_b32 v101, 0
	v_mov_b32_e32 v104, 0
	s_wait_dscnt 0x6
	;;#ASMSTART
	v_dot2_f32_f16 v97, v4, v0, v97
	;;#ASMEND
	;;#ASMSTART
	v_dot2_f32_f16 v97, v5, v1, v97
	;;#ASMEND
	;;#ASMSTART
	v_dot2_f32_f16 v97, v6, v2, v97
	;;#ASMEND
	;;#ASMSTART
	v_dot2_f32_f16 v97, v7, v3, v97
	;;#ASMEND
	s_wait_dscnt 0x5
	;;#ASMSTART
	v_dot2_f32_f16 v98, v4, v8, v98
	;;#ASMEND
	;;#ASMSTART
	v_dot2_f32_f16 v98, v5, v9, v98
	;;#ASMEND
	;;#ASMSTART
	v_dot2_f32_f16 v98, v6, v10, v98
	;;#ASMEND
	;;#ASMSTART
	v_dot2_f32_f16 v98, v7, v11, v98
	;;#ASMEND
	s_wait_dscnt 0x3
	;;#ASMSTART
	v_dot2_f32_f16 v96, v4, v12, v96
	;;#ASMEND
	;;#ASMSTART
	v_dot2_f32_f16 v96, v5, v13, v96
	;;#ASMEND
	;;#ASMSTART
	v_dot2_f32_f16 v96, v6, v14, v96
	;;#ASMEND
	;;#ASMSTART
	v_dot2_f32_f16 v96, v7, v15, v96
	;;#ASMEND
	s_wait_dscnt 0x2
	;;#ASMSTART
	v_dot2_f32_f16 v103, v4, v20, v103
	;;#ASMEND
	;;#ASMSTART
	v_dot2_f32_f16 v103, v5, v21, v103
	;;#ASMEND
	;;#ASMSTART
	v_dot2_f32_f16 v103, v6, v22, v103
	;;#ASMEND
	;;#ASMSTART
	v_dot2_f32_f16 v103, v7, v23, v103
	;;#ASMEND
	;;#ASMSTART
	v_dot2_f32_f16 v108, v112, v0, v108
	;;#ASMEND
	;;#ASMSTART
	v_dot2_f32_f16 v108, v113, v1, v108
	;;#ASMEND
	;;#ASMSTART
	v_dot2_f32_f16 v108, v114, v2, v108
	;;#ASMEND
	;;#ASMSTART
	v_dot2_f32_f16 v108, v115, v3, v108
	;;#ASMEND
	;;#ASMSTART
	v_dot2_f32_f16 v99, v112, v8, v99
	;;#ASMEND
	;;#ASMSTART
	v_dot2_f32_f16 v99, v113, v9, v99
	;;#ASMEND
	;;#ASMSTART
	v_dot2_f32_f16 v99, v114, v10, v99
	;;#ASMEND
	;;#ASMSTART
	v_dot2_f32_f16 v99, v115, v11, v99
	;;#ASMEND
	;;#ASMSTART
	v_dot2_f32_f16 v101, v112, v12, v101
	;;#ASMEND
	;;#ASMSTART
	v_dot2_f32_f16 v101, v113, v13, v101
	;;#ASMEND
	;;#ASMSTART
	v_dot2_f32_f16 v101, v114, v14, v101
	;;#ASMEND
	;;#ASMSTART
	v_dot2_f32_f16 v101, v115, v15, v101
	;;#ASMEND
	;;#ASMSTART
	v_dot2_f32_f16 v104, v112, v20, v104
	;;#ASMEND
	;;#ASMSTART
	v_dot2_f32_f16 v104, v113, v21, v104
	;;#ASMEND
	v_mov_b32_e32 v110, 0
	;;#ASMSTART
	v_dot2_f32_f16 v104, v114, v22, v104
	;;#ASMEND
	;;#ASMSTART
	v_dot2_f32_f16 v104, v115, v23, v104
	;;#ASMEND
	s_wait_dscnt 0x1
	;;#ASMSTART
	v_dot2_f32_f16 v110, v116, v0, v110
	;;#ASMEND
	;;#ASMSTART
	v_dot2_f32_f16 v110, v117, v1, v110
	;;#ASMEND
	v_dual_mov_b32 v100, 0 :: v_dual_mov_b32 v102, 0
	;;#ASMSTART
	v_dot2_f32_f16 v110, v118, v2, v110
	;;#ASMEND
	;;#ASMSTART
	v_dot2_f32_f16 v110, v119, v3, v110
	;;#ASMEND
	;; [unrolled: 3-line block ×8, first 2 shown]
	v_dual_mov_b32 v105, 0 :: v_dual_mov_b32 v111, 0
	;;#ASMSTART
	v_dot2_f32_f16 v102, v118, v14, v102
	;;#ASMEND
	;;#ASMSTART
	v_dot2_f32_f16 v102, v119, v15, v102
	;;#ASMEND
	;; [unrolled: 3-line block ×6, first 2 shown]
	s_wait_dscnt 0x0
	;;#ASMSTART
	v_dot2_f32_f16 v111, v120, v0, v111
	;;#ASMEND
	;;#ASMSTART
	v_dot2_f32_f16 v111, v121, v1, v111
	;;#ASMEND
	v_dual_mov_b32 v109, 0 :: v_dual_mov_b32 v107, 0
	;;#ASMSTART
	v_dot2_f32_f16 v111, v122, v2, v111
	;;#ASMEND
	;;#ASMSTART
	v_dot2_f32_f16 v111, v123, v3, v111
	;;#ASMEND
	;; [unrolled: 3-line block ×8, first 2 shown]
	v_mov_b32_e32 v106, 0
	;;#ASMSTART
	v_dot2_f32_f16 v107, v122, v14, v107
	;;#ASMEND
	;;#ASMSTART
	v_dot2_f32_f16 v107, v123, v15, v107
	;;#ASMEND
	;; [unrolled: 3-line block ×6, first 2 shown]
	ds_load_b128 v[112:115], v79 offset:16
	ds_load_b128 v[20:23], v88 offset:16
	;; [unrolled: 1-line block ×8, first 2 shown]
	s_wait_dscnt 0x6
	;;#ASMSTART
	v_dot2_f32_f16 v97, v112, v20, v97
	;;#ASMEND
	;;#ASMSTART
	v_dot2_f32_f16 v97, v113, v21, v97
	;;#ASMEND
	;;#ASMSTART
	v_dot2_f32_f16 v97, v114, v22, v97
	;;#ASMEND
	;;#ASMSTART
	v_dot2_f32_f16 v97, v115, v23, v97
	;;#ASMEND
	s_wait_dscnt 0x5
	;;#ASMSTART
	v_dot2_f32_f16 v98, v112, v12, v98
	;;#ASMEND
	;;#ASMSTART
	v_dot2_f32_f16 v98, v113, v13, v98
	;;#ASMEND
	;;#ASMSTART
	v_dot2_f32_f16 v98, v114, v14, v98
	;;#ASMEND
	;;#ASMSTART
	v_dot2_f32_f16 v98, v115, v15, v98
	;;#ASMEND
	;; [unrolled: 13-line block ×5, first 2 shown]
	;;#ASMSTART
	v_dot2_f32_f16 v99, v116, v12, v99
	;;#ASMEND
	;;#ASMSTART
	v_dot2_f32_f16 v99, v117, v13, v99
	;;#ASMEND
	;; [unrolled: 3-line block ×12, first 2 shown]
	s_wait_dscnt 0x1
	;;#ASMSTART
	v_dot2_f32_f16 v110, v120, v20, v110
	;;#ASMEND
	;;#ASMSTART
	v_dot2_f32_f16 v110, v121, v21, v110
	;;#ASMEND
	;; [unrolled: 3-line block ×16, first 2 shown]
	s_wait_dscnt 0x0
	;;#ASMSTART
	v_dot2_f32_f16 v111, v4, v20, v111
	;;#ASMEND
	;;#ASMSTART
	v_dot2_f32_f16 v111, v5, v21, v111
	;;#ASMEND
	;; [unrolled: 3-line block ×16, first 2 shown]
	ds_load_b128 v[112:115], v79 offset:32
	ds_load_b128 v[20:23], v88 offset:32
	ds_load_b128 v[12:15], v88 offset:160
	ds_load_b128 v[8:11], v88 offset:288
	ds_load_b128 v[0:3], v88 offset:416
	ds_load_b128 v[116:119], v79 offset:4640
	ds_load_b128 v[120:123], v79 offset:9248
	ds_load_b128 v[4:7], v79 offset:13856
	s_wait_dscnt 0x6
	;;#ASMSTART
	v_dot2_f32_f16 v97, v112, v20, v97
	;;#ASMEND
	;;#ASMSTART
	v_dot2_f32_f16 v97, v113, v21, v97
	;;#ASMEND
	;;#ASMSTART
	v_dot2_f32_f16 v97, v114, v22, v97
	;;#ASMEND
	;;#ASMSTART
	v_dot2_f32_f16 v97, v115, v23, v97
	;;#ASMEND
	s_wait_dscnt 0x5
	;;#ASMSTART
	v_dot2_f32_f16 v98, v112, v12, v98
	;;#ASMEND
	;;#ASMSTART
	v_dot2_f32_f16 v98, v113, v13, v98
	;;#ASMEND
	;;#ASMSTART
	v_dot2_f32_f16 v98, v114, v14, v98
	;;#ASMEND
	;;#ASMSTART
	v_dot2_f32_f16 v98, v115, v15, v98
	;;#ASMEND
	;; [unrolled: 13-line block ×5, first 2 shown]
	;;#ASMSTART
	v_dot2_f32_f16 v99, v116, v12, v99
	;;#ASMEND
	;;#ASMSTART
	v_dot2_f32_f16 v99, v117, v13, v99
	;;#ASMEND
	;; [unrolled: 3-line block ×12, first 2 shown]
	s_wait_dscnt 0x1
	;;#ASMSTART
	v_dot2_f32_f16 v110, v120, v20, v110
	;;#ASMEND
	;;#ASMSTART
	v_dot2_f32_f16 v110, v121, v21, v110
	;;#ASMEND
	;; [unrolled: 3-line block ×16, first 2 shown]
	s_wait_dscnt 0x0
	;;#ASMSTART
	v_dot2_f32_f16 v111, v4, v20, v111
	;;#ASMEND
	;;#ASMSTART
	v_dot2_f32_f16 v111, v5, v21, v111
	;;#ASMEND
	;; [unrolled: 3-line block ×16, first 2 shown]
	ds_load_b128 v[112:115], v79 offset:48
	ds_load_b128 v[20:23], v88 offset:48
	;; [unrolled: 1-line block ×8, first 2 shown]
	s_wait_dscnt 0x6
	;;#ASMSTART
	v_dot2_f32_f16 v97, v112, v20, v97
	;;#ASMEND
	;;#ASMSTART
	v_dot2_f32_f16 v97, v113, v21, v97
	;;#ASMEND
	;;#ASMSTART
	v_dot2_f32_f16 v97, v114, v22, v97
	;;#ASMEND
	;;#ASMSTART
	v_dot2_f32_f16 v97, v115, v23, v97
	;;#ASMEND
	s_wait_dscnt 0x5
	;;#ASMSTART
	v_dot2_f32_f16 v98, v112, v12, v98
	;;#ASMEND
	;;#ASMSTART
	v_dot2_f32_f16 v98, v113, v13, v98
	;;#ASMEND
	;;#ASMSTART
	v_dot2_f32_f16 v98, v114, v14, v98
	;;#ASMEND
	;;#ASMSTART
	v_dot2_f32_f16 v98, v115, v15, v98
	;;#ASMEND
	;; [unrolled: 13-line block ×5, first 2 shown]
	;;#ASMSTART
	v_dot2_f32_f16 v99, v116, v12, v99
	;;#ASMEND
	;;#ASMSTART
	v_dot2_f32_f16 v99, v117, v13, v99
	;;#ASMEND
	;; [unrolled: 3-line block ×12, first 2 shown]
	s_wait_dscnt 0x1
	;;#ASMSTART
	v_dot2_f32_f16 v110, v120, v20, v110
	;;#ASMEND
	;;#ASMSTART
	v_dot2_f32_f16 v110, v121, v21, v110
	;;#ASMEND
	;; [unrolled: 3-line block ×16, first 2 shown]
	s_wait_dscnt 0x0
	;;#ASMSTART
	v_dot2_f32_f16 v111, v4, v20, v111
	;;#ASMEND
	;;#ASMSTART
	v_dot2_f32_f16 v111, v5, v21, v111
	;;#ASMEND
	;; [unrolled: 3-line block ×16, first 2 shown]
	ds_load_b128 v[112:115], v79 offset:64
	ds_load_b128 v[20:23], v88 offset:64
	;; [unrolled: 1-line block ×8, first 2 shown]
	s_wait_dscnt 0x6
	;;#ASMSTART
	v_dot2_f32_f16 v97, v112, v20, v97
	;;#ASMEND
	;;#ASMSTART
	v_dot2_f32_f16 v97, v113, v21, v97
	;;#ASMEND
	;;#ASMSTART
	v_dot2_f32_f16 v97, v114, v22, v97
	;;#ASMEND
	;;#ASMSTART
	v_dot2_f32_f16 v97, v115, v23, v97
	;;#ASMEND
	s_wait_dscnt 0x5
	;;#ASMSTART
	v_dot2_f32_f16 v98, v112, v12, v98
	;;#ASMEND
	;;#ASMSTART
	v_dot2_f32_f16 v98, v113, v13, v98
	;;#ASMEND
	;;#ASMSTART
	v_dot2_f32_f16 v98, v114, v14, v98
	;;#ASMEND
	;;#ASMSTART
	v_dot2_f32_f16 v98, v115, v15, v98
	;;#ASMEND
	s_wait_dscnt 0x4
	;;#ASMSTART
	v_dot2_f32_f16 v96, v112, v8, v96
	;;#ASMEND
	;;#ASMSTART
	v_dot2_f32_f16 v96, v113, v9, v96
	;;#ASMEND
	;;#ASMSTART
	v_dot2_f32_f16 v96, v114, v10, v96
	;;#ASMEND
	;;#ASMSTART
	v_dot2_f32_f16 v96, v115, v11, v96
	;;#ASMEND
	s_wait_dscnt 0x3
	;;#ASMSTART
	v_dot2_f32_f16 v103, v112, v0, v103
	;;#ASMEND
	;;#ASMSTART
	v_dot2_f32_f16 v103, v113, v1, v103
	;;#ASMEND
	;;#ASMSTART
	v_dot2_f32_f16 v103, v114, v2, v103
	;;#ASMEND
	;;#ASMSTART
	v_dot2_f32_f16 v103, v115, v3, v103
	;;#ASMEND
	s_wait_dscnt 0x2
	;;#ASMSTART
	v_dot2_f32_f16 v108, v116, v20, v108
	;;#ASMEND
	;;#ASMSTART
	v_dot2_f32_f16 v108, v117, v21, v108
	;;#ASMEND
	;;#ASMSTART
	v_dot2_f32_f16 v108, v118, v22, v108
	;;#ASMEND
	;;#ASMSTART
	v_dot2_f32_f16 v108, v119, v23, v108
	;;#ASMEND
	;;#ASMSTART
	v_dot2_f32_f16 v99, v116, v12, v99
	;;#ASMEND
	;;#ASMSTART
	v_dot2_f32_f16 v99, v117, v13, v99
	;;#ASMEND
	;; [unrolled: 3-line block ×12, first 2 shown]
	s_wait_dscnt 0x1
	;;#ASMSTART
	v_dot2_f32_f16 v110, v120, v20, v110
	;;#ASMEND
	;;#ASMSTART
	v_dot2_f32_f16 v110, v121, v21, v110
	;;#ASMEND
	;; [unrolled: 3-line block ×16, first 2 shown]
	s_wait_dscnt 0x0
	;;#ASMSTART
	v_dot2_f32_f16 v111, v4, v20, v111
	;;#ASMEND
	;;#ASMSTART
	v_dot2_f32_f16 v111, v5, v21, v111
	;;#ASMEND
	;; [unrolled: 3-line block ×16, first 2 shown]
	ds_load_b128 v[112:115], v79 offset:80
	ds_load_b128 v[20:23], v88 offset:80
	;; [unrolled: 1-line block ×8, first 2 shown]
	s_wait_dscnt 0x6
	;;#ASMSTART
	v_dot2_f32_f16 v97, v112, v20, v97
	;;#ASMEND
	;;#ASMSTART
	v_dot2_f32_f16 v97, v113, v21, v97
	;;#ASMEND
	;;#ASMSTART
	v_dot2_f32_f16 v97, v114, v22, v97
	;;#ASMEND
	;;#ASMSTART
	v_dot2_f32_f16 v97, v115, v23, v97
	;;#ASMEND
	s_wait_dscnt 0x5
	;;#ASMSTART
	v_dot2_f32_f16 v98, v112, v12, v98
	;;#ASMEND
	;;#ASMSTART
	v_dot2_f32_f16 v98, v113, v13, v98
	;;#ASMEND
	;;#ASMSTART
	v_dot2_f32_f16 v98, v114, v14, v98
	;;#ASMEND
	;;#ASMSTART
	v_dot2_f32_f16 v98, v115, v15, v98
	;;#ASMEND
	s_wait_dscnt 0x4
	;;#ASMSTART
	v_dot2_f32_f16 v96, v112, v8, v96
	;;#ASMEND
	;;#ASMSTART
	v_dot2_f32_f16 v96, v113, v9, v96
	;;#ASMEND
	;;#ASMSTART
	v_dot2_f32_f16 v96, v114, v10, v96
	;;#ASMEND
	;;#ASMSTART
	v_dot2_f32_f16 v96, v115, v11, v96
	;;#ASMEND
	s_wait_dscnt 0x3
	;;#ASMSTART
	v_dot2_f32_f16 v103, v112, v0, v103
	;;#ASMEND
	;;#ASMSTART
	v_dot2_f32_f16 v103, v113, v1, v103
	;;#ASMEND
	;;#ASMSTART
	v_dot2_f32_f16 v103, v114, v2, v103
	;;#ASMEND
	;;#ASMSTART
	v_dot2_f32_f16 v103, v115, v3, v103
	;;#ASMEND
	s_wait_dscnt 0x2
	;;#ASMSTART
	v_dot2_f32_f16 v108, v116, v20, v108
	;;#ASMEND
	;;#ASMSTART
	v_dot2_f32_f16 v108, v117, v21, v108
	;;#ASMEND
	;;#ASMSTART
	v_dot2_f32_f16 v108, v118, v22, v108
	;;#ASMEND
	;;#ASMSTART
	v_dot2_f32_f16 v108, v119, v23, v108
	;;#ASMEND
	;;#ASMSTART
	v_dot2_f32_f16 v99, v116, v12, v99
	;;#ASMEND
	;;#ASMSTART
	v_dot2_f32_f16 v99, v117, v13, v99
	;;#ASMEND
	;;#ASMSTART
	v_dot2_f32_f16 v99, v118, v14, v99
	;;#ASMEND
	;;#ASMSTART
	v_dot2_f32_f16 v99, v119, v15, v99
	;;#ASMEND
	;;#ASMSTART
	v_dot2_f32_f16 v101, v116, v8, v101
	;;#ASMEND
	;;#ASMSTART
	v_dot2_f32_f16 v101, v117, v9, v101
	;;#ASMEND
	;;#ASMSTART
	v_dot2_f32_f16 v101, v118, v10, v101
	;;#ASMEND
	;;#ASMSTART
	v_dot2_f32_f16 v101, v119, v11, v101
	;;#ASMEND
	;;#ASMSTART
	v_dot2_f32_f16 v104, v116, v0, v104
	;;#ASMEND
	;;#ASMSTART
	v_dot2_f32_f16 v104, v117, v1, v104
	;;#ASMEND
	;;#ASMSTART
	v_dot2_f32_f16 v104, v118, v2, v104
	;;#ASMEND
	;;#ASMSTART
	v_dot2_f32_f16 v104, v119, v3, v104
	;;#ASMEND
	s_wait_dscnt 0x1
	;;#ASMSTART
	v_dot2_f32_f16 v110, v120, v20, v110
	;;#ASMEND
	;;#ASMSTART
	v_dot2_f32_f16 v110, v121, v21, v110
	;;#ASMEND
	;; [unrolled: 3-line block ×16, first 2 shown]
	s_wait_dscnt 0x0
	;;#ASMSTART
	v_dot2_f32_f16 v111, v4, v20, v111
	;;#ASMEND
	;;#ASMSTART
	v_dot2_f32_f16 v111, v5, v21, v111
	;;#ASMEND
	;; [unrolled: 3-line block ×16, first 2 shown]
	ds_load_b128 v[112:115], v79 offset:96
	ds_load_b128 v[20:23], v88 offset:96
	;; [unrolled: 1-line block ×8, first 2 shown]
	s_wait_dscnt 0x6
	;;#ASMSTART
	v_dot2_f32_f16 v97, v112, v20, v97
	;;#ASMEND
	;;#ASMSTART
	v_dot2_f32_f16 v97, v113, v21, v97
	;;#ASMEND
	;;#ASMSTART
	v_dot2_f32_f16 v97, v114, v22, v97
	;;#ASMEND
	;;#ASMSTART
	v_dot2_f32_f16 v97, v115, v23, v97
	;;#ASMEND
	s_wait_dscnt 0x5
	;;#ASMSTART
	v_dot2_f32_f16 v98, v112, v12, v98
	;;#ASMEND
	;;#ASMSTART
	v_dot2_f32_f16 v98, v113, v13, v98
	;;#ASMEND
	;;#ASMSTART
	v_dot2_f32_f16 v98, v114, v14, v98
	;;#ASMEND
	;;#ASMSTART
	v_dot2_f32_f16 v98, v115, v15, v98
	;;#ASMEND
	;; [unrolled: 13-line block ×5, first 2 shown]
	;;#ASMSTART
	v_dot2_f32_f16 v99, v116, v12, v99
	;;#ASMEND
	;;#ASMSTART
	v_dot2_f32_f16 v99, v117, v13, v99
	;;#ASMEND
	;; [unrolled: 3-line block ×12, first 2 shown]
	s_wait_dscnt 0x1
	;;#ASMSTART
	v_dot2_f32_f16 v110, v120, v20, v110
	;;#ASMEND
	;;#ASMSTART
	v_dot2_f32_f16 v110, v121, v21, v110
	;;#ASMEND
	;;#ASMSTART
	v_dot2_f32_f16 v110, v122, v22, v110
	;;#ASMEND
	;;#ASMSTART
	v_dot2_f32_f16 v110, v123, v23, v110
	;;#ASMEND
	;;#ASMSTART
	v_dot2_f32_f16 v100, v120, v12, v100
	;;#ASMEND
	;;#ASMSTART
	v_dot2_f32_f16 v100, v121, v13, v100
	;;#ASMEND
	;;#ASMSTART
	v_dot2_f32_f16 v100, v122, v14, v100
	;;#ASMEND
	;;#ASMSTART
	v_dot2_f32_f16 v100, v123, v15, v100
	;;#ASMEND
	;;#ASMSTART
	v_dot2_f32_f16 v102, v120, v8, v102
	;;#ASMEND
	;;#ASMSTART
	v_dot2_f32_f16 v102, v121, v9, v102
	;;#ASMEND
	;;#ASMSTART
	v_dot2_f32_f16 v102, v122, v10, v102
	;;#ASMEND
	;;#ASMSTART
	v_dot2_f32_f16 v102, v123, v11, v102
	;;#ASMEND
	;;#ASMSTART
	v_dot2_f32_f16 v105, v120, v0, v105
	;;#ASMEND
	;;#ASMSTART
	v_dot2_f32_f16 v105, v121, v1, v105
	;;#ASMEND
	;;#ASMSTART
	v_dot2_f32_f16 v105, v122, v2, v105
	;;#ASMEND
	;;#ASMSTART
	v_dot2_f32_f16 v105, v123, v3, v105
	;;#ASMEND
	s_wait_dscnt 0x0
	;;#ASMSTART
	v_dot2_f32_f16 v111, v4, v20, v111
	;;#ASMEND
	;;#ASMSTART
	v_dot2_f32_f16 v111, v5, v21, v111
	;;#ASMEND
	;; [unrolled: 3-line block ×16, first 2 shown]
	ds_load_b128 v[8:11], v79 offset:112
	ds_load_b128 v[0:3], v88 offset:112
	;; [unrolled: 1-line block ×8, first 2 shown]
	s_wait_dscnt 0x6
	;;#ASMSTART
	v_dot2_f32_f16 v97, v8, v0, v97
	;;#ASMEND
	;;#ASMSTART
	v_dot2_f32_f16 v97, v9, v1, v97
	;;#ASMEND
	;;#ASMSTART
	v_dot2_f32_f16 v97, v10, v2, v97
	;;#ASMEND
	;;#ASMSTART
	v_dot2_f32_f16 v97, v11, v3, v97
	;;#ASMEND
	s_wait_dscnt 0x5
	;;#ASMSTART
	v_dot2_f32_f16 v98, v8, v4, v98
	;;#ASMEND
	;;#ASMSTART
	v_dot2_f32_f16 v98, v9, v5, v98
	;;#ASMEND
	;;#ASMSTART
	v_dot2_f32_f16 v98, v10, v6, v98
	;;#ASMEND
	;;#ASMSTART
	v_dot2_f32_f16 v98, v11, v7, v98
	;;#ASMEND
	;; [unrolled: 13-line block ×4, first 2 shown]
	;;#ASMSTART
	v_dot2_f32_f16 v108, v116, v0, v108
	;;#ASMEND
	;;#ASMSTART
	v_dot2_f32_f16 v108, v117, v1, v108
	;;#ASMEND
	;; [unrolled: 3-line block ×16, first 2 shown]
	s_wait_dscnt 0x1
	;;#ASMSTART
	v_dot2_f32_f16 v110, v120, v0, v110
	;;#ASMEND
	;;#ASMSTART
	v_dot2_f32_f16 v110, v121, v1, v110
	;;#ASMEND
	;; [unrolled: 3-line block ×10, first 2 shown]
	v_mul_lo_u32 v12, v52, s39
	;;#ASMSTART
	v_dot2_f32_f16 v102, v122, v22, v102
	;;#ASMEND
	;;#ASMSTART
	v_dot2_f32_f16 v102, v123, v23, v102
	;;#ASMEND
	;; [unrolled: 3-line block ×6, first 2 shown]
	s_wait_dscnt 0x0
	;;#ASMSTART
	v_dot2_f32_f16 v111, v124, v0, v111
	;;#ASMEND
	;;#ASMSTART
	v_dot2_f32_f16 v111, v125, v1, v111
	;;#ASMEND
	v_add_nc_u32_e32 v14, s18, v44
	;;#ASMSTART
	v_dot2_f32_f16 v111, v126, v2, v111
	;;#ASMEND
	;;#ASMSTART
	v_dot2_f32_f16 v111, v127, v3, v111
	;;#ASMEND
	;; [unrolled: 3-line block ×7, first 2 shown]
	v_dual_mov_b32 v13, 0 :: v_dual_add_nc_u32 v12, v14, v12
	;;#ASMSTART
	v_dot2_f32_f16 v107, v125, v21, v107
	;;#ASMEND
	;;#ASMSTART
	v_dot2_f32_f16 v107, v126, v22, v107
	;;#ASMEND
	;; [unrolled: 3-line block ×7, first 2 shown]
	s_cbranch_vccnz .LBB59_10
; %bb.9:                                ;   in Loop: Header=BB59_8 Depth=1
	global_load_u16 v0, v12, s[28:29] scale_offset
	s_wait_loadcnt 0x0
	v_cvt_f32_f16_e32 v0, v0
	s_delay_alu instid0(VALU_DEP_1)
	v_mul_f32_e32 v13, v78, v0
.LBB59_10:                              ;   in Loop: Header=BB59_8 Depth=1
	v_dual_mov_b32 v1, 0 :: v_dual_mov_b32 v2, 0
	s_and_not1_b32 vcc_lo, exec_lo, s10
	s_cbranch_vccnz .LBB59_12
; %bb.11:                               ;   in Loop: Header=BB59_8 Depth=1
	global_load_u16 v0, v12, s[28:29] offset:64 scale_offset
	s_wait_loadcnt 0x0
	v_cvt_f32_f16_e32 v0, v0
	s_delay_alu instid0(VALU_DEP_1)
	v_mul_f32_e32 v2, v78, v0
.LBB59_12:                              ;   in Loop: Header=BB59_8 Depth=1
	s_and_not1_b32 vcc_lo, exec_lo, s10
	s_cbranch_vccnz .LBB59_14
; %bb.13:                               ;   in Loop: Header=BB59_8 Depth=1
	global_load_u16 v0, v12, s[28:29] offset:128 scale_offset
	s_wait_loadcnt 0x0
	v_cvt_f32_f16_e32 v0, v0
	s_delay_alu instid0(VALU_DEP_1)
	v_mul_f32_e32 v1, v78, v0
.LBB59_14:                              ;   in Loop: Header=BB59_8 Depth=1
	v_dual_mov_b32 v5, 0 :: v_dual_mov_b32 v3, 0
	s_and_not1_b32 vcc_lo, exec_lo, s10
	s_cbranch_vccnz .LBB59_16
; %bb.15:                               ;   in Loop: Header=BB59_8 Depth=1
	global_load_u16 v0, v12, s[28:29] offset:192 scale_offset
	s_wait_loadcnt 0x0
	v_cvt_f32_f16_e32 v0, v0
	s_delay_alu instid0(VALU_DEP_1)
	v_mul_f32_e32 v3, v78, v0
.LBB59_16:                              ;   in Loop: Header=BB59_8 Depth=1
	v_dual_add_f32 v0, v97, v13 :: v_dual_add_f32 v2, v108, v2
	v_dual_add_f32 v1, v110, v1 :: v_dual_bitop2_b32 v4, 16, v90 bitop3:0x14
	s_delay_alu instid0(VALU_DEP_2) | instskip(NEXT) | instid1(VALU_DEP_2)
	v_dual_add_f32 v3, v111, v3 :: v_dual_add_f32 v6, 0x40051340, v0
	v_dual_add_f32 v7, 0x40051340, v2 :: v_dual_add_f32 v8, 0x40051340, v1
	s_delay_alu instid0(VALU_DEP_3) | instskip(NEXT) | instid1(VALU_DEP_2)
	v_cmp_gt_i32_e32 vcc_lo, 32, v4
	v_max3_num_f32 v6, v95, v6, v7
	s_delay_alu instid0(VALU_DEP_4) | instskip(NEXT) | instid1(VALU_DEP_1)
	v_dual_add_f32 v7, 0x40051340, v3 :: v_dual_cndmask_b32 v4, v90, v4
	v_max3_num_f32 v7, v6, v8, v7
	s_delay_alu instid0(VALU_DEP_2) | instskip(SKIP_4) | instid1(VALU_DEP_1)
	v_dual_lshlrev_b32 v4, 2, v4 :: v_dual_bitop2_b32 v8, 8, v90 bitop3:0x14
	ds_bpermute_b32 v6, v4, v7
	v_cmp_gt_i32_e32 vcc_lo, 32, v8
	s_wait_dscnt 0x0
	v_max_num_f32_e32 v9, v6, v6
	v_dual_cndmask_b32 v8, v90, v8 :: v_dual_max_num_f32 v7, v7, v9
	s_delay_alu instid0(VALU_DEP_1) | instskip(SKIP_3) | instid1(VALU_DEP_1)
	v_lshlrev_b32_e32 v6, 2, v8
	ds_bpermute_b32 v8, v6, v7
	s_wait_dscnt 0x0
	v_dual_max_num_f32 v10, v8, v8 :: v_dual_bitop2_b32 v9, 4, v90 bitop3:0x14
	v_cmp_gt_i32_e32 vcc_lo, 32, v9
	s_delay_alu instid0(VALU_DEP_2) | instskip(NEXT) | instid1(VALU_DEP_1)
	v_dual_max_num_f32 v7, v7, v10 :: v_dual_cndmask_b32 v9, v90, v9, vcc_lo
	v_dual_lshlrev_b32 v8, 2, v9 :: v_dual_bitop2_b32 v10, 2, v90 bitop3:0x14
	s_delay_alu instid0(VALU_DEP_1) | instskip(SKIP_3) | instid1(VALU_DEP_1)
	v_cmp_gt_i32_e32 vcc_lo, 32, v10
	ds_bpermute_b32 v9, v8, v7
	s_wait_dscnt 0x0
	v_dual_cndmask_b32 v10, v90, v10 :: v_dual_max_num_f32 v9, v9, v9
	v_dual_max_num_f32 v7, v7, v9 :: v_dual_lshlrev_b32 v10, 2, v10
	ds_bpermute_b32 v9, v10, v7
	s_wait_dscnt 0x0
	v_dual_max_num_f32 v9, v9, v9 :: v_dual_bitop2_b32 v11, 1, v90 bitop3:0x14
	s_delay_alu instid0(VALU_DEP_1) | instskip(NEXT) | instid1(VALU_DEP_2)
	v_cmp_gt_i32_e32 vcc_lo, 32, v11
	v_dual_max_num_f32 v20, v7, v9 :: v_dual_cndmask_b32 v11, v90, v11
	v_add_nc_u32_e32 v7, v14, v85
	s_and_not1_b32 vcc_lo, exec_lo, s10
	s_delay_alu instid0(VALU_DEP_2)
	v_lshlrev_b32_e32 v23, 2, v11
	ds_bpermute_b32 v97, v23, v20
	s_cbranch_vccnz .LBB59_18
; %bb.17:                               ;   in Loop: Header=BB59_8 Depth=1
	global_load_u16 v5, v7, s[28:29] scale_offset
	s_wait_loadcnt 0x0
	v_cvt_f32_f16_e32 v5, v5
	s_delay_alu instid0(VALU_DEP_1)
	v_mul_f32_e32 v5, v78, v5
.LBB59_18:                              ;   in Loop: Header=BB59_8 Depth=1
	v_dual_mov_b32 v13, 0 :: v_dual_mov_b32 v9, 0
	s_and_not1_b32 vcc_lo, exec_lo, s10
	s_cbranch_vccnz .LBB59_20
; %bb.19:                               ;   in Loop: Header=BB59_8 Depth=1
	global_load_u16 v9, v7, s[28:29] offset:64 scale_offset
	s_wait_loadcnt 0x0
	v_cvt_f32_f16_e32 v9, v9
	s_delay_alu instid0(VALU_DEP_1)
	v_mul_f32_e32 v9, v78, v9
.LBB59_20:                              ;   in Loop: Header=BB59_8 Depth=1
	s_and_not1_b32 vcc_lo, exec_lo, s10
	s_cbranch_vccnz .LBB59_22
; %bb.21:                               ;   in Loop: Header=BB59_8 Depth=1
	global_load_u16 v11, v7, s[28:29] offset:128 scale_offset
	s_wait_loadcnt 0x0
	v_cvt_f32_f16_e32 v11, v11
	s_delay_alu instid0(VALU_DEP_1)
	v_mul_f32_e32 v13, v78, v11
.LBB59_22:                              ;   in Loop: Header=BB59_8 Depth=1
	v_dual_mov_b32 v12, 0 :: v_dual_mov_b32 v15, 0
	s_and_not1_b32 vcc_lo, exec_lo, s10
	s_cbranch_vccnz .LBB59_24
; %bb.23:                               ;   in Loop: Header=BB59_8 Depth=1
	global_load_u16 v7, v7, s[28:29] offset:192 scale_offset
	s_wait_loadcnt 0x0
	v_cvt_f32_f16_e32 v7, v7
	s_delay_alu instid0(VALU_DEP_1)
	v_mul_f32_e32 v15, v78, v7
.LBB59_24:                              ;   in Loop: Header=BB59_8 Depth=1
	s_delay_alu instid0(VALU_DEP_1) | instskip(SKIP_3) | instid1(VALU_DEP_3)
	v_dual_add_f32 v11, v98, v5 :: v_dual_add_f32 v7, v109, v15
	v_add_f32_e32 v9, v99, v9
	v_add_f32_e32 v5, v100, v13
	s_and_not1_b32 vcc_lo, exec_lo, s10
	v_add_f32_e32 v13, 0x40051340, v11
	s_delay_alu instid0(VALU_DEP_3) | instskip(NEXT) | instid1(VALU_DEP_3)
	v_add_f32_e32 v21, 0x40051340, v9
	v_add_f32_e32 v15, 0x40051340, v5
	s_delay_alu instid0(VALU_DEP_2) | instskip(SKIP_1) | instid1(VALU_DEP_1)
	v_max3_num_f32 v13, v94, v13, v21
	v_add_f32_e32 v21, 0x40051340, v7
	v_max3_num_f32 v13, v13, v15, v21
	ds_bpermute_b32 v15, v4, v13
	s_wait_dscnt 0x0
	v_max_num_f32_e32 v15, v15, v15
	s_delay_alu instid0(VALU_DEP_1) | instskip(SKIP_3) | instid1(VALU_DEP_1)
	v_max_num_f32_e32 v13, v13, v15
	ds_bpermute_b32 v15, v6, v13
	s_wait_dscnt 0x0
	v_max_num_f32_e32 v15, v15, v15
	v_max_num_f32_e32 v13, v13, v15
	ds_bpermute_b32 v15, v8, v13
	s_wait_dscnt 0x0
	v_max_num_f32_e32 v15, v15, v15
	s_delay_alu instid0(VALU_DEP_1) | instskip(SKIP_3) | instid1(VALU_DEP_1)
	v_max_num_f32_e32 v13, v13, v15
	ds_bpermute_b32 v15, v10, v13
	s_wait_dscnt 0x0
	v_max_num_f32_e32 v15, v15, v15
	v_dual_max_num_f32 v21, v13, v15 :: v_dual_add_nc_u32 v13, v14, v86
	ds_bpermute_b32 v98, v23, v21
	s_cbranch_vccnz .LBB59_26
; %bb.25:                               ;   in Loop: Header=BB59_8 Depth=1
	global_load_u16 v12, v13, s[28:29] scale_offset
	s_wait_loadcnt 0x0
	v_cvt_f32_f16_e32 v12, v12
	s_delay_alu instid0(VALU_DEP_1)
	v_mul_f32_e32 v12, v78, v12
.LBB59_26:                              ;   in Loop: Header=BB59_8 Depth=1
	v_dual_mov_b32 v99, 0 :: v_dual_mov_b32 v15, 0
	s_and_not1_b32 vcc_lo, exec_lo, s10
	s_cbranch_vccnz .LBB59_28
; %bb.27:                               ;   in Loop: Header=BB59_8 Depth=1
	global_load_u16 v15, v13, s[28:29] offset:64 scale_offset
	s_wait_loadcnt 0x0
	v_cvt_f32_f16_e32 v15, v15
	s_delay_alu instid0(VALU_DEP_1)
	v_mul_f32_e32 v15, v78, v15
.LBB59_28:                              ;   in Loop: Header=BB59_8 Depth=1
	s_and_not1_b32 vcc_lo, exec_lo, s10
	s_cbranch_vccnz .LBB59_30
; %bb.29:                               ;   in Loop: Header=BB59_8 Depth=1
	global_load_u16 v22, v13, s[28:29] offset:128 scale_offset
	s_wait_loadcnt 0x0
	v_cvt_f32_f16_e32 v22, v22
	s_delay_alu instid0(VALU_DEP_1)
	v_mul_f32_e32 v99, v78, v22
.LBB59_30:                              ;   in Loop: Header=BB59_8 Depth=1
	v_dual_mov_b32 v22, 0 :: v_dual_mov_b32 v100, 0
	s_and_not1_b32 vcc_lo, exec_lo, s10
	s_cbranch_vccnz .LBB59_32
; %bb.31:                               ;   in Loop: Header=BB59_8 Depth=1
	global_load_u16 v13, v13, s[28:29] offset:192 scale_offset
	s_wait_loadcnt 0x0
	v_cvt_f32_f16_e32 v13, v13
	s_delay_alu instid0(VALU_DEP_1)
	v_mul_f32_e32 v100, v78, v13
.LBB59_32:                              ;   in Loop: Header=BB59_8 Depth=1
	v_dual_add_f32 v96, v96, v12 :: v_dual_add_f32 v15, v101, v15
	s_delay_alu instid0(VALU_DEP_2) | instskip(SKIP_1) | instid1(VALU_DEP_2)
	v_dual_add_f32 v13, v102, v99 :: v_dual_add_f32 v12, v107, v100
	s_and_not1_b32 vcc_lo, exec_lo, s10
	v_add_f32_e32 v99, 0x40051340, v96
	s_delay_alu instid0(VALU_DEP_2) | instskip(SKIP_1) | instid1(VALU_DEP_2)
	v_dual_add_f32 v101, 0x40051340, v15 :: v_dual_add_f32 v100, 0x40051340, v13
	v_add_nc_u32_e32 v14, v14, v87
	v_max3_num_f32 v99, v93, v99, v101
	v_add_f32_e32 v101, 0x40051340, v12
	s_delay_alu instid0(VALU_DEP_1) | instskip(SKIP_3) | instid1(VALU_DEP_1)
	v_max3_num_f32 v99, v99, v100, v101
	ds_bpermute_b32 v100, v4, v99
	s_wait_dscnt 0x0
	v_max_num_f32_e32 v100, v100, v100
	v_max_num_f32_e32 v99, v99, v100
	ds_bpermute_b32 v100, v6, v99
	s_wait_dscnt 0x0
	v_max_num_f32_e32 v100, v100, v100
	s_delay_alu instid0(VALU_DEP_1) | instskip(SKIP_3) | instid1(VALU_DEP_1)
	v_max_num_f32_e32 v99, v99, v100
	ds_bpermute_b32 v100, v8, v99
	s_wait_dscnt 0x0
	v_max_num_f32_e32 v100, v100, v100
	v_max_num_f32_e32 v99, v99, v100
	ds_bpermute_b32 v100, v10, v99
	s_wait_dscnt 0x0
	v_max_num_f32_e32 v100, v100, v100
	s_delay_alu instid0(VALU_DEP_1)
	v_max_num_f32_e32 v99, v99, v100
	ds_bpermute_b32 v100, v23, v99
	s_cbranch_vccnz .LBB59_34
; %bb.33:                               ;   in Loop: Header=BB59_8 Depth=1
	global_load_u16 v22, v14, s[28:29] scale_offset
	s_wait_loadcnt 0x0
	v_cvt_f32_f16_e32 v22, v22
	s_delay_alu instid0(VALU_DEP_1)
	v_mul_f32_e32 v22, v78, v22
.LBB59_34:                              ;   in Loop: Header=BB59_8 Depth=1
	v_dual_mov_b32 v101, 0 :: v_dual_mov_b32 v102, 0
	s_and_not1_b32 vcc_lo, exec_lo, s10
	s_cbranch_vccnz .LBB59_36
; %bb.35:                               ;   in Loop: Header=BB59_8 Depth=1
	global_load_u16 v102, v14, s[28:29] offset:64 scale_offset
	s_wait_loadcnt 0x0
	v_cvt_f32_f16_e32 v102, v102
	s_delay_alu instid0(VALU_DEP_1)
	v_mul_f32_e32 v102, v78, v102
.LBB59_36:                              ;   in Loop: Header=BB59_8 Depth=1
	s_and_not1_b32 vcc_lo, exec_lo, s10
	s_cbranch_vccnz .LBB59_38
; %bb.37:                               ;   in Loop: Header=BB59_8 Depth=1
	global_load_u16 v101, v14, s[28:29] offset:128 scale_offset
	s_wait_loadcnt 0x0
	v_cvt_f32_f16_e32 v101, v101
	s_delay_alu instid0(VALU_DEP_1)
	v_mul_f32_e32 v101, v78, v101
.LBB59_38:                              ;   in Loop: Header=BB59_8 Depth=1
	s_and_not1_b32 vcc_lo, exec_lo, s10
	s_cbranch_vccnz .LBB59_40
; %bb.39:                               ;   in Loop: Header=BB59_8 Depth=1
	global_load_u16 v14, v14, s[28:29] offset:192 scale_offset
	s_wait_loadcnt 0x0
	v_cvt_f32_f16_e32 v14, v14
	s_delay_alu instid0(VALU_DEP_1)
	v_mul_f32_e32 v14, v78, v14
	s_branch .LBB59_41
.LBB59_40:                              ;   in Loop: Header=BB59_8 Depth=1
	v_mov_b32_e32 v14, 0
.LBB59_41:                              ;   in Loop: Header=BB59_8 Depth=1
	s_delay_alu instid0(VALU_DEP_2) | instskip(SKIP_2) | instid1(VALU_DEP_2)
	v_dual_add_f32 v103, v103, v22 :: v_dual_add_f32 v101, v105, v101
	v_dual_add_f32 v102, v104, v102 :: v_dual_max_num_f32 v99, v99, v99
	s_mul_u64 s[12:13], s[18:19], s[14:15]
	v_dual_add_f32 v22, 0x40051340, v103 :: v_dual_add_f32 v105, 0x40051340, v101
	s_delay_alu instid0(VALU_DEP_2) | instskip(SKIP_3) | instid1(VALU_DEP_2)
	v_dual_add_f32 v104, 0x40051340, v102 :: v_dual_max_num_f32 v21, v21, v21
	s_wait_dscnt 0x0
	v_max_num_f32_e32 v98, v98, v98
	s_barrier_signal -1
	v_max3_num_f32 v104, v92, v22, v104
	v_max_num_f32_e32 v22, v100, v100
	s_barrier_wait -1
	v_dual_max_num_f32 v21, v21, v98 :: v_dual_max_num_f32 v20, v20, v20
	s_delay_alu instid0(VALU_DEP_2) | instskip(NEXT) | instid1(VALU_DEP_2)
	v_dual_max_num_f32 v97, v97, v97 :: v_dual_max_num_f32 v22, v99, v22
	v_dual_add_f32 v99, v106, v14 :: v_dual_sub_f32 v5, v5, v21
	v_sub_f32_e32 v7, v7, v21
	s_delay_alu instid0(VALU_DEP_3) | instskip(SKIP_1) | instid1(VALU_DEP_3)
	v_max_num_f32_e32 v20, v20, v97
	s_lshl_b64 s[12:13], s[12:13], 2
	v_add_f32_e32 v14, 0x40051340, v99
	s_add_nc_u64 s[12:13], s[30:31], s[12:13]
	s_delay_alu instid0(VALU_DEP_2) | instskip(SKIP_1) | instid1(VALU_DEP_3)
	v_dual_sub_f32 v93, v93, v22 :: v_dual_sub_f32 v0, v0, v20
	v_sub_f32_e32 v2, v2, v20
	v_max3_num_f32 v14, v104, v105, v14
	v_dual_sub_f32 v1, v1, v20 :: v_dual_sub_f32 v15, v15, v22
	s_delay_alu instid0(VALU_DEP_4) | instskip(SKIP_4) | instid1(VALU_DEP_1)
	v_cmp_ngt_f32_e32 vcc_lo, 0xc2ce8ed0, v0
	v_sub_f32_e32 v12, v12, v22
	ds_bpermute_b32 v4, v4, v14
	s_wait_dscnt 0x0
	v_dual_sub_f32 v13, v13, v22 :: v_dual_max_num_f32 v4, v4, v4
	v_max_num_f32_e32 v4, v14, v4
	v_sub_f32_e32 v14, v94, v21
	ds_bpermute_b32 v6, v6, v4
	s_wait_dscnt 0x0
	v_max_num_f32_e32 v6, v6, v6
	s_delay_alu instid0(VALU_DEP_1) | instskip(SKIP_3) | instid1(VALU_DEP_1)
	v_max_num_f32_e32 v4, v4, v6
	ds_bpermute_b32 v6, v8, v4
	s_wait_dscnt 0x0
	v_dual_sub_f32 v8, v95, v20 :: v_dual_max_num_f32 v6, v6, v6
	v_max_num_f32_e32 v4, v4, v6
	ds_bpermute_b32 v6, v10, v4
	s_wait_dscnt 0x0
	v_max_num_f32_e32 v6, v6, v6
	s_delay_alu instid0(VALU_DEP_1) | instskip(SKIP_3) | instid1(VALU_DEP_1)
	v_max_num_f32_e32 v4, v4, v6
	ds_bpermute_b32 v6, v23, v4
	s_wait_dscnt 0x0
	v_max_num_f32_e32 v6, v6, v6
	v_dual_max_num_f32 v23, v4, v6 :: v_dual_mul_f32 v4, 0x3fb8aa3b, v0
	s_delay_alu instid0(VALU_DEP_1) | instskip(SKIP_1) | instid1(VALU_DEP_2)
	v_fma_f32 v6, 0x3fb8aa3b, v0, -v4
	v_rndne_f32_e32 v10, v4
	v_fmac_f32_e32 v6, 0x32a5705f, v0
	s_delay_alu instid0(VALU_DEP_2) | instskip(NEXT) | instid1(VALU_DEP_1)
	v_sub_f32_e32 v4, v4, v10
	v_add_f32_e32 v4, v4, v6
	v_cvt_i32_f32_e32 v6, v10
	s_delay_alu instid0(VALU_DEP_2) | instskip(SKIP_1) | instid1(TRANS32_DEP_1)
	v_exp_f32_e32 v4, v4
	v_nop
	v_ldexp_f32 v4, v4, v6
	s_delay_alu instid0(VALU_DEP_1) | instskip(SKIP_1) | instid1(VALU_DEP_2)
	v_cndmask_b32_e32 v4, 0, v4, vcc_lo
	v_cmp_nlt_f32_e32 vcc_lo, 0x42b17218, v0
	v_cndmask_b32_e32 v0, 0x7f800000, v4, vcc_lo
	v_mul_f32_e32 v4, 0x3fb8aa3b, v2
	v_cmp_ngt_f32_e32 vcc_lo, 0xc2ce8ed0, v2
	s_delay_alu instid0(VALU_DEP_2) | instskip(SKIP_1) | instid1(VALU_DEP_2)
	v_fma_f32 v6, 0x3fb8aa3b, v2, -v4
	v_rndne_f32_e32 v10, v4
	v_fmac_f32_e32 v6, 0x32a5705f, v2
	s_delay_alu instid0(VALU_DEP_2) | instskip(NEXT) | instid1(VALU_DEP_1)
	v_sub_f32_e32 v4, v4, v10
	v_add_f32_e32 v4, v4, v6
	v_cvt_i32_f32_e32 v6, v10
	s_delay_alu instid0(VALU_DEP_2) | instskip(SKIP_1) | instid1(TRANS32_DEP_1)
	v_exp_f32_e32 v4, v4
	v_nop
	v_ldexp_f32 v4, v4, v6
	s_delay_alu instid0(VALU_DEP_1) | instskip(SKIP_1) | instid1(VALU_DEP_2)
	v_cndmask_b32_e32 v4, 0, v4, vcc_lo
	v_cmp_nlt_f32_e32 vcc_lo, 0x42b17218, v2
	v_cndmask_b32_e32 v2, 0x7f800000, v4, vcc_lo
	v_mul_f32_e32 v4, 0x3fb8aa3b, v1
	v_cmp_ngt_f32_e32 vcc_lo, 0xc2ce8ed0, v1
	s_delay_alu instid0(VALU_DEP_2) | instskip(SKIP_1) | instid1(VALU_DEP_2)
	v_fma_f32 v6, 0x3fb8aa3b, v1, -v4
	v_rndne_f32_e32 v10, v4
	v_fmac_f32_e32 v6, 0x32a5705f, v1
	s_delay_alu instid0(VALU_DEP_2) | instskip(NEXT) | instid1(VALU_DEP_1)
	v_sub_f32_e32 v4, v4, v10
	v_add_f32_e32 v4, v4, v6
	v_cvt_i32_f32_e32 v6, v10
	s_delay_alu instid0(VALU_DEP_2) | instskip(SKIP_1) | instid1(TRANS32_DEP_1)
	v_exp_f32_e32 v4, v4
	v_nop
	v_ldexp_f32 v4, v4, v6
	s_delay_alu instid0(VALU_DEP_1) | instskip(SKIP_2) | instid1(VALU_DEP_3)
	v_cndmask_b32_e32 v4, 0, v4, vcc_lo
	v_cmp_nlt_f32_e32 vcc_lo, 0x42b17218, v1
	v_sub_f32_e32 v1, v3, v20
	v_cndmask_b32_e32 v4, 0x7f800000, v4, vcc_lo
	s_delay_alu instid0(VALU_DEP_2) | instskip(SKIP_1) | instid1(VALU_DEP_2)
	v_mul_f32_e32 v3, 0x3fb8aa3b, v1
	v_cmp_ngt_f32_e32 vcc_lo, 0xc2ce8ed0, v1
	v_fma_f32 v6, 0x3fb8aa3b, v1, -v3
	v_rndne_f32_e32 v10, v3
	s_delay_alu instid0(VALU_DEP_1) | instskip(NEXT) | instid1(VALU_DEP_1)
	v_dual_fmac_f32 v6, 0x32a5705f, v1 :: v_dual_sub_f32 v3, v3, v10
	v_add_f32_e32 v3, v3, v6
	v_cvt_i32_f32_e32 v6, v10
	s_delay_alu instid0(VALU_DEP_2) | instskip(SKIP_1) | instid1(TRANS32_DEP_1)
	v_exp_f32_e32 v3, v3
	v_nop
	v_ldexp_f32 v3, v3, v6
	s_delay_alu instid0(VALU_DEP_1) | instskip(SKIP_2) | instid1(VALU_DEP_3)
	v_cndmask_b32_e32 v3, 0, v3, vcc_lo
	v_cmp_nlt_f32_e32 vcc_lo, 0x42b17218, v1
	v_mul_f32_e32 v1, 0x3fb8aa3b, v8
	v_cndmask_b32_e32 v6, 0x7f800000, v3, vcc_lo
	s_delay_alu instid0(VALU_DEP_2) | instskip(SKIP_2) | instid1(VALU_DEP_3)
	v_fma_f32 v3, 0x3fb8aa3b, v8, -v1
	v_rndne_f32_e32 v10, v1
	v_cmp_ngt_f32_e32 vcc_lo, 0xc2ce8ed0, v8
	v_fmac_f32_e32 v3, 0x32a5705f, v8
	s_delay_alu instid0(VALU_DEP_3) | instskip(NEXT) | instid1(VALU_DEP_1)
	v_sub_f32_e32 v1, v1, v10
	v_add_f32_e32 v1, v1, v3
	v_cvt_i32_f32_e32 v3, v10
	s_delay_alu instid0(VALU_DEP_2) | instskip(SKIP_1) | instid1(TRANS32_DEP_1)
	v_exp_f32_e32 v1, v1
	v_nop
	v_ldexp_f32 v1, v1, v3
	s_delay_alu instid0(VALU_DEP_1) | instskip(SKIP_1) | instid1(VALU_DEP_2)
	v_cndmask_b32_e32 v1, 0, v1, vcc_lo
	v_cmp_nlt_f32_e32 vcc_lo, 0x42b17218, v8
	v_cndmask_b32_e32 v8, 0x7f800000, v1, vcc_lo
	s_delay_alu instid0(VALU_DEP_1) | instskip(NEXT) | instid1(VALU_DEP_1)
	v_cvt_f16_f32_e32 v1, v8
	v_and_b32_e32 v1, 0xffff, v1
	s_delay_alu instid0(VALU_DEP_1) | instskip(SKIP_1) | instid1(VALU_DEP_1)
	v_mul_u32_u24_e32 v10, 0x10001, v1
	v_sub_f32_e32 v1, v11, v21
	v_mul_f32_e32 v3, 0x3fb8aa3b, v1
	v_cmp_ngt_f32_e32 vcc_lo, 0xc2ce8ed0, v1
	s_delay_alu instid0(VALU_DEP_2) | instskip(SKIP_1) | instid1(VALU_DEP_2)
	v_fma_f32 v11, 0x3fb8aa3b, v1, -v3
	v_rndne_f32_e32 v94, v3
	v_fmac_f32_e32 v11, 0x32a5705f, v1
	s_delay_alu instid0(VALU_DEP_2) | instskip(NEXT) | instid1(VALU_DEP_1)
	v_sub_f32_e32 v3, v3, v94
	v_add_f32_e32 v3, v3, v11
	v_cvt_i32_f32_e32 v11, v94
	s_delay_alu instid0(VALU_DEP_2) | instskip(SKIP_1) | instid1(TRANS32_DEP_1)
	v_exp_f32_e32 v3, v3
	v_nop
	v_ldexp_f32 v3, v3, v11
	s_delay_alu instid0(VALU_DEP_1) | instskip(SKIP_1) | instid1(VALU_DEP_2)
	v_cndmask_b32_e32 v3, 0, v3, vcc_lo
	v_cmp_nlt_f32_e32 vcc_lo, 0x42b17218, v1
	v_cndmask_b32_e32 v1, 0x7f800000, v3, vcc_lo
	v_sub_f32_e32 v3, v9, v21
	s_delay_alu instid0(VALU_DEP_1) | instskip(SKIP_1) | instid1(VALU_DEP_2)
	v_mul_f32_e32 v9, 0x3fb8aa3b, v3
	v_cmp_ngt_f32_e32 vcc_lo, 0xc2ce8ed0, v3
	v_fma_f32 v11, 0x3fb8aa3b, v3, -v9
	v_rndne_f32_e32 v94, v9
	s_delay_alu instid0(VALU_DEP_2) | instskip(NEXT) | instid1(VALU_DEP_2)
	v_fmac_f32_e32 v11, 0x32a5705f, v3
	v_sub_f32_e32 v9, v9, v94
	s_delay_alu instid0(VALU_DEP_1) | instskip(SKIP_1) | instid1(VALU_DEP_2)
	v_add_f32_e32 v9, v9, v11
	v_cvt_i32_f32_e32 v11, v94
	v_exp_f32_e32 v9, v9
	v_nop
	s_delay_alu instid0(TRANS32_DEP_1) | instskip(NEXT) | instid1(VALU_DEP_1)
	v_ldexp_f32 v9, v9, v11
	v_cndmask_b32_e32 v9, 0, v9, vcc_lo
	v_cmp_nlt_f32_e32 vcc_lo, 0x42b17218, v3
	s_delay_alu instid0(VALU_DEP_2) | instskip(SKIP_2) | instid1(VALU_DEP_2)
	v_cndmask_b32_e32 v3, 0x7f800000, v9, vcc_lo
	v_mul_f32_e32 v9, 0x3fb8aa3b, v5
	v_cmp_ngt_f32_e32 vcc_lo, 0xc2ce8ed0, v5
	v_fma_f32 v11, 0x3fb8aa3b, v5, -v9
	v_rndne_f32_e32 v94, v9
	s_delay_alu instid0(VALU_DEP_2) | instskip(NEXT) | instid1(VALU_DEP_2)
	v_fmac_f32_e32 v11, 0x32a5705f, v5
	v_sub_f32_e32 v9, v9, v94
	s_delay_alu instid0(VALU_DEP_1) | instskip(SKIP_1) | instid1(VALU_DEP_2)
	v_add_f32_e32 v9, v9, v11
	v_cvt_i32_f32_e32 v11, v94
	v_exp_f32_e32 v9, v9
	v_nop
	s_delay_alu instid0(TRANS32_DEP_1) | instskip(NEXT) | instid1(VALU_DEP_1)
	v_ldexp_f32 v9, v9, v11
	v_cndmask_b32_e32 v9, 0, v9, vcc_lo
	v_cmp_nlt_f32_e32 vcc_lo, 0x42b17218, v5
	s_delay_alu instid0(VALU_DEP_2) | instskip(SKIP_2) | instid1(VALU_DEP_2)
	v_cndmask_b32_e32 v5, 0x7f800000, v9, vcc_lo
	;; [unrolled: 18-line block ×3, first 2 shown]
	v_mul_f32_e32 v9, 0x3fb8aa3b, v14
	v_cmp_ngt_f32_e32 vcc_lo, 0xc2ce8ed0, v14
	v_fma_f32 v11, 0x3fb8aa3b, v14, -v9
	v_rndne_f32_e32 v94, v9
	s_delay_alu instid0(VALU_DEP_2) | instskip(NEXT) | instid1(VALU_DEP_2)
	v_fmac_f32_e32 v11, 0x32a5705f, v14
	v_sub_f32_e32 v9, v9, v94
	s_delay_alu instid0(VALU_DEP_1) | instskip(SKIP_1) | instid1(VALU_DEP_2)
	v_add_f32_e32 v9, v9, v11
	v_cvt_i32_f32_e32 v11, v94
	v_exp_f32_e32 v9, v9
	v_nop
	s_delay_alu instid0(TRANS32_DEP_1) | instskip(NEXT) | instid1(VALU_DEP_1)
	v_ldexp_f32 v9, v9, v11
	v_cndmask_b32_e32 v9, 0, v9, vcc_lo
	v_cmp_nlt_f32_e32 vcc_lo, 0x42b17218, v14
	s_delay_alu instid0(VALU_DEP_2) | instskip(NEXT) | instid1(VALU_DEP_1)
	v_dual_sub_f32 v14, v96, v22 :: v_dual_cndmask_b32 v9, 0x7f800000, v9
	v_mul_f32_e32 v94, 0x3fb8aa3b, v14
	v_cmp_ngt_f32_e32 vcc_lo, 0xc2ce8ed0, v14
	s_delay_alu instid0(VALU_DEP_2) | instskip(SKIP_1) | instid1(VALU_DEP_1)
	v_fma_f32 v95, 0x3fb8aa3b, v14, -v94
	v_rndne_f32_e32 v96, v94
	v_dual_fmac_f32 v95, 0x32a5705f, v14 :: v_dual_sub_f32 v94, v94, v96
	s_delay_alu instid0(VALU_DEP_1) | instskip(SKIP_1) | instid1(VALU_DEP_2)
	v_add_f32_e32 v94, v94, v95
	v_cvt_i32_f32_e32 v95, v96
	v_exp_f32_e32 v94, v94
	v_nop
	s_delay_alu instid0(TRANS32_DEP_1) | instskip(NEXT) | instid1(VALU_DEP_1)
	v_ldexp_f32 v94, v94, v95
	v_cndmask_b32_e32 v94, 0, v94, vcc_lo
	v_cmp_nlt_f32_e32 vcc_lo, 0x42b17218, v14
	s_delay_alu instid0(VALU_DEP_2) | instskip(SKIP_2) | instid1(VALU_DEP_2)
	v_cndmask_b32_e32 v14, 0x7f800000, v94, vcc_lo
	v_mul_f32_e32 v94, 0x3fb8aa3b, v15
	v_cmp_ngt_f32_e32 vcc_lo, 0xc2ce8ed0, v15
	v_fma_f32 v95, 0x3fb8aa3b, v15, -v94
	v_rndne_f32_e32 v96, v94
	s_delay_alu instid0(VALU_DEP_1) | instskip(NEXT) | instid1(VALU_DEP_1)
	v_dual_fmac_f32 v95, 0x32a5705f, v15 :: v_dual_sub_f32 v94, v94, v96
	v_add_f32_e32 v94, v94, v95
	v_cvt_i32_f32_e32 v95, v96
	s_delay_alu instid0(VALU_DEP_2) | instskip(SKIP_1) | instid1(TRANS32_DEP_1)
	v_exp_f32_e32 v94, v94
	v_nop
	v_ldexp_f32 v94, v94, v95
	s_delay_alu instid0(VALU_DEP_1) | instskip(SKIP_2) | instid1(VALU_DEP_3)
	v_cndmask_b32_e32 v94, 0, v94, vcc_lo
	v_cmp_nlt_f32_e32 vcc_lo, 0x42b17218, v15
	v_mul_f32_e32 v15, 0x3fb8aa3b, v13
	v_cndmask_b32_e32 v94, 0x7f800000, v94, vcc_lo
	s_delay_alu instid0(VALU_DEP_2) | instskip(SKIP_2) | instid1(VALU_DEP_3)
	v_fma_f32 v95, 0x3fb8aa3b, v13, -v15
	v_rndne_f32_e32 v96, v15
	v_cmp_ngt_f32_e32 vcc_lo, 0xc2ce8ed0, v13
	v_fmac_f32_e32 v95, 0x32a5705f, v13
	s_delay_alu instid0(VALU_DEP_3) | instskip(NEXT) | instid1(VALU_DEP_1)
	v_sub_f32_e32 v15, v15, v96
	v_add_f32_e32 v15, v15, v95
	v_cvt_i32_f32_e32 v95, v96
	s_delay_alu instid0(VALU_DEP_2) | instskip(SKIP_1) | instid1(TRANS32_DEP_1)
	v_exp_f32_e32 v15, v15
	v_nop
	v_ldexp_f32 v15, v15, v95
	s_delay_alu instid0(VALU_DEP_1) | instskip(SKIP_2) | instid1(VALU_DEP_3)
	v_cndmask_b32_e32 v15, 0, v15, vcc_lo
	v_cmp_nlt_f32_e32 vcc_lo, 0x42b17218, v13
	v_mul_f32_e32 v13, 0x3fb8aa3b, v12
	v_cndmask_b32_e32 v96, 0x7f800000, v15, vcc_lo
	s_delay_alu instid0(VALU_DEP_2) | instskip(SKIP_2) | instid1(VALU_DEP_3)
	v_fma_f32 v15, 0x3fb8aa3b, v12, -v13
	v_rndne_f32_e32 v95, v13
	v_cmp_ngt_f32_e32 vcc_lo, 0xc2ce8ed0, v12
	v_fmac_f32_e32 v15, 0x32a5705f, v12
	s_delay_alu instid0(VALU_DEP_3) | instskip(NEXT) | instid1(VALU_DEP_1)
	v_sub_f32_e32 v13, v13, v95
	v_add_f32_e32 v13, v13, v15
	v_cvt_i32_f32_e32 v15, v95
	s_delay_alu instid0(VALU_DEP_2) | instskip(SKIP_1) | instid1(TRANS32_DEP_1)
	v_exp_f32_e32 v13, v13
	v_nop
	v_ldexp_f32 v13, v13, v15
	s_delay_alu instid0(VALU_DEP_1) | instskip(SKIP_2) | instid1(VALU_DEP_3)
	v_cndmask_b32_e32 v13, 0, v13, vcc_lo
	v_cmp_nlt_f32_e32 vcc_lo, 0x42b17218, v12
	v_mul_f32_e32 v12, 0x3fb8aa3b, v93
	v_cndmask_b32_e32 v98, 0x7f800000, v13, vcc_lo
	s_delay_alu instid0(VALU_DEP_2) | instskip(SKIP_2) | instid1(VALU_DEP_2)
	v_fma_f32 v13, 0x3fb8aa3b, v93, -v12
	v_rndne_f32_e32 v15, v12
	v_cmp_ngt_f32_e32 vcc_lo, 0xc2ce8ed0, v93
	v_dual_fmac_f32 v13, 0x32a5705f, v93 :: v_dual_sub_f32 v12, v12, v15
	s_delay_alu instid0(VALU_DEP_1) | instskip(SKIP_2) | instid1(VALU_DEP_3)
	v_add_f32_e32 v12, v12, v13
	v_cvt_i32_f32_e32 v13, v15
	v_sub_f32_e32 v15, v103, v23
	v_exp_f32_e32 v12, v12
	v_nop
	s_delay_alu instid0(TRANS32_DEP_1) | instskip(SKIP_2) | instid1(VALU_DEP_3)
	v_ldexp_f32 v12, v12, v13
	v_sub_f32_e32 v13, v92, v23
	v_mul_f32_e32 v92, 0x3fb8aa3b, v15
	v_cndmask_b32_e32 v12, 0, v12, vcc_lo
	v_cmp_nlt_f32_e32 vcc_lo, 0x42b17218, v93
	s_delay_alu instid0(VALU_DEP_3) | instskip(SKIP_1) | instid1(VALU_DEP_4)
	v_fma_f32 v93, 0x3fb8aa3b, v15, -v92
	v_rndne_f32_e32 v95, v92
	v_cndmask_b32_e32 v100, 0x7f800000, v12, vcc_lo
	s_delay_alu instid0(VALU_DEP_3) | instskip(NEXT) | instid1(VALU_DEP_3)
	v_fmac_f32_e32 v93, 0x32a5705f, v15
	v_sub_f32_e32 v92, v92, v95
	v_cmp_ngt_f32_e32 vcc_lo, 0xc2ce8ed0, v15
	v_cvt_f16_f32_e32 v11, v9
	v_cvt_f16_f32_e32 v12, v100
	s_delay_alu instid0(VALU_DEP_4) | instskip(SKIP_1) | instid1(VALU_DEP_4)
	v_add_f32_e32 v92, v92, v93
	v_cvt_i32_f32_e32 v93, v95
	v_and_b32_e32 v11, 0xffff, v11
	s_delay_alu instid0(VALU_DEP_4) | instskip(NEXT) | instid1(VALU_DEP_4)
	v_and_b32_e32 v12, 0xffff, v12
	v_exp_f32_e32 v92, v92
	s_delay_alu instid0(VALU_DEP_2) | instskip(NEXT) | instid1(VALU_DEP_2)
	v_mul_u32_u24_e32 v11, 0x10001, v11
	v_mul_u32_u24_e32 v12, 0x10001, v12
	s_delay_alu instid0(TRANS32_DEP_1) | instskip(NEXT) | instid1(VALU_DEP_1)
	v_ldexp_f32 v92, v92, v93
	v_cndmask_b32_e32 v92, 0, v92, vcc_lo
	v_cmp_nlt_f32_e32 vcc_lo, 0x42b17218, v15
	s_delay_alu instid0(VALU_DEP_2) | instskip(NEXT) | instid1(VALU_DEP_1)
	v_dual_cndmask_b32 v15, 0x7f800000, v92 :: v_dual_sub_f32 v92, v102, v23
	v_mul_f32_e32 v93, 0x3fb8aa3b, v92
	v_cmp_ngt_f32_e32 vcc_lo, 0xc2ce8ed0, v92
	s_delay_alu instid0(VALU_DEP_2) | instskip(SKIP_1) | instid1(VALU_DEP_2)
	v_fma_f32 v95, 0x3fb8aa3b, v92, -v93
	v_rndne_f32_e32 v97, v93
	v_fmac_f32_e32 v95, 0x32a5705f, v92
	s_delay_alu instid0(VALU_DEP_2) | instskip(NEXT) | instid1(VALU_DEP_1)
	v_sub_f32_e32 v93, v93, v97
	v_add_f32_e32 v93, v93, v95
	v_cvt_i32_f32_e32 v95, v97
	s_delay_alu instid0(VALU_DEP_2) | instskip(SKIP_1) | instid1(TRANS32_DEP_1)
	v_exp_f32_e32 v93, v93
	v_nop
	v_ldexp_f32 v93, v93, v95
	s_delay_alu instid0(VALU_DEP_1) | instskip(SKIP_1) | instid1(VALU_DEP_2)
	v_cndmask_b32_e32 v93, 0, v93, vcc_lo
	v_cmp_nlt_f32_e32 vcc_lo, 0x42b17218, v92
	v_dual_sub_f32 v92, v101, v23 :: v_dual_cndmask_b32 v95, 0x7f800000, v93
	s_delay_alu instid0(VALU_DEP_1) | instskip(SKIP_1) | instid1(VALU_DEP_2)
	v_mul_f32_e32 v93, 0x3fb8aa3b, v92
	v_cmp_ngt_f32_e32 vcc_lo, 0xc2ce8ed0, v92
	v_fma_f32 v97, 0x3fb8aa3b, v92, -v93
	v_rndne_f32_e32 v101, v93
	s_delay_alu instid0(VALU_DEP_2) | instskip(NEXT) | instid1(VALU_DEP_2)
	v_fmac_f32_e32 v97, 0x32a5705f, v92
	v_sub_f32_e32 v93, v93, v101
	s_delay_alu instid0(VALU_DEP_1) | instskip(SKIP_1) | instid1(VALU_DEP_2)
	v_add_f32_e32 v93, v93, v97
	v_cvt_i32_f32_e32 v97, v101
	v_exp_f32_e32 v93, v93
	v_nop
	s_delay_alu instid0(TRANS32_DEP_1) | instskip(NEXT) | instid1(VALU_DEP_1)
	v_ldexp_f32 v93, v93, v97
	v_cndmask_b32_e32 v93, 0, v93, vcc_lo
	v_cmp_nlt_f32_e32 vcc_lo, 0x42b17218, v92
	s_delay_alu instid0(VALU_DEP_2) | instskip(NEXT) | instid1(VALU_DEP_1)
	v_dual_sub_f32 v92, v99, v23 :: v_dual_cndmask_b32 v97, 0x7f800000, v93
	v_mul_f32_e32 v93, 0x3fb8aa3b, v92
	v_cmp_ngt_f32_e32 vcc_lo, 0xc2ce8ed0, v92
	s_delay_alu instid0(VALU_DEP_2) | instskip(SKIP_1) | instid1(VALU_DEP_2)
	v_fma_f32 v99, 0x3fb8aa3b, v92, -v93
	v_rndne_f32_e32 v101, v93
	v_fmac_f32_e32 v99, 0x32a5705f, v92
	s_delay_alu instid0(VALU_DEP_2) | instskip(NEXT) | instid1(VALU_DEP_1)
	v_sub_f32_e32 v93, v93, v101
	v_add_f32_e32 v93, v93, v99
	v_cvt_i32_f32_e32 v99, v101
	s_delay_alu instid0(VALU_DEP_2) | instskip(SKIP_1) | instid1(TRANS32_DEP_1)
	v_exp_f32_e32 v93, v93
	v_nop
	v_ldexp_f32 v93, v93, v99
	s_delay_alu instid0(VALU_DEP_1) | instskip(SKIP_2) | instid1(VALU_DEP_3)
	v_cndmask_b32_e32 v93, 0, v93, vcc_lo
	v_cmp_nlt_f32_e32 vcc_lo, 0x42b17218, v92
	v_mul_f32_e32 v92, 0x3fb8aa3b, v13
	v_cndmask_b32_e32 v99, 0x7f800000, v93, vcc_lo
	s_delay_alu instid0(VALU_DEP_2) | instskip(SKIP_2) | instid1(VALU_DEP_3)
	v_fma_f32 v93, 0x3fb8aa3b, v13, -v92
	v_rndne_f32_e32 v101, v92
	v_cmp_ngt_f32_e32 vcc_lo, 0xc2ce8ed0, v13
	v_fmac_f32_e32 v93, 0x32a5705f, v13
	s_delay_alu instid0(VALU_DEP_3) | instskip(NEXT) | instid1(VALU_DEP_1)
	v_sub_f32_e32 v92, v92, v101
	v_add_f32_e32 v92, v92, v93
	v_cvt_i32_f32_e32 v93, v101
	v_pk_add_f32 v[102:103], v[14:15], v[94:95]
	v_cvt_pk_f16_f32 v15, v14, v15
	v_cvt_pk_f16_f32 v14, v0, v1
	v_exp_f32_e32 v92, v92
	s_delay_alu instid0(VALU_DEP_3) | instskip(NEXT) | instid1(TRANS32_DEP_1)
	v_pk_add_f32 v[102:103], v[96:97], v[102:103]
	v_ldexp_f32 v92, v92, v93
	s_delay_alu instid0(VALU_DEP_2) | instskip(NEXT) | instid1(VALU_DEP_2)
	v_pk_add_f32 v[102:103], v[98:99], v[102:103]
	v_cndmask_b32_e32 v92, 0, v92, vcc_lo
	v_cmp_nlt_f32_e32 vcc_lo, 0x42b17218, v13
	s_delay_alu instid0(VALU_DEP_2)
	v_cndmask_b32_e32 v101, 0x7f800000, v92, vcc_lo
	v_pk_add_f32 v[92:93], v[0:1], v[2:3]
	v_cvt_pk_f16_f32 v1, v94, v95
	v_cvt_pk_f16_f32 v0, v2, v3
	;; [unrolled: 1-line block ×4, first 2 shown]
	v_pk_add_f32 v[92:93], v[4:5], v[92:93]
	ds_store_2addr_b64 v49, v[14:15], v[0:1] offset1:32
	v_cvt_pk_f16_f32 v1, v96, v97
	v_cvt_pk_f16_f32 v0, v4, v5
	v_pk_add_f32 v[92:93], v[6:7], v[92:93]
	ds_store_2addr_b64 v49, v[0:1], v[2:3] offset0:64 offset1:96
	v_lshl_add_u64 v[2:3], v[32:33], 2, s[12:13]
	v_pk_fma_f32 v[16:17], v[16:17], v[8:9], v[92:93]
	v_lshl_add_u64 v[0:1], v[28:29], 2, s[12:13]
	v_cvt_f16_f32_e32 v8, v101
	s_delay_alu instid0(VALU_DEP_4) | instskip(SKIP_1) | instid1(VALU_DEP_4)
	v_add_nc_u64_e32 v[4:5], v[2:3], v[24:25]
	v_lshl_add_u64 v[2:3], v[36:37], 2, s[12:13]
	v_add_nc_u64_e32 v[0:1], v[0:1], v[24:25]
	s_delay_alu instid0(VALU_DEP_4) | instskip(NEXT) | instid1(VALU_DEP_3)
	v_and_b32_e32 v8, 0xffff, v8
	v_add_nc_u64_e32 v[6:7], v[2:3], v[24:25]
	v_lshl_add_u64 v[2:3], v[40:41], 2, s[12:13]
	s_delay_alu instid0(VALU_DEP_3) | instskip(NEXT) | instid1(VALU_DEP_2)
	v_mul_u32_u24_e32 v8, 0x10001, v8
	v_add_nc_u64_e32 v[14:15], v[2:3], v[24:25]
	v_lshl_add_u64 v[2:3], v[54:55], 2, s[12:13]
	s_delay_alu instid0(VALU_DEP_3) | instskip(NEXT) | instid1(VALU_DEP_2)
	v_pk_mul_f16 v8, v91, v8
	v_add_nc_u64_e32 v[92:93], v[2:3], v[24:25]
	v_lshl_add_u64 v[2:3], v[58:59], 2, s[12:13]
	s_delay_alu instid0(VALU_DEP_1) | instskip(SKIP_1) | instid1(VALU_DEP_1)
	v_add_nc_u64_e32 v[94:95], v[2:3], v[24:25]
	v_lshl_add_u64 v[2:3], v[62:63], 2, s[12:13]
	v_add_nc_u64_e32 v[96:97], v[2:3], v[24:25]
	v_lshl_add_u64 v[2:3], v[66:67], 2, s[12:13]
	s_delay_alu instid0(VALU_DEP_1)
	v_add_nc_u64_e32 v[98:99], v[2:3], v[24:25]
	global_load_b128 v[0:3], v[0:1], off
	s_wait_loadcnt 0x0
	ds_store_b128 v84, v[0:3]
	global_load_b128 v[0:3], v[4:5], off
	s_wait_xcnt 0x0
	v_add_nc_u32_e32 v4, 0x800, v84
	s_wait_loadcnt 0x0
	ds_store_b128 v4, v[0:3]
	global_load_b128 v[0:3], v[6:7], off
	v_add_nc_u32_e32 v4, 0x1000, v84
	s_wait_loadcnt 0x0
	ds_store_b128 v4, v[0:3]
	global_load_b128 v[0:3], v[14:15], off
	;; [unrolled: 4-line block ×6, first 2 shown]
	s_wait_loadcnt 0x0
	ds_store_b128 v89, v[0:3]
	s_wait_dscnt 0x0
	s_barrier_signal -1
	s_barrier_wait -1
	ds_load_2addr_b32 v[14:15], v76 offset1:32
	ds_load_b128 v[92:95], v47
	ds_load_b128 v[96:99], v47 offset:16
	ds_load_b128 v[4:7], v47 offset:32
	;; [unrolled: 1-line block ×3, first 2 shown]
	s_wait_dscnt 0x3
	v_lshrrev_b32_e32 v9, 16, v92
	v_and_b32_e32 v91, 0xffff, v92
	v_and_b32_e32 v92, 0xffff, v93
	v_lshrrev_b32_e32 v13, 16, v93
	s_delay_alu instid0(VALU_DEP_4) | instskip(NEXT) | instid1(VALU_DEP_4)
	v_mul_u32_u24_e32 v9, 0x10001, v9
	v_mul_u32_u24_e32 v91, 0x10001, v91
	s_delay_alu instid0(VALU_DEP_4) | instskip(NEXT) | instid1(VALU_DEP_4)
	v_mul_u32_u24_e32 v92, 0x10001, v92
	v_mul_u32_u24_e32 v13, 0x10001, v13
	s_delay_alu instid0(VALU_DEP_4) | instskip(NEXT) | instid1(VALU_DEP_4)
	v_pk_mul_f16 v9, v14, v9
	v_pk_mul_f16 v91, v14, v91
	s_delay_alu instid0(VALU_DEP_3) | instskip(SKIP_1) | instid1(VALU_DEP_4)
	v_pk_fma_f16 v8, v14, v13, v8
	v_lshrrev_b32_e32 v13, 16, v95
	v_pk_fma_f16 v9, v81, v11, v9
	v_pk_mul_f16 v11, v14, v92
	v_and_b32_e32 v14, 0xffff, v94
	v_pk_fma_f16 v10, v82, v10, v91
	v_mul_u32_u24_e32 v13, 0x10001, v13
	s_wait_dscnt 0x2
	v_and_b32_e32 v81, 0xffff, v97
	v_pk_fma_f16 v11, v80, v12, v11
	v_lshrrev_b32_e32 v12, 16, v94
	v_and_b32_e32 v80, 0xffff, v95
	v_pk_fma_f16 v13, v15, v13, v8
	v_mul_u32_u24_e32 v14, 0x10001, v14
	v_mul_u32_u24_e32 v81, 0x10001, v81
	;; [unrolled: 1-line block ×4, first 2 shown]
	s_delay_alu instid0(VALU_DEP_4) | instskip(SKIP_1) | instid1(VALU_DEP_4)
	v_pk_fma_f16 v10, v15, v14, v10
	v_lshrrev_b32_e32 v14, 16, v96
	v_pk_fma_f16 v12, v15, v12, v9
	ds_load_2addr_b32 v[8:9], v76 offset0:64 offset1:96
	v_pk_fma_f16 v11, v15, v80, v11
	v_lshrrev_b32_e32 v15, 16, v97
	v_and_b32_e32 v80, 0xffff, v96
	v_mul_u32_u24_e32 v14, 0x10001, v14
	s_delay_alu instid0(VALU_DEP_3) | instskip(NEXT) | instid1(VALU_DEP_3)
	v_mul_u32_u24_e32 v15, 0x10001, v15
	v_mul_u32_u24_e32 v80, 0x10001, v80
	s_wait_dscnt 0x0
	s_delay_alu instid0(VALU_DEP_1)
	v_pk_fma_f16 v10, v8, v80, v10
	v_pk_fma_f16 v12, v8, v14, v12
	;; [unrolled: 1-line block ×4, first 2 shown]
	v_dual_lshrrev_b32 v13, 16, v98 :: v_dual_lshrrev_b32 v14, 16, v99
	v_and_b32_e32 v15, 0xffff, v98
	v_and_b32_e32 v80, 0xffff, v99
	s_delay_alu instid0(VALU_DEP_3) | instskip(NEXT) | instid1(VALU_DEP_4)
	v_mul_u32_u24_e32 v13, 0x10001, v13
	v_mul_u32_u24_e32 v14, 0x10001, v14
	s_delay_alu instid0(VALU_DEP_4) | instskip(NEXT) | instid1(VALU_DEP_4)
	v_mul_u32_u24_e32 v15, 0x10001, v15
	v_mul_u32_u24_e32 v80, 0x10001, v80
	s_delay_alu instid0(VALU_DEP_4) | instskip(NEXT) | instid1(VALU_DEP_4)
	v_pk_fma_f16 v12, v9, v13, v12
	v_pk_fma_f16 v13, v9, v14, v8
	s_delay_alu instid0(VALU_DEP_4) | instskip(NEXT) | instid1(VALU_DEP_4)
	v_pk_fma_f16 v10, v9, v15, v10
	v_pk_fma_f16 v11, v9, v80, v11
	ds_load_2addr_b32 v[8:9], v76 offset0:128 offset1:160
	v_dual_lshrrev_b32 v14, 16, v4 :: v_dual_lshrrev_b32 v15, 16, v5
	v_and_b32_e32 v4, 0xffff, v4
	v_and_b32_e32 v5, 0xffff, v5
	s_delay_alu instid0(VALU_DEP_3) | instskip(NEXT) | instid1(VALU_DEP_4)
	v_mul_u32_u24_e32 v14, 0x10001, v14
	v_mul_u32_u24_e32 v15, 0x10001, v15
	s_delay_alu instid0(VALU_DEP_4) | instskip(NEXT) | instid1(VALU_DEP_4)
	v_mul_u32_u24_e32 v4, 0x10001, v4
	v_mul_u32_u24_e32 v5, 0x10001, v5
	s_wait_dscnt 0x0
	s_delay_alu instid0(VALU_DEP_2) | instskip(SKIP_1) | instid1(VALU_DEP_3)
	v_pk_fma_f16 v4, v8, v4, v10
	v_pk_fma_f16 v10, v8, v14, v12
	;; [unrolled: 1-line block ×3, first 2 shown]
	v_dual_lshrrev_b32 v11, 16, v6 :: v_dual_lshrrev_b32 v12, 16, v7
	v_and_b32_e32 v6, 0xffff, v6
	v_and_b32_e32 v7, 0xffff, v7
	v_pk_fma_f16 v8, v8, v15, v13
	s_delay_alu instid0(VALU_DEP_4) | instskip(SKIP_3) | instid1(VALU_DEP_4)
	v_mul_u32_u24_e32 v11, 0x10001, v11
	v_mul_u32_u24_e32 v12, 0x10001, v12
	;; [unrolled: 1-line block ×4, first 2 shown]
	v_pk_fma_f16 v10, v9, v11, v10
	v_lshrrev_b32_e32 v11, 16, v1
	s_delay_alu instid0(VALU_DEP_4) | instskip(NEXT) | instid1(VALU_DEP_4)
	v_pk_fma_f16 v6, v9, v6, v4
	v_pk_fma_f16 v7, v9, v7, v5
	ds_load_2addr_b32 v[4:5], v76 offset0:192 offset1:224
	v_and_b32_e32 v1, 0xffff, v1
	v_pk_fma_f16 v8, v9, v12, v8
	v_lshrrev_b32_e32 v9, 16, v0
	v_and_b32_e32 v0, 0xffff, v0
	s_delay_alu instid0(VALU_DEP_4) | instskip(NEXT) | instid1(VALU_DEP_3)
	v_mul_u32_u24_e32 v1, 0x10001, v1
	v_mul_u32_u24_e32 v9, 0x10001, v9
	s_delay_alu instid0(VALU_DEP_3) | instskip(SKIP_1) | instid1(VALU_DEP_3)
	v_mul_u32_u24_e32 v0, 0x10001, v0
	s_wait_dscnt 0x0
	v_pk_fma_f16 v1, v4, v1, v7
	v_lshrrev_b32_e32 v7, 16, v2
	v_mul_u32_u24_e32 v11, 0x10001, v11
	v_pk_fma_f16 v0, v4, v0, v6
	v_pk_fma_f16 v6, v4, v9, v10
	v_and_b32_e32 v2, 0xffff, v2
	v_mul_u32_u24_e32 v7, 0x10001, v7
	v_pk_fma_f16 v4, v4, v11, v8
	v_lshrrev_b32_e32 v8, 16, v3
	v_and_b32_e32 v3, 0xffff, v3
	v_mul_u32_u24_e32 v2, 0x10001, v2
	v_add_nc_u32_e32 v10, 0x400, v76
	v_pk_fma_f16 v6, v5, v7, v6
	v_mul_u32_u24_e32 v8, 0x10001, v8
	v_mul_u32_u24_e32 v3, 0x10001, v3
	v_pk_fma_f16 v9, v5, v2, v0
	s_delay_alu instid0(VALU_DEP_3) | instskip(NEXT) | instid1(VALU_DEP_3)
	v_pk_fma_f16 v8, v5, v8, v4
	v_pk_fma_f16 v7, v5, v3, v1
	ds_load_2addr_b32 v[4:5], v10 offset1:32
	ds_load_b128 v[0:3], v47 offset:64
	s_wait_dscnt 0x0
	v_lshrrev_b32_e32 v12, 16, v1
	v_and_b32_e32 v1, 0xffff, v1
	v_lshrrev_b32_e32 v11, 16, v0
	v_and_b32_e32 v0, 0xffff, v0
	s_delay_alu instid0(VALU_DEP_4) | instskip(NEXT) | instid1(VALU_DEP_4)
	v_mul_u32_u24_e32 v12, 0x10001, v12
	v_mul_u32_u24_e32 v1, 0x10001, v1
	s_delay_alu instid0(VALU_DEP_3) | instskip(NEXT) | instid1(VALU_DEP_2)
	v_mul_u32_u24_e32 v0, 0x10001, v0
	v_pk_fma_f16 v1, v4, v1, v7
	v_lshrrev_b32_e32 v7, 16, v2
	v_mul_u32_u24_e32 v11, 0x10001, v11
	s_delay_alu instid0(VALU_DEP_4) | instskip(SKIP_1) | instid1(VALU_DEP_4)
	v_pk_fma_f16 v0, v4, v0, v9
	v_and_b32_e32 v2, 0xffff, v2
	v_mul_u32_u24_e32 v7, 0x10001, v7
	s_delay_alu instid0(VALU_DEP_4)
	v_pk_fma_f16 v6, v4, v11, v6
	v_pk_fma_f16 v4, v4, v12, v8
	v_lshrrev_b32_e32 v8, 16, v3
	v_and_b32_e32 v3, 0xffff, v3
	v_mul_u32_u24_e32 v2, 0x10001, v2
	v_pk_fma_f16 v6, v5, v7, v6
	s_delay_alu instid0(VALU_DEP_4) | instskip(NEXT) | instid1(VALU_DEP_4)
	v_mul_u32_u24_e32 v8, 0x10001, v8
	v_mul_u32_u24_e32 v3, 0x10001, v3
	s_delay_alu instid0(VALU_DEP_4) | instskip(NEXT) | instid1(VALU_DEP_3)
	v_pk_fma_f16 v9, v5, v2, v0
	v_pk_fma_f16 v8, v5, v8, v4
	s_delay_alu instid0(VALU_DEP_3)
	v_pk_fma_f16 v7, v5, v3, v1
	ds_load_2addr_b32 v[4:5], v10 offset0:64 offset1:96
	ds_load_b128 v[0:3], v47 offset:80
	s_wait_dscnt 0x0
	v_lshrrev_b32_e32 v12, 16, v1
	v_and_b32_e32 v1, 0xffff, v1
	v_lshrrev_b32_e32 v11, 16, v0
	v_and_b32_e32 v0, 0xffff, v0
	v_pk_fma_f32 v[18:19], v[18:19], v[100:101], v[102:103]
	v_mul_u32_u24_e32 v12, 0x10001, v12
	v_mul_u32_u24_e32 v1, 0x10001, v1
	s_delay_alu instid0(VALU_DEP_4) | instskip(NEXT) | instid1(VALU_DEP_2)
	v_mul_u32_u24_e32 v0, 0x10001, v0
	v_pk_fma_f16 v1, v4, v1, v7
	v_lshrrev_b32_e32 v7, 16, v2
	v_mul_u32_u24_e32 v11, 0x10001, v11
	s_delay_alu instid0(VALU_DEP_4) | instskip(SKIP_1) | instid1(VALU_DEP_4)
	v_pk_fma_f16 v0, v4, v0, v9
	v_and_b32_e32 v2, 0xffff, v2
	v_mul_u32_u24_e32 v7, 0x10001, v7
	s_delay_alu instid0(VALU_DEP_4)
	v_pk_fma_f16 v6, v4, v11, v6
	v_pk_fma_f16 v4, v4, v12, v8
	v_lshrrev_b32_e32 v8, 16, v3
	v_and_b32_e32 v3, 0xffff, v3
	v_mul_u32_u24_e32 v2, 0x10001, v2
	v_pk_fma_f16 v6, v5, v7, v6
	s_delay_alu instid0(VALU_DEP_4) | instskip(NEXT) | instid1(VALU_DEP_4)
	v_mul_u32_u24_e32 v8, 0x10001, v8
	v_mul_u32_u24_e32 v3, 0x10001, v3
	s_delay_alu instid0(VALU_DEP_4) | instskip(NEXT) | instid1(VALU_DEP_3)
	v_pk_fma_f16 v9, v5, v2, v0
	v_pk_fma_f16 v8, v5, v8, v4
	s_delay_alu instid0(VALU_DEP_3)
	v_pk_fma_f16 v7, v5, v3, v1
	ds_load_2addr_b32 v[4:5], v10 offset0:128 offset1:160
	ds_load_b128 v[0:3], v47 offset:96
	s_wait_dscnt 0x0
	v_lshrrev_b32_e32 v12, 16, v1
	v_and_b32_e32 v1, 0xffff, v1
	v_lshrrev_b32_e32 v11, 16, v0
	v_and_b32_e32 v0, 0xffff, v0
	s_delay_alu instid0(VALU_DEP_3) | instskip(NEXT) | instid1(VALU_DEP_3)
	v_mul_u32_u24_e32 v1, 0x10001, v1
	v_mul_u32_u24_e32 v11, 0x10001, v11
	s_delay_alu instid0(VALU_DEP_3) | instskip(NEXT) | instid1(VALU_DEP_3)
	v_mul_u32_u24_e32 v0, 0x10001, v0
	v_pk_fma_f16 v1, v4, v1, v7
	v_lshrrev_b32_e32 v7, 16, v2
	v_mul_u32_u24_e32 v12, 0x10001, v12
	s_delay_alu instid0(VALU_DEP_4)
	v_pk_fma_f16 v0, v4, v0, v9
	v_pk_fma_f16 v6, v4, v11, v6
	v_and_b32_e32 v2, 0xffff, v2
	v_mul_u32_u24_e32 v7, 0x10001, v7
	v_pk_fma_f16 v4, v4, v12, v8
	v_lshrrev_b32_e32 v8, 16, v3
	v_and_b32_e32 v3, 0xffff, v3
	v_mul_u32_u24_e32 v2, 0x10001, v2
	v_pk_fma_f16 v6, v5, v7, v6
	s_delay_alu instid0(VALU_DEP_4) | instskip(NEXT) | instid1(VALU_DEP_4)
	v_mul_u32_u24_e32 v8, 0x10001, v8
	v_mul_u32_u24_e32 v3, 0x10001, v3
	s_delay_alu instid0(VALU_DEP_4) | instskip(NEXT) | instid1(VALU_DEP_3)
	v_pk_fma_f16 v9, v5, v2, v0
	v_pk_fma_f16 v8, v5, v8, v4
	s_delay_alu instid0(VALU_DEP_3)
	v_pk_fma_f16 v7, v5, v3, v1
	ds_load_2addr_b32 v[4:5], v10 offset0:192 offset1:224
	ds_load_b128 v[0:3], v47 offset:112
	s_wait_dscnt 0x0
	v_lshrrev_b32_e32 v11, 16, v1
	v_and_b32_e32 v1, 0xffff, v1
	v_lshrrev_b32_e32 v10, 16, v0
	v_and_b32_e32 v0, 0xffff, v0
	s_delay_alu instid0(VALU_DEP_3) | instskip(NEXT) | instid1(VALU_DEP_3)
	v_mul_u32_u24_e32 v1, 0x10001, v1
	v_mul_u32_u24_e32 v10, 0x10001, v10
	s_delay_alu instid0(VALU_DEP_3) | instskip(NEXT) | instid1(VALU_DEP_3)
	v_mul_u32_u24_e32 v0, 0x10001, v0
	v_pk_fma_f16 v1, v4, v1, v7
	v_lshrrev_b32_e32 v7, 16, v2
	v_mul_u32_u24_e32 v11, 0x10001, v11
	s_delay_alu instid0(VALU_DEP_4)
	v_pk_fma_f16 v0, v4, v0, v9
	v_pk_fma_f16 v6, v4, v10, v6
	v_and_b32_e32 v2, 0xffff, v2
	v_mul_u32_u24_e32 v7, 0x10001, v7
	v_pk_fma_f16 v4, v4, v11, v8
	v_lshrrev_b32_e32 v8, 16, v3
	v_and_b32_e32 v3, 0xffff, v3
	v_mul_u32_u24_e32 v2, 0x10001, v2
	v_add_nc_u32_e32 v10, 0x800, v76
	v_pk_fma_f16 v6, v5, v7, v6
	v_mul_u32_u24_e32 v8, 0x10001, v8
	v_mul_u32_u24_e32 v3, 0x10001, v3
	v_pk_fma_f16 v9, v5, v2, v0
	s_delay_alu instid0(VALU_DEP_3) | instskip(NEXT) | instid1(VALU_DEP_3)
	v_pk_fma_f16 v8, v5, v8, v4
	v_pk_fma_f16 v7, v5, v3, v1
	ds_load_2addr_b32 v[4:5], v10 offset1:32
	ds_load_b128 v[0:3], v47 offset:128
	s_wait_dscnt 0x0
	v_lshrrev_b32_e32 v12, 16, v1
	v_and_b32_e32 v1, 0xffff, v1
	v_lshrrev_b32_e32 v11, 16, v0
	v_and_b32_e32 v0, 0xffff, v0
	s_delay_alu instid0(VALU_DEP_3) | instskip(NEXT) | instid1(VALU_DEP_3)
	v_mul_u32_u24_e32 v1, 0x10001, v1
	v_mul_u32_u24_e32 v11, 0x10001, v11
	s_delay_alu instid0(VALU_DEP_3) | instskip(NEXT) | instid1(VALU_DEP_3)
	v_mul_u32_u24_e32 v0, 0x10001, v0
	v_pk_fma_f16 v1, v4, v1, v7
	v_lshrrev_b32_e32 v7, 16, v2
	v_mul_u32_u24_e32 v12, 0x10001, v12
	s_delay_alu instid0(VALU_DEP_4)
	v_pk_fma_f16 v0, v4, v0, v9
	v_pk_fma_f16 v6, v4, v11, v6
	v_and_b32_e32 v2, 0xffff, v2
	v_mul_u32_u24_e32 v7, 0x10001, v7
	v_pk_fma_f16 v4, v4, v12, v8
	v_lshrrev_b32_e32 v8, 16, v3
	v_and_b32_e32 v3, 0xffff, v3
	v_mul_u32_u24_e32 v2, 0x10001, v2
	v_pk_fma_f16 v6, v5, v7, v6
	s_delay_alu instid0(VALU_DEP_4) | instskip(NEXT) | instid1(VALU_DEP_4)
	v_mul_u32_u24_e32 v8, 0x10001, v8
	v_mul_u32_u24_e32 v3, 0x10001, v3
	s_delay_alu instid0(VALU_DEP_4) | instskip(NEXT) | instid1(VALU_DEP_3)
	v_pk_fma_f16 v9, v5, v2, v0
	v_pk_fma_f16 v8, v5, v8, v4
	s_delay_alu instid0(VALU_DEP_3)
	v_pk_fma_f16 v7, v5, v3, v1
	ds_load_2addr_b32 v[4:5], v10 offset0:64 offset1:96
	ds_load_b128 v[0:3], v47 offset:144
	s_wait_dscnt 0x0
	v_lshrrev_b32_e32 v12, 16, v1
	v_and_b32_e32 v1, 0xffff, v1
	v_lshrrev_b32_e32 v11, 16, v0
	v_and_b32_e32 v0, 0xffff, v0
	s_delay_alu instid0(VALU_DEP_3) | instskip(NEXT) | instid1(VALU_DEP_3)
	v_mul_u32_u24_e32 v1, 0x10001, v1
	v_mul_u32_u24_e32 v11, 0x10001, v11
	s_delay_alu instid0(VALU_DEP_3) | instskip(NEXT) | instid1(VALU_DEP_3)
	v_mul_u32_u24_e32 v0, 0x10001, v0
	v_pk_fma_f16 v1, v4, v1, v7
	v_lshrrev_b32_e32 v7, 16, v2
	v_mul_u32_u24_e32 v12, 0x10001, v12
	s_delay_alu instid0(VALU_DEP_4)
	v_pk_fma_f16 v0, v4, v0, v9
	v_pk_fma_f16 v6, v4, v11, v6
	v_and_b32_e32 v2, 0xffff, v2
	v_mul_u32_u24_e32 v7, 0x10001, v7
	v_pk_fma_f16 v4, v4, v12, v8
	v_lshrrev_b32_e32 v8, 16, v3
	v_and_b32_e32 v3, 0xffff, v3
	v_mul_u32_u24_e32 v2, 0x10001, v2
	v_pk_fma_f16 v6, v5, v7, v6
	s_delay_alu instid0(VALU_DEP_4) | instskip(NEXT) | instid1(VALU_DEP_4)
	v_mul_u32_u24_e32 v8, 0x10001, v8
	v_mul_u32_u24_e32 v3, 0x10001, v3
	s_delay_alu instid0(VALU_DEP_4) | instskip(NEXT) | instid1(VALU_DEP_3)
	v_pk_fma_f16 v9, v5, v2, v0
	v_pk_fma_f16 v8, v5, v8, v4
	s_delay_alu instid0(VALU_DEP_3)
	v_pk_fma_f16 v7, v5, v3, v1
	ds_load_2addr_b32 v[4:5], v10 offset0:128 offset1:160
	;; [unrolled: 33-line block ×3, first 2 shown]
	ds_load_b128 v[0:3], v47 offset:176
	s_wait_dscnt 0x0
	v_lshrrev_b32_e32 v11, 16, v1
	v_and_b32_e32 v1, 0xffff, v1
	v_lshrrev_b32_e32 v10, 16, v0
	v_and_b32_e32 v0, 0xffff, v0
	s_delay_alu instid0(VALU_DEP_3) | instskip(NEXT) | instid1(VALU_DEP_3)
	v_mul_u32_u24_e32 v1, 0x10001, v1
	v_mul_u32_u24_e32 v10, 0x10001, v10
	s_delay_alu instid0(VALU_DEP_3) | instskip(NEXT) | instid1(VALU_DEP_3)
	v_mul_u32_u24_e32 v0, 0x10001, v0
	v_pk_fma_f16 v1, v4, v1, v7
	v_lshrrev_b32_e32 v7, 16, v2
	v_mul_u32_u24_e32 v11, 0x10001, v11
	s_delay_alu instid0(VALU_DEP_4)
	v_pk_fma_f16 v0, v4, v0, v9
	v_pk_fma_f16 v6, v4, v10, v6
	v_and_b32_e32 v2, 0xffff, v2
	v_mul_u32_u24_e32 v7, 0x10001, v7
	v_pk_fma_f16 v4, v4, v11, v8
	v_lshrrev_b32_e32 v8, 16, v3
	v_and_b32_e32 v3, 0xffff, v3
	v_mul_u32_u24_e32 v2, 0x10001, v2
	v_add_nc_u32_e32 v10, 0xc00, v76
	v_pk_fma_f16 v6, v5, v7, v6
	v_mul_u32_u24_e32 v8, 0x10001, v8
	v_mul_u32_u24_e32 v3, 0x10001, v3
	v_pk_fma_f16 v9, v5, v2, v0
	s_delay_alu instid0(VALU_DEP_3) | instskip(NEXT) | instid1(VALU_DEP_3)
	v_pk_fma_f16 v8, v5, v8, v4
	v_pk_fma_f16 v7, v5, v3, v1
	ds_load_2addr_b32 v[4:5], v10 offset1:32
	ds_load_b128 v[0:3], v47 offset:192
	s_wait_dscnt 0x0
	v_lshrrev_b32_e32 v12, 16, v1
	v_and_b32_e32 v1, 0xffff, v1
	v_lshrrev_b32_e32 v11, 16, v0
	v_and_b32_e32 v0, 0xffff, v0
	s_delay_alu instid0(VALU_DEP_3) | instskip(NEXT) | instid1(VALU_DEP_3)
	v_mul_u32_u24_e32 v1, 0x10001, v1
	v_mul_u32_u24_e32 v11, 0x10001, v11
	s_delay_alu instid0(VALU_DEP_3) | instskip(NEXT) | instid1(VALU_DEP_3)
	v_mul_u32_u24_e32 v0, 0x10001, v0
	v_pk_fma_f16 v1, v4, v1, v7
	v_lshrrev_b32_e32 v7, 16, v2
	v_mul_u32_u24_e32 v12, 0x10001, v12
	s_delay_alu instid0(VALU_DEP_4)
	v_pk_fma_f16 v0, v4, v0, v9
	v_pk_fma_f16 v6, v4, v11, v6
	v_and_b32_e32 v2, 0xffff, v2
	v_mul_u32_u24_e32 v7, 0x10001, v7
	v_pk_fma_f16 v4, v4, v12, v8
	v_lshrrev_b32_e32 v8, 16, v3
	v_and_b32_e32 v3, 0xffff, v3
	v_mul_u32_u24_e32 v2, 0x10001, v2
	v_pk_fma_f16 v6, v5, v7, v6
	s_delay_alu instid0(VALU_DEP_4) | instskip(NEXT) | instid1(VALU_DEP_4)
	v_mul_u32_u24_e32 v8, 0x10001, v8
	v_mul_u32_u24_e32 v3, 0x10001, v3
	s_delay_alu instid0(VALU_DEP_4) | instskip(NEXT) | instid1(VALU_DEP_3)
	v_pk_fma_f16 v9, v5, v2, v0
	v_pk_fma_f16 v8, v5, v8, v4
	s_delay_alu instid0(VALU_DEP_3)
	v_pk_fma_f16 v7, v5, v3, v1
	ds_load_2addr_b32 v[4:5], v10 offset0:64 offset1:96
	ds_load_b128 v[0:3], v47 offset:208
	s_wait_dscnt 0x0
	v_lshrrev_b32_e32 v12, 16, v1
	v_and_b32_e32 v1, 0xffff, v1
	v_lshrrev_b32_e32 v11, 16, v0
	v_and_b32_e32 v0, 0xffff, v0
	s_delay_alu instid0(VALU_DEP_3) | instskip(NEXT) | instid1(VALU_DEP_3)
	v_mul_u32_u24_e32 v1, 0x10001, v1
	v_mul_u32_u24_e32 v11, 0x10001, v11
	s_delay_alu instid0(VALU_DEP_3) | instskip(NEXT) | instid1(VALU_DEP_3)
	v_mul_u32_u24_e32 v0, 0x10001, v0
	v_pk_fma_f16 v1, v4, v1, v7
	v_lshrrev_b32_e32 v7, 16, v2
	v_mul_u32_u24_e32 v12, 0x10001, v12
	s_delay_alu instid0(VALU_DEP_4)
	v_pk_fma_f16 v0, v4, v0, v9
	v_pk_fma_f16 v6, v4, v11, v6
	v_and_b32_e32 v2, 0xffff, v2
	v_mul_u32_u24_e32 v7, 0x10001, v7
	v_pk_fma_f16 v4, v4, v12, v8
	v_lshrrev_b32_e32 v8, 16, v3
	v_and_b32_e32 v3, 0xffff, v3
	v_mul_u32_u24_e32 v2, 0x10001, v2
	v_pk_fma_f16 v6, v5, v7, v6
	s_delay_alu instid0(VALU_DEP_4) | instskip(NEXT) | instid1(VALU_DEP_4)
	v_mul_u32_u24_e32 v8, 0x10001, v8
	v_mul_u32_u24_e32 v3, 0x10001, v3
	s_delay_alu instid0(VALU_DEP_4) | instskip(NEXT) | instid1(VALU_DEP_3)
	v_pk_fma_f16 v9, v5, v2, v0
	v_pk_fma_f16 v8, v5, v8, v4
	s_delay_alu instid0(VALU_DEP_3)
	v_pk_fma_f16 v7, v5, v3, v1
	ds_load_2addr_b32 v[4:5], v10 offset0:128 offset1:160
	;; [unrolled: 33-line block ×3, first 2 shown]
	ds_load_b128 v[0:3], v47 offset:240
	s_wait_dscnt 0x0
	v_lshrrev_b32_e32 v11, 16, v1
	v_and_b32_e32 v1, 0xffff, v1
	v_lshrrev_b32_e32 v10, 16, v0
	v_and_b32_e32 v0, 0xffff, v0
	s_delay_alu instid0(VALU_DEP_3) | instskip(NEXT) | instid1(VALU_DEP_3)
	v_mul_u32_u24_e32 v1, 0x10001, v1
	v_mul_u32_u24_e32 v10, 0x10001, v10
	s_delay_alu instid0(VALU_DEP_3) | instskip(NEXT) | instid1(VALU_DEP_3)
	v_mul_u32_u24_e32 v0, 0x10001, v0
	v_pk_fma_f16 v1, v4, v1, v7
	v_lshrrev_b32_e32 v7, 16, v2
	v_mul_u32_u24_e32 v11, 0x10001, v11
	s_delay_alu instid0(VALU_DEP_4)
	v_pk_fma_f16 v0, v4, v0, v9
	v_pk_fma_f16 v6, v4, v10, v6
	v_and_b32_e32 v2, 0xffff, v2
	v_mul_u32_u24_e32 v7, 0x10001, v7
	v_pk_fma_f16 v4, v4, v11, v8
	v_lshrrev_b32_e32 v8, 16, v3
	v_and_b32_e32 v3, 0xffff, v3
	v_mul_u32_u24_e32 v2, 0x10001, v2
	v_add_nc_u32_e32 v10, 0x1000, v76
	v_pk_fma_f16 v6, v5, v7, v6
	v_mul_u32_u24_e32 v8, 0x10001, v8
	v_mul_u32_u24_e32 v3, 0x10001, v3
	v_pk_fma_f16 v9, v5, v2, v0
	s_delay_alu instid0(VALU_DEP_3) | instskip(NEXT) | instid1(VALU_DEP_3)
	v_pk_fma_f16 v8, v5, v8, v4
	v_pk_fma_f16 v7, v5, v3, v1
	ds_load_2addr_b32 v[4:5], v10 offset1:32
	ds_load_b128 v[0:3], v47 offset:256
	s_wait_dscnt 0x0
	v_lshrrev_b32_e32 v12, 16, v1
	v_and_b32_e32 v1, 0xffff, v1
	v_lshrrev_b32_e32 v11, 16, v0
	v_and_b32_e32 v0, 0xffff, v0
	s_delay_alu instid0(VALU_DEP_3) | instskip(NEXT) | instid1(VALU_DEP_3)
	v_mul_u32_u24_e32 v1, 0x10001, v1
	v_mul_u32_u24_e32 v11, 0x10001, v11
	s_delay_alu instid0(VALU_DEP_3) | instskip(NEXT) | instid1(VALU_DEP_3)
	v_mul_u32_u24_e32 v0, 0x10001, v0
	v_pk_fma_f16 v1, v4, v1, v7
	v_lshrrev_b32_e32 v7, 16, v2
	v_mul_u32_u24_e32 v12, 0x10001, v12
	s_delay_alu instid0(VALU_DEP_4)
	v_pk_fma_f16 v0, v4, v0, v9
	v_pk_fma_f16 v6, v4, v11, v6
	v_and_b32_e32 v2, 0xffff, v2
	v_mul_u32_u24_e32 v7, 0x10001, v7
	v_pk_fma_f16 v4, v4, v12, v8
	v_lshrrev_b32_e32 v8, 16, v3
	v_and_b32_e32 v3, 0xffff, v3
	v_mul_u32_u24_e32 v2, 0x10001, v2
	v_pk_fma_f16 v6, v5, v7, v6
	s_delay_alu instid0(VALU_DEP_4) | instskip(NEXT) | instid1(VALU_DEP_4)
	v_mul_u32_u24_e32 v8, 0x10001, v8
	v_mul_u32_u24_e32 v3, 0x10001, v3
	s_delay_alu instid0(VALU_DEP_4) | instskip(NEXT) | instid1(VALU_DEP_3)
	v_pk_fma_f16 v9, v5, v2, v0
	v_pk_fma_f16 v8, v5, v8, v4
	s_delay_alu instid0(VALU_DEP_3)
	v_pk_fma_f16 v7, v5, v3, v1
	ds_load_2addr_b32 v[4:5], v10 offset0:64 offset1:96
	ds_load_b128 v[0:3], v47 offset:272
	s_wait_dscnt 0x0
	v_lshrrev_b32_e32 v12, 16, v1
	v_and_b32_e32 v1, 0xffff, v1
	v_lshrrev_b32_e32 v11, 16, v0
	v_and_b32_e32 v0, 0xffff, v0
	s_delay_alu instid0(VALU_DEP_3) | instskip(NEXT) | instid1(VALU_DEP_3)
	v_mul_u32_u24_e32 v1, 0x10001, v1
	v_mul_u32_u24_e32 v11, 0x10001, v11
	s_delay_alu instid0(VALU_DEP_3) | instskip(NEXT) | instid1(VALU_DEP_3)
	v_mul_u32_u24_e32 v0, 0x10001, v0
	v_pk_fma_f16 v1, v4, v1, v7
	v_lshrrev_b32_e32 v7, 16, v2
	v_mul_u32_u24_e32 v12, 0x10001, v12
	s_delay_alu instid0(VALU_DEP_4)
	v_pk_fma_f16 v0, v4, v0, v9
	v_pk_fma_f16 v6, v4, v11, v6
	v_and_b32_e32 v2, 0xffff, v2
	v_mul_u32_u24_e32 v7, 0x10001, v7
	v_pk_fma_f16 v4, v4, v12, v8
	v_lshrrev_b32_e32 v8, 16, v3
	v_and_b32_e32 v3, 0xffff, v3
	v_mul_u32_u24_e32 v2, 0x10001, v2
	v_pk_fma_f16 v6, v5, v7, v6
	s_delay_alu instid0(VALU_DEP_4) | instskip(NEXT) | instid1(VALU_DEP_4)
	v_mul_u32_u24_e32 v8, 0x10001, v8
	v_mul_u32_u24_e32 v3, 0x10001, v3
	s_delay_alu instid0(VALU_DEP_4) | instskip(NEXT) | instid1(VALU_DEP_3)
	v_pk_fma_f16 v9, v5, v2, v0
	v_pk_fma_f16 v8, v5, v8, v4
	s_delay_alu instid0(VALU_DEP_3)
	v_pk_fma_f16 v7, v5, v3, v1
	ds_load_2addr_b32 v[4:5], v10 offset0:128 offset1:160
	;; [unrolled: 33-line block ×3, first 2 shown]
	ds_load_b128 v[0:3], v47 offset:304
	s_wait_dscnt 0x0
	v_lshrrev_b32_e32 v11, 16, v1
	v_and_b32_e32 v1, 0xffff, v1
	v_lshrrev_b32_e32 v10, 16, v0
	v_and_b32_e32 v0, 0xffff, v0
	s_delay_alu instid0(VALU_DEP_3) | instskip(NEXT) | instid1(VALU_DEP_3)
	v_mul_u32_u24_e32 v1, 0x10001, v1
	v_mul_u32_u24_e32 v10, 0x10001, v10
	s_delay_alu instid0(VALU_DEP_3) | instskip(NEXT) | instid1(VALU_DEP_3)
	v_mul_u32_u24_e32 v0, 0x10001, v0
	v_pk_fma_f16 v1, v4, v1, v7
	v_lshrrev_b32_e32 v7, 16, v2
	v_mul_u32_u24_e32 v11, 0x10001, v11
	s_delay_alu instid0(VALU_DEP_4)
	v_pk_fma_f16 v0, v4, v0, v9
	v_pk_fma_f16 v6, v4, v10, v6
	v_and_b32_e32 v2, 0xffff, v2
	v_mul_u32_u24_e32 v7, 0x10001, v7
	v_pk_fma_f16 v4, v4, v11, v8
	v_lshrrev_b32_e32 v8, 16, v3
	v_and_b32_e32 v3, 0xffff, v3
	v_mul_u32_u24_e32 v2, 0x10001, v2
	v_add_nc_u32_e32 v10, 0x1400, v76
	v_pk_fma_f16 v6, v5, v7, v6
	v_mul_u32_u24_e32 v8, 0x10001, v8
	v_mul_u32_u24_e32 v3, 0x10001, v3
	v_pk_fma_f16 v9, v5, v2, v0
	s_delay_alu instid0(VALU_DEP_3) | instskip(NEXT) | instid1(VALU_DEP_3)
	v_pk_fma_f16 v8, v5, v8, v4
	v_pk_fma_f16 v7, v5, v3, v1
	ds_load_2addr_b32 v[4:5], v10 offset1:32
	ds_load_b128 v[0:3], v47 offset:320
	s_wait_dscnt 0x0
	v_lshrrev_b32_e32 v12, 16, v1
	v_and_b32_e32 v1, 0xffff, v1
	v_lshrrev_b32_e32 v11, 16, v0
	v_and_b32_e32 v0, 0xffff, v0
	s_delay_alu instid0(VALU_DEP_3) | instskip(NEXT) | instid1(VALU_DEP_3)
	v_mul_u32_u24_e32 v1, 0x10001, v1
	v_mul_u32_u24_e32 v11, 0x10001, v11
	s_delay_alu instid0(VALU_DEP_3) | instskip(NEXT) | instid1(VALU_DEP_3)
	v_mul_u32_u24_e32 v0, 0x10001, v0
	v_pk_fma_f16 v1, v4, v1, v7
	v_lshrrev_b32_e32 v7, 16, v2
	v_mul_u32_u24_e32 v12, 0x10001, v12
	s_delay_alu instid0(VALU_DEP_4)
	v_pk_fma_f16 v0, v4, v0, v9
	v_pk_fma_f16 v6, v4, v11, v6
	v_and_b32_e32 v2, 0xffff, v2
	v_mul_u32_u24_e32 v7, 0x10001, v7
	v_pk_fma_f16 v4, v4, v12, v8
	v_lshrrev_b32_e32 v8, 16, v3
	v_and_b32_e32 v3, 0xffff, v3
	v_mul_u32_u24_e32 v2, 0x10001, v2
	v_pk_fma_f16 v6, v5, v7, v6
	s_delay_alu instid0(VALU_DEP_4) | instskip(NEXT) | instid1(VALU_DEP_4)
	v_mul_u32_u24_e32 v8, 0x10001, v8
	v_mul_u32_u24_e32 v3, 0x10001, v3
	s_delay_alu instid0(VALU_DEP_4) | instskip(NEXT) | instid1(VALU_DEP_3)
	v_pk_fma_f16 v9, v5, v2, v0
	v_pk_fma_f16 v8, v5, v8, v4
	s_delay_alu instid0(VALU_DEP_3)
	v_pk_fma_f16 v7, v5, v3, v1
	ds_load_2addr_b32 v[4:5], v10 offset0:64 offset1:96
	ds_load_b128 v[0:3], v47 offset:336
	s_wait_dscnt 0x0
	v_lshrrev_b32_e32 v12, 16, v1
	v_and_b32_e32 v1, 0xffff, v1
	v_lshrrev_b32_e32 v11, 16, v0
	v_and_b32_e32 v0, 0xffff, v0
	s_delay_alu instid0(VALU_DEP_3) | instskip(NEXT) | instid1(VALU_DEP_3)
	v_mul_u32_u24_e32 v1, 0x10001, v1
	v_mul_u32_u24_e32 v11, 0x10001, v11
	s_delay_alu instid0(VALU_DEP_3) | instskip(NEXT) | instid1(VALU_DEP_3)
	v_mul_u32_u24_e32 v0, 0x10001, v0
	v_pk_fma_f16 v1, v4, v1, v7
	v_lshrrev_b32_e32 v7, 16, v2
	v_mul_u32_u24_e32 v12, 0x10001, v12
	s_delay_alu instid0(VALU_DEP_4)
	v_pk_fma_f16 v0, v4, v0, v9
	v_pk_fma_f16 v6, v4, v11, v6
	v_and_b32_e32 v2, 0xffff, v2
	v_mul_u32_u24_e32 v7, 0x10001, v7
	v_pk_fma_f16 v4, v4, v12, v8
	v_lshrrev_b32_e32 v8, 16, v3
	v_and_b32_e32 v3, 0xffff, v3
	v_mul_u32_u24_e32 v2, 0x10001, v2
	v_pk_fma_f16 v6, v5, v7, v6
	s_delay_alu instid0(VALU_DEP_4) | instskip(NEXT) | instid1(VALU_DEP_4)
	v_mul_u32_u24_e32 v8, 0x10001, v8
	v_mul_u32_u24_e32 v3, 0x10001, v3
	s_delay_alu instid0(VALU_DEP_4) | instskip(NEXT) | instid1(VALU_DEP_3)
	v_pk_fma_f16 v9, v5, v2, v0
	v_pk_fma_f16 v8, v5, v8, v4
	s_delay_alu instid0(VALU_DEP_3)
	v_pk_fma_f16 v7, v5, v3, v1
	ds_load_2addr_b32 v[4:5], v10 offset0:128 offset1:160
	;; [unrolled: 33-line block ×3, first 2 shown]
	ds_load_b128 v[0:3], v47 offset:368
	s_wait_dscnt 0x0
	v_lshrrev_b32_e32 v11, 16, v1
	v_and_b32_e32 v1, 0xffff, v1
	v_lshrrev_b32_e32 v10, 16, v0
	v_and_b32_e32 v0, 0xffff, v0
	s_delay_alu instid0(VALU_DEP_3) | instskip(NEXT) | instid1(VALU_DEP_3)
	v_mul_u32_u24_e32 v1, 0x10001, v1
	v_mul_u32_u24_e32 v10, 0x10001, v10
	s_delay_alu instid0(VALU_DEP_3) | instskip(NEXT) | instid1(VALU_DEP_3)
	v_mul_u32_u24_e32 v0, 0x10001, v0
	v_pk_fma_f16 v1, v4, v1, v7
	v_lshrrev_b32_e32 v7, 16, v2
	v_mul_u32_u24_e32 v11, 0x10001, v11
	s_delay_alu instid0(VALU_DEP_4)
	v_pk_fma_f16 v0, v4, v0, v9
	v_pk_fma_f16 v6, v4, v10, v6
	v_and_b32_e32 v2, 0xffff, v2
	v_mul_u32_u24_e32 v7, 0x10001, v7
	v_pk_fma_f16 v4, v4, v11, v8
	v_lshrrev_b32_e32 v8, 16, v3
	v_and_b32_e32 v3, 0xffff, v3
	v_mul_u32_u24_e32 v2, 0x10001, v2
	v_add_nc_u32_e32 v10, 0x1800, v76
	v_pk_fma_f16 v6, v5, v7, v6
	v_mul_u32_u24_e32 v8, 0x10001, v8
	v_mul_u32_u24_e32 v3, 0x10001, v3
	v_pk_fma_f16 v9, v5, v2, v0
	s_delay_alu instid0(VALU_DEP_3) | instskip(NEXT) | instid1(VALU_DEP_3)
	v_pk_fma_f16 v8, v5, v8, v4
	v_pk_fma_f16 v7, v5, v3, v1
	ds_load_2addr_b32 v[4:5], v10 offset1:32
	ds_load_b128 v[0:3], v47 offset:384
	s_wait_dscnt 0x0
	v_lshrrev_b32_e32 v12, 16, v1
	v_and_b32_e32 v1, 0xffff, v1
	v_lshrrev_b32_e32 v11, 16, v0
	v_and_b32_e32 v0, 0xffff, v0
	s_delay_alu instid0(VALU_DEP_3) | instskip(NEXT) | instid1(VALU_DEP_3)
	v_mul_u32_u24_e32 v1, 0x10001, v1
	v_mul_u32_u24_e32 v11, 0x10001, v11
	s_delay_alu instid0(VALU_DEP_3) | instskip(NEXT) | instid1(VALU_DEP_3)
	v_mul_u32_u24_e32 v0, 0x10001, v0
	v_pk_fma_f16 v1, v4, v1, v7
	v_lshrrev_b32_e32 v7, 16, v2
	v_mul_u32_u24_e32 v12, 0x10001, v12
	s_delay_alu instid0(VALU_DEP_4)
	v_pk_fma_f16 v0, v4, v0, v9
	v_pk_fma_f16 v6, v4, v11, v6
	v_and_b32_e32 v2, 0xffff, v2
	v_mul_u32_u24_e32 v7, 0x10001, v7
	v_pk_fma_f16 v4, v4, v12, v8
	v_lshrrev_b32_e32 v8, 16, v3
	v_and_b32_e32 v3, 0xffff, v3
	v_mul_u32_u24_e32 v2, 0x10001, v2
	v_pk_fma_f16 v6, v5, v7, v6
	s_delay_alu instid0(VALU_DEP_4) | instskip(NEXT) | instid1(VALU_DEP_4)
	v_mul_u32_u24_e32 v8, 0x10001, v8
	v_mul_u32_u24_e32 v3, 0x10001, v3
	s_delay_alu instid0(VALU_DEP_4) | instskip(NEXT) | instid1(VALU_DEP_3)
	v_pk_fma_f16 v9, v5, v2, v0
	v_pk_fma_f16 v8, v5, v8, v4
	s_delay_alu instid0(VALU_DEP_3)
	v_pk_fma_f16 v7, v5, v3, v1
	ds_load_2addr_b32 v[4:5], v10 offset0:64 offset1:96
	ds_load_b128 v[0:3], v47 offset:400
	s_wait_dscnt 0x0
	v_lshrrev_b32_e32 v12, 16, v1
	v_and_b32_e32 v1, 0xffff, v1
	v_lshrrev_b32_e32 v11, 16, v0
	v_and_b32_e32 v0, 0xffff, v0
	s_delay_alu instid0(VALU_DEP_3) | instskip(NEXT) | instid1(VALU_DEP_3)
	v_mul_u32_u24_e32 v1, 0x10001, v1
	v_mul_u32_u24_e32 v11, 0x10001, v11
	s_delay_alu instid0(VALU_DEP_3) | instskip(NEXT) | instid1(VALU_DEP_3)
	v_mul_u32_u24_e32 v0, 0x10001, v0
	v_pk_fma_f16 v1, v4, v1, v7
	v_lshrrev_b32_e32 v7, 16, v2
	v_mul_u32_u24_e32 v12, 0x10001, v12
	s_delay_alu instid0(VALU_DEP_4)
	v_pk_fma_f16 v0, v4, v0, v9
	v_pk_fma_f16 v6, v4, v11, v6
	v_and_b32_e32 v2, 0xffff, v2
	v_mul_u32_u24_e32 v7, 0x10001, v7
	v_pk_fma_f16 v4, v4, v12, v8
	v_lshrrev_b32_e32 v8, 16, v3
	v_and_b32_e32 v3, 0xffff, v3
	v_mul_u32_u24_e32 v2, 0x10001, v2
	v_pk_fma_f16 v6, v5, v7, v6
	s_delay_alu instid0(VALU_DEP_4) | instskip(NEXT) | instid1(VALU_DEP_4)
	v_mul_u32_u24_e32 v8, 0x10001, v8
	v_mul_u32_u24_e32 v3, 0x10001, v3
	s_delay_alu instid0(VALU_DEP_4) | instskip(NEXT) | instid1(VALU_DEP_3)
	v_pk_fma_f16 v9, v5, v2, v0
	v_pk_fma_f16 v8, v5, v8, v4
	s_delay_alu instid0(VALU_DEP_3)
	v_pk_fma_f16 v7, v5, v3, v1
	ds_load_2addr_b32 v[4:5], v10 offset0:128 offset1:160
	;; [unrolled: 33-line block ×3, first 2 shown]
	ds_load_b128 v[0:3], v47 offset:432
	s_wait_dscnt 0x0
	v_lshrrev_b32_e32 v11, 16, v1
	v_and_b32_e32 v1, 0xffff, v1
	v_lshrrev_b32_e32 v10, 16, v0
	v_and_b32_e32 v0, 0xffff, v0
	s_delay_alu instid0(VALU_DEP_3) | instskip(NEXT) | instid1(VALU_DEP_3)
	v_mul_u32_u24_e32 v1, 0x10001, v1
	v_mul_u32_u24_e32 v10, 0x10001, v10
	s_delay_alu instid0(VALU_DEP_3) | instskip(NEXT) | instid1(VALU_DEP_3)
	v_mul_u32_u24_e32 v0, 0x10001, v0
	v_pk_fma_f16 v1, v4, v1, v7
	v_lshrrev_b32_e32 v7, 16, v2
	v_mul_u32_u24_e32 v11, 0x10001, v11
	s_delay_alu instid0(VALU_DEP_4)
	v_pk_fma_f16 v0, v4, v0, v9
	v_pk_fma_f16 v6, v4, v10, v6
	v_and_b32_e32 v2, 0xffff, v2
	v_mul_u32_u24_e32 v7, 0x10001, v7
	v_pk_fma_f16 v4, v4, v11, v8
	v_lshrrev_b32_e32 v8, 16, v3
	v_and_b32_e32 v3, 0xffff, v3
	v_mul_u32_u24_e32 v2, 0x10001, v2
	v_add_nc_u32_e32 v10, 0x1c00, v76
	v_pk_fma_f16 v6, v5, v7, v6
	v_mul_u32_u24_e32 v8, 0x10001, v8
	v_mul_u32_u24_e32 v3, 0x10001, v3
	v_pk_fma_f16 v9, v5, v2, v0
	s_delay_alu instid0(VALU_DEP_3) | instskip(NEXT) | instid1(VALU_DEP_3)
	v_pk_fma_f16 v8, v5, v8, v4
	v_pk_fma_f16 v7, v5, v3, v1
	ds_load_2addr_b32 v[4:5], v10 offset1:32
	ds_load_b128 v[0:3], v47 offset:448
	s_wait_dscnt 0x0
	v_lshrrev_b32_e32 v12, 16, v1
	v_and_b32_e32 v1, 0xffff, v1
	v_lshrrev_b32_e32 v11, 16, v0
	v_and_b32_e32 v0, 0xffff, v0
	s_delay_alu instid0(VALU_DEP_3) | instskip(NEXT) | instid1(VALU_DEP_3)
	v_mul_u32_u24_e32 v1, 0x10001, v1
	v_mul_u32_u24_e32 v11, 0x10001, v11
	s_delay_alu instid0(VALU_DEP_3) | instskip(NEXT) | instid1(VALU_DEP_3)
	v_mul_u32_u24_e32 v0, 0x10001, v0
	v_pk_fma_f16 v1, v4, v1, v7
	v_lshrrev_b32_e32 v7, 16, v2
	v_mul_u32_u24_e32 v12, 0x10001, v12
	s_delay_alu instid0(VALU_DEP_4)
	v_pk_fma_f16 v0, v4, v0, v9
	v_pk_fma_f16 v6, v4, v11, v6
	v_and_b32_e32 v2, 0xffff, v2
	v_mul_u32_u24_e32 v7, 0x10001, v7
	v_pk_fma_f16 v4, v4, v12, v8
	v_lshrrev_b32_e32 v8, 16, v3
	v_and_b32_e32 v3, 0xffff, v3
	v_mul_u32_u24_e32 v2, 0x10001, v2
	v_pk_fma_f16 v6, v5, v7, v6
	s_delay_alu instid0(VALU_DEP_4) | instskip(NEXT) | instid1(VALU_DEP_4)
	v_mul_u32_u24_e32 v8, 0x10001, v8
	v_mul_u32_u24_e32 v3, 0x10001, v3
	s_delay_alu instid0(VALU_DEP_4) | instskip(NEXT) | instid1(VALU_DEP_3)
	v_pk_fma_f16 v9, v5, v2, v0
	v_pk_fma_f16 v8, v5, v8, v4
	s_delay_alu instid0(VALU_DEP_3)
	v_pk_fma_f16 v7, v5, v3, v1
	ds_load_2addr_b32 v[4:5], v10 offset0:64 offset1:96
	ds_load_b128 v[0:3], v47 offset:464
	s_wait_dscnt 0x0
	v_lshrrev_b32_e32 v12, 16, v1
	v_and_b32_e32 v1, 0xffff, v1
	v_lshrrev_b32_e32 v11, 16, v0
	v_and_b32_e32 v0, 0xffff, v0
	s_delay_alu instid0(VALU_DEP_3) | instskip(NEXT) | instid1(VALU_DEP_3)
	v_mul_u32_u24_e32 v1, 0x10001, v1
	v_mul_u32_u24_e32 v11, 0x10001, v11
	s_delay_alu instid0(VALU_DEP_3) | instskip(NEXT) | instid1(VALU_DEP_3)
	v_mul_u32_u24_e32 v0, 0x10001, v0
	v_pk_fma_f16 v1, v4, v1, v7
	v_lshrrev_b32_e32 v7, 16, v2
	v_mul_u32_u24_e32 v12, 0x10001, v12
	s_delay_alu instid0(VALU_DEP_4)
	v_pk_fma_f16 v0, v4, v0, v9
	v_pk_fma_f16 v6, v4, v11, v6
	v_and_b32_e32 v2, 0xffff, v2
	v_mul_u32_u24_e32 v7, 0x10001, v7
	v_pk_fma_f16 v4, v4, v12, v8
	v_lshrrev_b32_e32 v8, 16, v3
	v_and_b32_e32 v3, 0xffff, v3
	v_mul_u32_u24_e32 v2, 0x10001, v2
	v_pk_fma_f16 v6, v5, v7, v6
	s_delay_alu instid0(VALU_DEP_4) | instskip(NEXT) | instid1(VALU_DEP_4)
	v_mul_u32_u24_e32 v8, 0x10001, v8
	v_mul_u32_u24_e32 v3, 0x10001, v3
	s_delay_alu instid0(VALU_DEP_4) | instskip(NEXT) | instid1(VALU_DEP_3)
	v_pk_fma_f16 v9, v5, v2, v0
	v_pk_fma_f16 v8, v5, v8, v4
	s_delay_alu instid0(VALU_DEP_3)
	v_pk_fma_f16 v7, v5, v3, v1
	ds_load_2addr_b32 v[4:5], v10 offset0:128 offset1:160
	;; [unrolled: 33-line block ×3, first 2 shown]
	ds_load_b128 v[0:3], v47 offset:496
	s_wait_dscnt 0x0
	v_lshrrev_b32_e32 v11, 16, v1
	v_and_b32_e32 v1, 0xffff, v1
	v_lshrrev_b32_e32 v10, 16, v0
	v_and_b32_e32 v0, 0xffff, v0
	s_delay_alu instid0(VALU_DEP_3) | instskip(NEXT) | instid1(VALU_DEP_3)
	v_mul_u32_u24_e32 v1, 0x10001, v1
	v_mul_u32_u24_e32 v10, 0x10001, v10
	s_delay_alu instid0(VALU_DEP_3) | instskip(NEXT) | instid1(VALU_DEP_3)
	v_mul_u32_u24_e32 v0, 0x10001, v0
	v_pk_fma_f16 v1, v4, v1, v7
	v_lshrrev_b32_e32 v7, 16, v2
	v_mul_u32_u24_e32 v11, 0x10001, v11
	s_delay_alu instid0(VALU_DEP_4)
	v_pk_fma_f16 v0, v4, v0, v9
	v_pk_fma_f16 v6, v4, v10, v6
	v_and_b32_e32 v2, 0xffff, v2
	v_mul_u32_u24_e32 v7, 0x10001, v7
	v_pk_fma_f16 v4, v4, v11, v8
	v_lshrrev_b32_e32 v8, 16, v3
	v_and_b32_e32 v3, 0xffff, v3
	v_mul_u32_u24_e32 v2, 0x10001, v2
	v_add_nc_u32_e32 v10, 0x2000, v76
	v_pk_fma_f16 v6, v5, v7, v6
	v_mul_u32_u24_e32 v8, 0x10001, v8
	v_mul_u32_u24_e32 v3, 0x10001, v3
	v_pk_fma_f16 v9, v5, v2, v0
	s_delay_alu instid0(VALU_DEP_3) | instskip(NEXT) | instid1(VALU_DEP_3)
	v_pk_fma_f16 v8, v5, v8, v4
	v_pk_fma_f16 v7, v5, v3, v1
	ds_load_2addr_b32 v[4:5], v10 offset1:32
	ds_load_b128 v[0:3], v47 offset:512
	s_wait_dscnt 0x0
	v_lshrrev_b32_e32 v12, 16, v1
	v_and_b32_e32 v1, 0xffff, v1
	v_lshrrev_b32_e32 v11, 16, v0
	v_and_b32_e32 v0, 0xffff, v0
	s_delay_alu instid0(VALU_DEP_3) | instskip(NEXT) | instid1(VALU_DEP_3)
	v_mul_u32_u24_e32 v1, 0x10001, v1
	v_mul_u32_u24_e32 v11, 0x10001, v11
	s_delay_alu instid0(VALU_DEP_3) | instskip(NEXT) | instid1(VALU_DEP_3)
	v_mul_u32_u24_e32 v0, 0x10001, v0
	v_pk_fma_f16 v1, v4, v1, v7
	v_lshrrev_b32_e32 v7, 16, v2
	v_mul_u32_u24_e32 v12, 0x10001, v12
	s_delay_alu instid0(VALU_DEP_4)
	v_pk_fma_f16 v0, v4, v0, v9
	v_pk_fma_f16 v6, v4, v11, v6
	v_and_b32_e32 v2, 0xffff, v2
	v_mul_u32_u24_e32 v7, 0x10001, v7
	v_pk_fma_f16 v4, v4, v12, v8
	v_lshrrev_b32_e32 v8, 16, v3
	v_and_b32_e32 v3, 0xffff, v3
	v_mul_u32_u24_e32 v2, 0x10001, v2
	v_pk_fma_f16 v6, v5, v7, v6
	s_delay_alu instid0(VALU_DEP_4) | instskip(NEXT) | instid1(VALU_DEP_4)
	v_mul_u32_u24_e32 v8, 0x10001, v8
	v_mul_u32_u24_e32 v3, 0x10001, v3
	s_delay_alu instid0(VALU_DEP_4) | instskip(NEXT) | instid1(VALU_DEP_3)
	v_pk_fma_f16 v9, v5, v2, v0
	v_pk_fma_f16 v8, v5, v8, v4
	s_delay_alu instid0(VALU_DEP_3)
	v_pk_fma_f16 v7, v5, v3, v1
	ds_load_2addr_b32 v[4:5], v10 offset0:64 offset1:96
	ds_load_b128 v[0:3], v47 offset:528
	s_wait_dscnt 0x0
	v_lshrrev_b32_e32 v12, 16, v1
	v_and_b32_e32 v1, 0xffff, v1
	v_lshrrev_b32_e32 v11, 16, v0
	v_and_b32_e32 v0, 0xffff, v0
	s_delay_alu instid0(VALU_DEP_3) | instskip(NEXT) | instid1(VALU_DEP_3)
	v_mul_u32_u24_e32 v1, 0x10001, v1
	v_mul_u32_u24_e32 v11, 0x10001, v11
	s_delay_alu instid0(VALU_DEP_3) | instskip(NEXT) | instid1(VALU_DEP_3)
	v_mul_u32_u24_e32 v0, 0x10001, v0
	v_pk_fma_f16 v1, v4, v1, v7
	v_lshrrev_b32_e32 v7, 16, v2
	v_mul_u32_u24_e32 v12, 0x10001, v12
	s_delay_alu instid0(VALU_DEP_4)
	v_pk_fma_f16 v0, v4, v0, v9
	v_pk_fma_f16 v6, v4, v11, v6
	v_and_b32_e32 v2, 0xffff, v2
	v_mul_u32_u24_e32 v7, 0x10001, v7
	v_pk_fma_f16 v4, v4, v12, v8
	v_lshrrev_b32_e32 v8, 16, v3
	v_and_b32_e32 v3, 0xffff, v3
	v_mul_u32_u24_e32 v2, 0x10001, v2
	v_pk_fma_f16 v6, v5, v7, v6
	s_delay_alu instid0(VALU_DEP_4) | instskip(NEXT) | instid1(VALU_DEP_4)
	v_mul_u32_u24_e32 v8, 0x10001, v8
	v_mul_u32_u24_e32 v3, 0x10001, v3
	s_delay_alu instid0(VALU_DEP_4) | instskip(NEXT) | instid1(VALU_DEP_3)
	v_pk_fma_f16 v9, v5, v2, v0
	v_pk_fma_f16 v8, v5, v8, v4
	s_delay_alu instid0(VALU_DEP_3)
	v_pk_fma_f16 v7, v5, v3, v1
	ds_load_2addr_b32 v[4:5], v10 offset0:128 offset1:160
	;; [unrolled: 33-line block ×3, first 2 shown]
	ds_load_b128 v[0:3], v47 offset:560
	s_wait_dscnt 0x0
	v_lshrrev_b32_e32 v11, 16, v1
	v_and_b32_e32 v1, 0xffff, v1
	v_lshrrev_b32_e32 v10, 16, v0
	v_and_b32_e32 v0, 0xffff, v0
	s_delay_alu instid0(VALU_DEP_3) | instskip(NEXT) | instid1(VALU_DEP_3)
	v_mul_u32_u24_e32 v1, 0x10001, v1
	v_mul_u32_u24_e32 v10, 0x10001, v10
	s_delay_alu instid0(VALU_DEP_3) | instskip(NEXT) | instid1(VALU_DEP_3)
	v_mul_u32_u24_e32 v0, 0x10001, v0
	v_pk_fma_f16 v1, v4, v1, v7
	v_lshrrev_b32_e32 v7, 16, v2
	v_mul_u32_u24_e32 v11, 0x10001, v11
	s_delay_alu instid0(VALU_DEP_4)
	v_pk_fma_f16 v0, v4, v0, v9
	v_pk_fma_f16 v6, v4, v10, v6
	v_and_b32_e32 v2, 0xffff, v2
	v_mul_u32_u24_e32 v7, 0x10001, v7
	v_pk_fma_f16 v4, v4, v11, v8
	v_lshrrev_b32_e32 v8, 16, v3
	v_and_b32_e32 v3, 0xffff, v3
	v_mul_u32_u24_e32 v2, 0x10001, v2
	v_add_nc_u32_e32 v10, 0x2400, v76
	v_pk_fma_f16 v6, v5, v7, v6
	v_mul_u32_u24_e32 v8, 0x10001, v8
	v_mul_u32_u24_e32 v3, 0x10001, v3
	v_pk_fma_f16 v9, v5, v2, v0
	s_delay_alu instid0(VALU_DEP_3) | instskip(NEXT) | instid1(VALU_DEP_3)
	v_pk_fma_f16 v8, v5, v8, v4
	v_pk_fma_f16 v7, v5, v3, v1
	ds_load_2addr_b32 v[4:5], v10 offset1:32
	ds_load_b128 v[0:3], v47 offset:576
	s_wait_dscnt 0x0
	v_lshrrev_b32_e32 v12, 16, v1
	v_and_b32_e32 v1, 0xffff, v1
	v_lshrrev_b32_e32 v11, 16, v0
	v_and_b32_e32 v0, 0xffff, v0
	s_delay_alu instid0(VALU_DEP_3) | instskip(NEXT) | instid1(VALU_DEP_3)
	v_mul_u32_u24_e32 v1, 0x10001, v1
	v_mul_u32_u24_e32 v11, 0x10001, v11
	s_delay_alu instid0(VALU_DEP_3) | instskip(NEXT) | instid1(VALU_DEP_3)
	v_mul_u32_u24_e32 v0, 0x10001, v0
	v_pk_fma_f16 v1, v4, v1, v7
	v_lshrrev_b32_e32 v7, 16, v2
	v_mul_u32_u24_e32 v12, 0x10001, v12
	s_delay_alu instid0(VALU_DEP_4)
	v_pk_fma_f16 v0, v4, v0, v9
	v_pk_fma_f16 v6, v4, v11, v6
	v_and_b32_e32 v2, 0xffff, v2
	v_mul_u32_u24_e32 v7, 0x10001, v7
	v_pk_fma_f16 v4, v4, v12, v8
	v_lshrrev_b32_e32 v8, 16, v3
	v_and_b32_e32 v3, 0xffff, v3
	v_mul_u32_u24_e32 v2, 0x10001, v2
	v_pk_fma_f16 v6, v5, v7, v6
	s_delay_alu instid0(VALU_DEP_4) | instskip(NEXT) | instid1(VALU_DEP_4)
	v_mul_u32_u24_e32 v8, 0x10001, v8
	v_mul_u32_u24_e32 v3, 0x10001, v3
	s_delay_alu instid0(VALU_DEP_4) | instskip(NEXT) | instid1(VALU_DEP_3)
	v_pk_fma_f16 v9, v5, v2, v0
	v_pk_fma_f16 v8, v5, v8, v4
	s_delay_alu instid0(VALU_DEP_3)
	v_pk_fma_f16 v7, v5, v3, v1
	ds_load_2addr_b32 v[4:5], v10 offset0:64 offset1:96
	ds_load_b128 v[0:3], v47 offset:592
	s_wait_dscnt 0x0
	v_lshrrev_b32_e32 v12, 16, v1
	v_and_b32_e32 v1, 0xffff, v1
	v_lshrrev_b32_e32 v11, 16, v0
	v_and_b32_e32 v0, 0xffff, v0
	s_delay_alu instid0(VALU_DEP_3) | instskip(NEXT) | instid1(VALU_DEP_3)
	v_mul_u32_u24_e32 v1, 0x10001, v1
	v_mul_u32_u24_e32 v11, 0x10001, v11
	s_delay_alu instid0(VALU_DEP_3) | instskip(NEXT) | instid1(VALU_DEP_3)
	v_mul_u32_u24_e32 v0, 0x10001, v0
	v_pk_fma_f16 v1, v4, v1, v7
	v_lshrrev_b32_e32 v7, 16, v2
	v_mul_u32_u24_e32 v12, 0x10001, v12
	s_delay_alu instid0(VALU_DEP_4)
	v_pk_fma_f16 v0, v4, v0, v9
	v_pk_fma_f16 v6, v4, v11, v6
	v_and_b32_e32 v2, 0xffff, v2
	v_mul_u32_u24_e32 v7, 0x10001, v7
	v_pk_fma_f16 v4, v4, v12, v8
	v_lshrrev_b32_e32 v8, 16, v3
	v_and_b32_e32 v3, 0xffff, v3
	v_mul_u32_u24_e32 v2, 0x10001, v2
	v_pk_fma_f16 v6, v5, v7, v6
	s_delay_alu instid0(VALU_DEP_4) | instskip(NEXT) | instid1(VALU_DEP_4)
	v_mul_u32_u24_e32 v8, 0x10001, v8
	v_mul_u32_u24_e32 v3, 0x10001, v3
	s_delay_alu instid0(VALU_DEP_4) | instskip(NEXT) | instid1(VALU_DEP_3)
	v_pk_fma_f16 v9, v5, v2, v0
	v_pk_fma_f16 v8, v5, v8, v4
	s_delay_alu instid0(VALU_DEP_3)
	v_pk_fma_f16 v7, v5, v3, v1
	ds_load_2addr_b32 v[4:5], v10 offset0:128 offset1:160
	;; [unrolled: 33-line block ×3, first 2 shown]
	ds_load_b128 v[0:3], v47 offset:624
	s_wait_dscnt 0x0
	v_lshrrev_b32_e32 v11, 16, v1
	v_and_b32_e32 v1, 0xffff, v1
	v_lshrrev_b32_e32 v10, 16, v0
	v_and_b32_e32 v0, 0xffff, v0
	s_delay_alu instid0(VALU_DEP_3) | instskip(NEXT) | instid1(VALU_DEP_3)
	v_mul_u32_u24_e32 v1, 0x10001, v1
	v_mul_u32_u24_e32 v10, 0x10001, v10
	s_delay_alu instid0(VALU_DEP_3) | instskip(NEXT) | instid1(VALU_DEP_3)
	v_mul_u32_u24_e32 v0, 0x10001, v0
	v_pk_fma_f16 v1, v4, v1, v7
	v_lshrrev_b32_e32 v7, 16, v2
	v_mul_u32_u24_e32 v11, 0x10001, v11
	s_delay_alu instid0(VALU_DEP_4)
	v_pk_fma_f16 v0, v4, v0, v9
	v_pk_fma_f16 v6, v4, v10, v6
	v_and_b32_e32 v2, 0xffff, v2
	v_mul_u32_u24_e32 v7, 0x10001, v7
	v_pk_fma_f16 v4, v4, v11, v8
	v_lshrrev_b32_e32 v8, 16, v3
	v_and_b32_e32 v3, 0xffff, v3
	v_mul_u32_u24_e32 v2, 0x10001, v2
	v_add_nc_u32_e32 v10, 0x2800, v76
	v_pk_fma_f16 v6, v5, v7, v6
	v_mul_u32_u24_e32 v8, 0x10001, v8
	v_mul_u32_u24_e32 v3, 0x10001, v3
	v_pk_fma_f16 v9, v5, v2, v0
	s_delay_alu instid0(VALU_DEP_3) | instskip(NEXT) | instid1(VALU_DEP_3)
	v_pk_fma_f16 v8, v5, v8, v4
	v_pk_fma_f16 v7, v5, v3, v1
	ds_load_2addr_b32 v[4:5], v10 offset1:32
	ds_load_b128 v[0:3], v47 offset:640
	s_wait_dscnt 0x0
	v_lshrrev_b32_e32 v12, 16, v1
	v_and_b32_e32 v1, 0xffff, v1
	v_lshrrev_b32_e32 v11, 16, v0
	v_and_b32_e32 v0, 0xffff, v0
	s_delay_alu instid0(VALU_DEP_3) | instskip(NEXT) | instid1(VALU_DEP_3)
	v_mul_u32_u24_e32 v1, 0x10001, v1
	v_mul_u32_u24_e32 v11, 0x10001, v11
	s_delay_alu instid0(VALU_DEP_3) | instskip(NEXT) | instid1(VALU_DEP_3)
	v_mul_u32_u24_e32 v0, 0x10001, v0
	v_pk_fma_f16 v1, v4, v1, v7
	v_lshrrev_b32_e32 v7, 16, v2
	v_mul_u32_u24_e32 v12, 0x10001, v12
	s_delay_alu instid0(VALU_DEP_4)
	v_pk_fma_f16 v0, v4, v0, v9
	v_pk_fma_f16 v6, v4, v11, v6
	v_and_b32_e32 v2, 0xffff, v2
	v_mul_u32_u24_e32 v7, 0x10001, v7
	v_pk_fma_f16 v4, v4, v12, v8
	v_lshrrev_b32_e32 v8, 16, v3
	v_and_b32_e32 v3, 0xffff, v3
	v_mul_u32_u24_e32 v2, 0x10001, v2
	v_pk_fma_f16 v6, v5, v7, v6
	s_delay_alu instid0(VALU_DEP_4) | instskip(NEXT) | instid1(VALU_DEP_4)
	v_mul_u32_u24_e32 v8, 0x10001, v8
	v_mul_u32_u24_e32 v3, 0x10001, v3
	s_delay_alu instid0(VALU_DEP_4) | instskip(NEXT) | instid1(VALU_DEP_3)
	v_pk_fma_f16 v9, v5, v2, v0
	v_pk_fma_f16 v8, v5, v8, v4
	s_delay_alu instid0(VALU_DEP_3)
	v_pk_fma_f16 v7, v5, v3, v1
	ds_load_2addr_b32 v[4:5], v10 offset0:64 offset1:96
	ds_load_b128 v[0:3], v47 offset:656
	s_wait_dscnt 0x0
	v_lshrrev_b32_e32 v12, 16, v1
	v_and_b32_e32 v1, 0xffff, v1
	v_lshrrev_b32_e32 v11, 16, v0
	v_and_b32_e32 v0, 0xffff, v0
	s_delay_alu instid0(VALU_DEP_3) | instskip(NEXT) | instid1(VALU_DEP_3)
	v_mul_u32_u24_e32 v1, 0x10001, v1
	v_mul_u32_u24_e32 v11, 0x10001, v11
	s_delay_alu instid0(VALU_DEP_3) | instskip(NEXT) | instid1(VALU_DEP_3)
	v_mul_u32_u24_e32 v0, 0x10001, v0
	v_pk_fma_f16 v1, v4, v1, v7
	v_lshrrev_b32_e32 v7, 16, v2
	v_mul_u32_u24_e32 v12, 0x10001, v12
	s_delay_alu instid0(VALU_DEP_4)
	v_pk_fma_f16 v0, v4, v0, v9
	v_pk_fma_f16 v6, v4, v11, v6
	v_and_b32_e32 v2, 0xffff, v2
	v_mul_u32_u24_e32 v7, 0x10001, v7
	v_pk_fma_f16 v4, v4, v12, v8
	v_lshrrev_b32_e32 v8, 16, v3
	v_and_b32_e32 v3, 0xffff, v3
	v_mul_u32_u24_e32 v2, 0x10001, v2
	v_pk_fma_f16 v6, v5, v7, v6
	s_delay_alu instid0(VALU_DEP_4) | instskip(NEXT) | instid1(VALU_DEP_4)
	v_mul_u32_u24_e32 v8, 0x10001, v8
	v_mul_u32_u24_e32 v3, 0x10001, v3
	s_delay_alu instid0(VALU_DEP_4) | instskip(NEXT) | instid1(VALU_DEP_3)
	v_pk_fma_f16 v9, v5, v2, v0
	v_pk_fma_f16 v8, v5, v8, v4
	s_delay_alu instid0(VALU_DEP_3)
	v_pk_fma_f16 v7, v5, v3, v1
	ds_load_2addr_b32 v[4:5], v10 offset0:128 offset1:160
	;; [unrolled: 33-line block ×3, first 2 shown]
	ds_load_b128 v[0:3], v47 offset:688
	s_wait_dscnt 0x0
	v_lshrrev_b32_e32 v11, 16, v1
	v_and_b32_e32 v1, 0xffff, v1
	v_lshrrev_b32_e32 v10, 16, v0
	v_and_b32_e32 v0, 0xffff, v0
	s_delay_alu instid0(VALU_DEP_3) | instskip(NEXT) | instid1(VALU_DEP_3)
	v_mul_u32_u24_e32 v1, 0x10001, v1
	v_mul_u32_u24_e32 v10, 0x10001, v10
	s_delay_alu instid0(VALU_DEP_3) | instskip(NEXT) | instid1(VALU_DEP_3)
	v_mul_u32_u24_e32 v0, 0x10001, v0
	v_pk_fma_f16 v1, v4, v1, v7
	v_lshrrev_b32_e32 v7, 16, v2
	v_mul_u32_u24_e32 v11, 0x10001, v11
	s_delay_alu instid0(VALU_DEP_4)
	v_pk_fma_f16 v0, v4, v0, v9
	v_pk_fma_f16 v6, v4, v10, v6
	v_and_b32_e32 v2, 0xffff, v2
	v_mul_u32_u24_e32 v7, 0x10001, v7
	v_pk_fma_f16 v4, v4, v11, v8
	v_lshrrev_b32_e32 v8, 16, v3
	v_and_b32_e32 v3, 0xffff, v3
	v_mul_u32_u24_e32 v2, 0x10001, v2
	v_add_nc_u32_e32 v10, 0x2c00, v76
	v_pk_fma_f16 v6, v5, v7, v6
	v_mul_u32_u24_e32 v8, 0x10001, v8
	v_mul_u32_u24_e32 v3, 0x10001, v3
	v_pk_fma_f16 v9, v5, v2, v0
	s_delay_alu instid0(VALU_DEP_3) | instskip(NEXT) | instid1(VALU_DEP_3)
	v_pk_fma_f16 v8, v5, v8, v4
	v_pk_fma_f16 v7, v5, v3, v1
	ds_load_2addr_b32 v[4:5], v10 offset1:32
	ds_load_b128 v[0:3], v47 offset:704
	s_wait_dscnt 0x0
	v_lshrrev_b32_e32 v12, 16, v1
	v_and_b32_e32 v1, 0xffff, v1
	v_lshrrev_b32_e32 v11, 16, v0
	v_and_b32_e32 v0, 0xffff, v0
	s_delay_alu instid0(VALU_DEP_3) | instskip(NEXT) | instid1(VALU_DEP_3)
	v_mul_u32_u24_e32 v1, 0x10001, v1
	v_mul_u32_u24_e32 v11, 0x10001, v11
	s_delay_alu instid0(VALU_DEP_3) | instskip(NEXT) | instid1(VALU_DEP_3)
	v_mul_u32_u24_e32 v0, 0x10001, v0
	v_pk_fma_f16 v1, v4, v1, v7
	v_lshrrev_b32_e32 v7, 16, v2
	v_mul_u32_u24_e32 v12, 0x10001, v12
	s_delay_alu instid0(VALU_DEP_4)
	v_pk_fma_f16 v0, v4, v0, v9
	v_pk_fma_f16 v6, v4, v11, v6
	v_and_b32_e32 v2, 0xffff, v2
	v_mul_u32_u24_e32 v7, 0x10001, v7
	v_pk_fma_f16 v4, v4, v12, v8
	v_lshrrev_b32_e32 v8, 16, v3
	v_and_b32_e32 v3, 0xffff, v3
	v_mul_u32_u24_e32 v2, 0x10001, v2
	v_pk_fma_f16 v6, v5, v7, v6
	s_delay_alu instid0(VALU_DEP_4) | instskip(NEXT) | instid1(VALU_DEP_4)
	v_mul_u32_u24_e32 v8, 0x10001, v8
	v_mul_u32_u24_e32 v3, 0x10001, v3
	s_delay_alu instid0(VALU_DEP_4) | instskip(NEXT) | instid1(VALU_DEP_3)
	v_pk_fma_f16 v9, v5, v2, v0
	v_pk_fma_f16 v8, v5, v8, v4
	s_delay_alu instid0(VALU_DEP_3)
	v_pk_fma_f16 v7, v5, v3, v1
	ds_load_2addr_b32 v[4:5], v10 offset0:64 offset1:96
	ds_load_b128 v[0:3], v47 offset:720
	s_wait_dscnt 0x0
	v_lshrrev_b32_e32 v12, 16, v1
	v_and_b32_e32 v1, 0xffff, v1
	v_lshrrev_b32_e32 v11, 16, v0
	v_and_b32_e32 v0, 0xffff, v0
	s_delay_alu instid0(VALU_DEP_3) | instskip(NEXT) | instid1(VALU_DEP_3)
	v_mul_u32_u24_e32 v1, 0x10001, v1
	v_mul_u32_u24_e32 v11, 0x10001, v11
	s_delay_alu instid0(VALU_DEP_3) | instskip(NEXT) | instid1(VALU_DEP_3)
	v_mul_u32_u24_e32 v0, 0x10001, v0
	v_pk_fma_f16 v1, v4, v1, v7
	v_lshrrev_b32_e32 v7, 16, v2
	v_mul_u32_u24_e32 v12, 0x10001, v12
	s_delay_alu instid0(VALU_DEP_4)
	v_pk_fma_f16 v0, v4, v0, v9
	v_pk_fma_f16 v6, v4, v11, v6
	v_and_b32_e32 v2, 0xffff, v2
	v_mul_u32_u24_e32 v7, 0x10001, v7
	v_pk_fma_f16 v4, v4, v12, v8
	v_lshrrev_b32_e32 v8, 16, v3
	v_and_b32_e32 v3, 0xffff, v3
	v_mul_u32_u24_e32 v2, 0x10001, v2
	v_pk_fma_f16 v6, v5, v7, v6
	s_delay_alu instid0(VALU_DEP_4) | instskip(NEXT) | instid1(VALU_DEP_4)
	v_mul_u32_u24_e32 v8, 0x10001, v8
	v_mul_u32_u24_e32 v3, 0x10001, v3
	s_delay_alu instid0(VALU_DEP_4) | instskip(NEXT) | instid1(VALU_DEP_3)
	v_pk_fma_f16 v9, v5, v2, v0
	v_pk_fma_f16 v8, v5, v8, v4
	s_delay_alu instid0(VALU_DEP_3)
	v_pk_fma_f16 v7, v5, v3, v1
	ds_load_2addr_b32 v[4:5], v10 offset0:128 offset1:160
	;; [unrolled: 33-line block ×3, first 2 shown]
	ds_load_b128 v[0:3], v47 offset:752
	s_wait_dscnt 0x0
	v_lshrrev_b32_e32 v11, 16, v1
	v_and_b32_e32 v1, 0xffff, v1
	v_lshrrev_b32_e32 v10, 16, v0
	v_and_b32_e32 v0, 0xffff, v0
	s_delay_alu instid0(VALU_DEP_3) | instskip(NEXT) | instid1(VALU_DEP_3)
	v_mul_u32_u24_e32 v1, 0x10001, v1
	v_mul_u32_u24_e32 v10, 0x10001, v10
	s_delay_alu instid0(VALU_DEP_3) | instskip(NEXT) | instid1(VALU_DEP_3)
	v_mul_u32_u24_e32 v0, 0x10001, v0
	v_pk_fma_f16 v1, v4, v1, v7
	v_lshrrev_b32_e32 v7, 16, v2
	v_mul_u32_u24_e32 v11, 0x10001, v11
	s_delay_alu instid0(VALU_DEP_4)
	v_pk_fma_f16 v0, v4, v0, v9
	v_pk_fma_f16 v6, v4, v10, v6
	v_and_b32_e32 v2, 0xffff, v2
	v_mul_u32_u24_e32 v7, 0x10001, v7
	v_pk_fma_f16 v4, v4, v11, v8
	v_lshrrev_b32_e32 v8, 16, v3
	v_and_b32_e32 v3, 0xffff, v3
	v_mul_u32_u24_e32 v2, 0x10001, v2
	v_add_nc_u32_e32 v10, 0x3000, v76
	v_pk_fma_f16 v6, v5, v7, v6
	v_mul_u32_u24_e32 v8, 0x10001, v8
	v_mul_u32_u24_e32 v3, 0x10001, v3
	v_pk_fma_f16 v9, v5, v2, v0
	s_delay_alu instid0(VALU_DEP_3) | instskip(NEXT) | instid1(VALU_DEP_3)
	v_pk_fma_f16 v8, v5, v8, v4
	v_pk_fma_f16 v7, v5, v3, v1
	ds_load_2addr_b32 v[4:5], v10 offset1:32
	ds_load_b128 v[0:3], v47 offset:768
	s_wait_dscnt 0x0
	v_lshrrev_b32_e32 v12, 16, v1
	v_and_b32_e32 v1, 0xffff, v1
	v_lshrrev_b32_e32 v11, 16, v0
	v_and_b32_e32 v0, 0xffff, v0
	s_delay_alu instid0(VALU_DEP_3) | instskip(NEXT) | instid1(VALU_DEP_3)
	v_mul_u32_u24_e32 v1, 0x10001, v1
	v_mul_u32_u24_e32 v11, 0x10001, v11
	s_delay_alu instid0(VALU_DEP_3) | instskip(NEXT) | instid1(VALU_DEP_3)
	v_mul_u32_u24_e32 v0, 0x10001, v0
	v_pk_fma_f16 v1, v4, v1, v7
	v_lshrrev_b32_e32 v7, 16, v2
	v_mul_u32_u24_e32 v12, 0x10001, v12
	s_delay_alu instid0(VALU_DEP_4)
	v_pk_fma_f16 v0, v4, v0, v9
	v_pk_fma_f16 v6, v4, v11, v6
	v_and_b32_e32 v2, 0xffff, v2
	v_mul_u32_u24_e32 v7, 0x10001, v7
	v_pk_fma_f16 v4, v4, v12, v8
	v_lshrrev_b32_e32 v8, 16, v3
	v_and_b32_e32 v3, 0xffff, v3
	v_mul_u32_u24_e32 v2, 0x10001, v2
	v_pk_fma_f16 v6, v5, v7, v6
	s_delay_alu instid0(VALU_DEP_4) | instskip(NEXT) | instid1(VALU_DEP_4)
	v_mul_u32_u24_e32 v8, 0x10001, v8
	v_mul_u32_u24_e32 v3, 0x10001, v3
	s_delay_alu instid0(VALU_DEP_4) | instskip(NEXT) | instid1(VALU_DEP_3)
	v_pk_fma_f16 v9, v5, v2, v0
	v_pk_fma_f16 v8, v5, v8, v4
	s_delay_alu instid0(VALU_DEP_3)
	v_pk_fma_f16 v7, v5, v3, v1
	ds_load_2addr_b32 v[4:5], v10 offset0:64 offset1:96
	ds_load_b128 v[0:3], v47 offset:784
	s_wait_dscnt 0x0
	v_lshrrev_b32_e32 v12, 16, v1
	v_and_b32_e32 v1, 0xffff, v1
	v_lshrrev_b32_e32 v11, 16, v0
	v_and_b32_e32 v0, 0xffff, v0
	s_delay_alu instid0(VALU_DEP_3) | instskip(NEXT) | instid1(VALU_DEP_3)
	v_mul_u32_u24_e32 v1, 0x10001, v1
	v_mul_u32_u24_e32 v11, 0x10001, v11
	s_delay_alu instid0(VALU_DEP_3) | instskip(NEXT) | instid1(VALU_DEP_3)
	v_mul_u32_u24_e32 v0, 0x10001, v0
	v_pk_fma_f16 v1, v4, v1, v7
	v_lshrrev_b32_e32 v7, 16, v2
	v_mul_u32_u24_e32 v12, 0x10001, v12
	s_delay_alu instid0(VALU_DEP_4)
	v_pk_fma_f16 v0, v4, v0, v9
	v_pk_fma_f16 v6, v4, v11, v6
	v_and_b32_e32 v2, 0xffff, v2
	v_mul_u32_u24_e32 v7, 0x10001, v7
	v_pk_fma_f16 v4, v4, v12, v8
	v_lshrrev_b32_e32 v8, 16, v3
	v_and_b32_e32 v3, 0xffff, v3
	v_mul_u32_u24_e32 v2, 0x10001, v2
	v_pk_fma_f16 v6, v5, v7, v6
	s_delay_alu instid0(VALU_DEP_4) | instskip(NEXT) | instid1(VALU_DEP_4)
	v_mul_u32_u24_e32 v8, 0x10001, v8
	v_mul_u32_u24_e32 v3, 0x10001, v3
	s_delay_alu instid0(VALU_DEP_4) | instskip(NEXT) | instid1(VALU_DEP_3)
	v_pk_fma_f16 v9, v5, v2, v0
	v_pk_fma_f16 v8, v5, v8, v4
	s_delay_alu instid0(VALU_DEP_3)
	v_pk_fma_f16 v7, v5, v3, v1
	ds_load_2addr_b32 v[4:5], v10 offset0:128 offset1:160
	;; [unrolled: 33-line block ×3, first 2 shown]
	ds_load_b128 v[0:3], v47 offset:816
	s_wait_dscnt 0x0
	v_lshrrev_b32_e32 v11, 16, v1
	v_and_b32_e32 v1, 0xffff, v1
	v_lshrrev_b32_e32 v10, 16, v0
	v_and_b32_e32 v0, 0xffff, v0
	s_delay_alu instid0(VALU_DEP_3) | instskip(NEXT) | instid1(VALU_DEP_3)
	v_mul_u32_u24_e32 v1, 0x10001, v1
	v_mul_u32_u24_e32 v10, 0x10001, v10
	s_delay_alu instid0(VALU_DEP_3) | instskip(NEXT) | instid1(VALU_DEP_3)
	v_mul_u32_u24_e32 v0, 0x10001, v0
	v_pk_fma_f16 v1, v4, v1, v7
	v_lshrrev_b32_e32 v7, 16, v2
	v_mul_u32_u24_e32 v11, 0x10001, v11
	s_delay_alu instid0(VALU_DEP_4)
	v_pk_fma_f16 v0, v4, v0, v9
	v_pk_fma_f16 v6, v4, v10, v6
	v_and_b32_e32 v2, 0xffff, v2
	v_mul_u32_u24_e32 v7, 0x10001, v7
	v_pk_fma_f16 v4, v4, v11, v8
	v_lshrrev_b32_e32 v8, 16, v3
	v_and_b32_e32 v3, 0xffff, v3
	v_mul_u32_u24_e32 v2, 0x10001, v2
	v_add_nc_u32_e32 v10, 0x3400, v76
	v_pk_fma_f16 v6, v5, v7, v6
	v_mul_u32_u24_e32 v8, 0x10001, v8
	v_mul_u32_u24_e32 v3, 0x10001, v3
	v_pk_fma_f16 v9, v5, v2, v0
	s_delay_alu instid0(VALU_DEP_3) | instskip(NEXT) | instid1(VALU_DEP_3)
	v_pk_fma_f16 v8, v5, v8, v4
	v_pk_fma_f16 v7, v5, v3, v1
	ds_load_2addr_b32 v[4:5], v10 offset1:32
	ds_load_b128 v[0:3], v47 offset:832
	s_wait_dscnt 0x0
	v_lshrrev_b32_e32 v12, 16, v1
	v_and_b32_e32 v1, 0xffff, v1
	v_lshrrev_b32_e32 v11, 16, v0
	v_and_b32_e32 v0, 0xffff, v0
	s_delay_alu instid0(VALU_DEP_3) | instskip(NEXT) | instid1(VALU_DEP_3)
	v_mul_u32_u24_e32 v1, 0x10001, v1
	v_mul_u32_u24_e32 v11, 0x10001, v11
	s_delay_alu instid0(VALU_DEP_3) | instskip(NEXT) | instid1(VALU_DEP_3)
	v_mul_u32_u24_e32 v0, 0x10001, v0
	v_pk_fma_f16 v1, v4, v1, v7
	v_lshrrev_b32_e32 v7, 16, v2
	v_mul_u32_u24_e32 v12, 0x10001, v12
	s_delay_alu instid0(VALU_DEP_4)
	v_pk_fma_f16 v0, v4, v0, v9
	v_pk_fma_f16 v6, v4, v11, v6
	v_and_b32_e32 v2, 0xffff, v2
	v_mul_u32_u24_e32 v7, 0x10001, v7
	v_pk_fma_f16 v4, v4, v12, v8
	v_lshrrev_b32_e32 v8, 16, v3
	v_and_b32_e32 v3, 0xffff, v3
	v_mul_u32_u24_e32 v2, 0x10001, v2
	v_pk_fma_f16 v6, v5, v7, v6
	s_delay_alu instid0(VALU_DEP_4) | instskip(NEXT) | instid1(VALU_DEP_4)
	v_mul_u32_u24_e32 v8, 0x10001, v8
	v_mul_u32_u24_e32 v3, 0x10001, v3
	s_delay_alu instid0(VALU_DEP_4) | instskip(NEXT) | instid1(VALU_DEP_3)
	v_pk_fma_f16 v9, v5, v2, v0
	v_pk_fma_f16 v8, v5, v8, v4
	s_delay_alu instid0(VALU_DEP_3)
	v_pk_fma_f16 v7, v5, v3, v1
	ds_load_2addr_b32 v[4:5], v10 offset0:64 offset1:96
	ds_load_b128 v[0:3], v47 offset:848
	s_wait_dscnt 0x0
	v_lshrrev_b32_e32 v12, 16, v1
	v_and_b32_e32 v1, 0xffff, v1
	v_lshrrev_b32_e32 v11, 16, v0
	v_and_b32_e32 v0, 0xffff, v0
	s_delay_alu instid0(VALU_DEP_3) | instskip(NEXT) | instid1(VALU_DEP_3)
	v_mul_u32_u24_e32 v1, 0x10001, v1
	v_mul_u32_u24_e32 v11, 0x10001, v11
	s_delay_alu instid0(VALU_DEP_3) | instskip(NEXT) | instid1(VALU_DEP_3)
	v_mul_u32_u24_e32 v0, 0x10001, v0
	v_pk_fma_f16 v1, v4, v1, v7
	v_lshrrev_b32_e32 v7, 16, v2
	v_mul_u32_u24_e32 v12, 0x10001, v12
	s_delay_alu instid0(VALU_DEP_4)
	v_pk_fma_f16 v0, v4, v0, v9
	v_pk_fma_f16 v6, v4, v11, v6
	v_and_b32_e32 v2, 0xffff, v2
	v_mul_u32_u24_e32 v7, 0x10001, v7
	v_pk_fma_f16 v4, v4, v12, v8
	v_lshrrev_b32_e32 v8, 16, v3
	v_and_b32_e32 v3, 0xffff, v3
	v_mul_u32_u24_e32 v2, 0x10001, v2
	v_pk_fma_f16 v6, v5, v7, v6
	s_delay_alu instid0(VALU_DEP_4) | instskip(NEXT) | instid1(VALU_DEP_4)
	v_mul_u32_u24_e32 v8, 0x10001, v8
	v_mul_u32_u24_e32 v3, 0x10001, v3
	s_delay_alu instid0(VALU_DEP_4) | instskip(NEXT) | instid1(VALU_DEP_3)
	v_pk_fma_f16 v9, v5, v2, v0
	v_pk_fma_f16 v8, v5, v8, v4
	s_delay_alu instid0(VALU_DEP_3)
	v_pk_fma_f16 v7, v5, v3, v1
	ds_load_2addr_b32 v[4:5], v10 offset0:128 offset1:160
	;; [unrolled: 33-line block ×3, first 2 shown]
	ds_load_b128 v[0:3], v47 offset:880
	s_wait_dscnt 0x0
	v_lshrrev_b32_e32 v11, 16, v1
	v_and_b32_e32 v1, 0xffff, v1
	v_lshrrev_b32_e32 v10, 16, v0
	v_and_b32_e32 v0, 0xffff, v0
	s_delay_alu instid0(VALU_DEP_3) | instskip(NEXT) | instid1(VALU_DEP_3)
	v_mul_u32_u24_e32 v1, 0x10001, v1
	v_mul_u32_u24_e32 v10, 0x10001, v10
	s_delay_alu instid0(VALU_DEP_3) | instskip(NEXT) | instid1(VALU_DEP_3)
	v_mul_u32_u24_e32 v0, 0x10001, v0
	v_pk_fma_f16 v1, v4, v1, v7
	v_lshrrev_b32_e32 v7, 16, v2
	v_mul_u32_u24_e32 v11, 0x10001, v11
	s_delay_alu instid0(VALU_DEP_4)
	v_pk_fma_f16 v0, v4, v0, v9
	v_pk_fma_f16 v6, v4, v10, v6
	v_and_b32_e32 v2, 0xffff, v2
	v_mul_u32_u24_e32 v7, 0x10001, v7
	v_pk_fma_f16 v4, v4, v11, v8
	v_lshrrev_b32_e32 v8, 16, v3
	v_and_b32_e32 v3, 0xffff, v3
	v_mul_u32_u24_e32 v2, 0x10001, v2
	v_add_nc_u32_e32 v10, 0x3800, v76
	v_pk_fma_f16 v6, v5, v7, v6
	v_mul_u32_u24_e32 v8, 0x10001, v8
	v_mul_u32_u24_e32 v3, 0x10001, v3
	v_pk_fma_f16 v9, v5, v2, v0
	s_delay_alu instid0(VALU_DEP_3) | instskip(NEXT) | instid1(VALU_DEP_3)
	v_pk_fma_f16 v8, v5, v8, v4
	v_pk_fma_f16 v7, v5, v3, v1
	ds_load_2addr_b32 v[4:5], v10 offset1:32
	ds_load_b128 v[0:3], v47 offset:896
	s_wait_dscnt 0x0
	v_lshrrev_b32_e32 v12, 16, v1
	v_and_b32_e32 v1, 0xffff, v1
	v_lshrrev_b32_e32 v11, 16, v0
	v_and_b32_e32 v0, 0xffff, v0
	s_delay_alu instid0(VALU_DEP_3) | instskip(NEXT) | instid1(VALU_DEP_3)
	v_mul_u32_u24_e32 v1, 0x10001, v1
	v_mul_u32_u24_e32 v11, 0x10001, v11
	s_delay_alu instid0(VALU_DEP_3) | instskip(NEXT) | instid1(VALU_DEP_3)
	v_mul_u32_u24_e32 v0, 0x10001, v0
	v_pk_fma_f16 v1, v4, v1, v7
	v_lshrrev_b32_e32 v7, 16, v2
	v_mul_u32_u24_e32 v12, 0x10001, v12
	s_delay_alu instid0(VALU_DEP_4)
	v_pk_fma_f16 v0, v4, v0, v9
	v_pk_fma_f16 v6, v4, v11, v6
	v_and_b32_e32 v2, 0xffff, v2
	v_mul_u32_u24_e32 v7, 0x10001, v7
	v_pk_fma_f16 v4, v4, v12, v8
	v_lshrrev_b32_e32 v8, 16, v3
	v_and_b32_e32 v3, 0xffff, v3
	v_mul_u32_u24_e32 v2, 0x10001, v2
	v_pk_fma_f16 v6, v5, v7, v6
	s_delay_alu instid0(VALU_DEP_4) | instskip(NEXT) | instid1(VALU_DEP_4)
	v_mul_u32_u24_e32 v8, 0x10001, v8
	v_mul_u32_u24_e32 v3, 0x10001, v3
	s_delay_alu instid0(VALU_DEP_4) | instskip(NEXT) | instid1(VALU_DEP_3)
	v_pk_fma_f16 v9, v5, v2, v0
	v_pk_fma_f16 v8, v5, v8, v4
	s_delay_alu instid0(VALU_DEP_3)
	v_pk_fma_f16 v7, v5, v3, v1
	ds_load_2addr_b32 v[4:5], v10 offset0:64 offset1:96
	ds_load_b128 v[0:3], v47 offset:912
	s_wait_dscnt 0x0
	v_lshrrev_b32_e32 v12, 16, v1
	v_and_b32_e32 v1, 0xffff, v1
	v_lshrrev_b32_e32 v11, 16, v0
	v_and_b32_e32 v0, 0xffff, v0
	s_delay_alu instid0(VALU_DEP_3) | instskip(NEXT) | instid1(VALU_DEP_3)
	v_mul_u32_u24_e32 v1, 0x10001, v1
	v_mul_u32_u24_e32 v11, 0x10001, v11
	s_delay_alu instid0(VALU_DEP_3) | instskip(NEXT) | instid1(VALU_DEP_3)
	v_mul_u32_u24_e32 v0, 0x10001, v0
	v_pk_fma_f16 v1, v4, v1, v7
	v_lshrrev_b32_e32 v7, 16, v2
	v_mul_u32_u24_e32 v12, 0x10001, v12
	s_delay_alu instid0(VALU_DEP_4)
	v_pk_fma_f16 v0, v4, v0, v9
	v_pk_fma_f16 v6, v4, v11, v6
	v_and_b32_e32 v2, 0xffff, v2
	v_mul_u32_u24_e32 v7, 0x10001, v7
	v_pk_fma_f16 v4, v4, v12, v8
	v_lshrrev_b32_e32 v8, 16, v3
	v_and_b32_e32 v3, 0xffff, v3
	v_mul_u32_u24_e32 v2, 0x10001, v2
	v_pk_fma_f16 v6, v5, v7, v6
	s_delay_alu instid0(VALU_DEP_4) | instskip(NEXT) | instid1(VALU_DEP_4)
	v_mul_u32_u24_e32 v8, 0x10001, v8
	v_mul_u32_u24_e32 v3, 0x10001, v3
	s_delay_alu instid0(VALU_DEP_4) | instskip(NEXT) | instid1(VALU_DEP_3)
	v_pk_fma_f16 v9, v5, v2, v0
	v_pk_fma_f16 v8, v5, v8, v4
	s_delay_alu instid0(VALU_DEP_3)
	v_pk_fma_f16 v7, v5, v3, v1
	ds_load_2addr_b32 v[4:5], v10 offset0:128 offset1:160
	;; [unrolled: 33-line block ×3, first 2 shown]
	ds_load_b128 v[0:3], v47 offset:944
	s_wait_dscnt 0x0
	v_lshrrev_b32_e32 v11, 16, v1
	v_and_b32_e32 v1, 0xffff, v1
	v_lshrrev_b32_e32 v10, 16, v0
	v_and_b32_e32 v0, 0xffff, v0
	s_delay_alu instid0(VALU_DEP_3) | instskip(NEXT) | instid1(VALU_DEP_3)
	v_mul_u32_u24_e32 v1, 0x10001, v1
	v_mul_u32_u24_e32 v10, 0x10001, v10
	s_delay_alu instid0(VALU_DEP_3) | instskip(NEXT) | instid1(VALU_DEP_3)
	v_mul_u32_u24_e32 v0, 0x10001, v0
	v_pk_fma_f16 v1, v4, v1, v7
	v_lshrrev_b32_e32 v7, 16, v2
	v_mul_u32_u24_e32 v11, 0x10001, v11
	s_delay_alu instid0(VALU_DEP_4)
	v_pk_fma_f16 v0, v4, v0, v9
	v_pk_fma_f16 v6, v4, v10, v6
	v_and_b32_e32 v2, 0xffff, v2
	v_mul_u32_u24_e32 v7, 0x10001, v7
	v_pk_fma_f16 v4, v4, v11, v8
	v_lshrrev_b32_e32 v8, 16, v3
	v_and_b32_e32 v3, 0xffff, v3
	v_mul_u32_u24_e32 v2, 0x10001, v2
	v_add_nc_u32_e32 v10, 0x3c00, v76
	v_pk_fma_f16 v6, v5, v7, v6
	v_mul_u32_u24_e32 v8, 0x10001, v8
	v_mul_u32_u24_e32 v3, 0x10001, v3
	v_pk_fma_f16 v9, v5, v2, v0
	s_delay_alu instid0(VALU_DEP_3) | instskip(NEXT) | instid1(VALU_DEP_3)
	v_pk_fma_f16 v8, v5, v8, v4
	v_pk_fma_f16 v7, v5, v3, v1
	ds_load_2addr_b32 v[4:5], v10 offset1:32
	ds_load_b128 v[0:3], v47 offset:960
	s_wait_dscnt 0x0
	v_lshrrev_b32_e32 v12, 16, v1
	v_and_b32_e32 v1, 0xffff, v1
	v_lshrrev_b32_e32 v11, 16, v0
	v_and_b32_e32 v0, 0xffff, v0
	s_delay_alu instid0(VALU_DEP_3) | instskip(NEXT) | instid1(VALU_DEP_3)
	v_mul_u32_u24_e32 v1, 0x10001, v1
	v_mul_u32_u24_e32 v11, 0x10001, v11
	s_delay_alu instid0(VALU_DEP_3) | instskip(NEXT) | instid1(VALU_DEP_3)
	v_mul_u32_u24_e32 v0, 0x10001, v0
	v_pk_fma_f16 v1, v4, v1, v7
	v_lshrrev_b32_e32 v7, 16, v2
	v_mul_u32_u24_e32 v12, 0x10001, v12
	s_delay_alu instid0(VALU_DEP_4)
	v_pk_fma_f16 v0, v4, v0, v9
	v_pk_fma_f16 v6, v4, v11, v6
	v_and_b32_e32 v2, 0xffff, v2
	v_mul_u32_u24_e32 v7, 0x10001, v7
	v_pk_fma_f16 v4, v4, v12, v8
	v_lshrrev_b32_e32 v8, 16, v3
	v_and_b32_e32 v3, 0xffff, v3
	v_mul_u32_u24_e32 v2, 0x10001, v2
	v_pk_fma_f16 v6, v5, v7, v6
	s_delay_alu instid0(VALU_DEP_4) | instskip(NEXT) | instid1(VALU_DEP_4)
	v_mul_u32_u24_e32 v8, 0x10001, v8
	v_mul_u32_u24_e32 v3, 0x10001, v3
	s_delay_alu instid0(VALU_DEP_4) | instskip(NEXT) | instid1(VALU_DEP_3)
	v_pk_fma_f16 v9, v5, v2, v0
	v_pk_fma_f16 v8, v5, v8, v4
	s_delay_alu instid0(VALU_DEP_3)
	v_pk_fma_f16 v7, v5, v3, v1
	ds_load_2addr_b32 v[4:5], v10 offset0:64 offset1:96
	ds_load_b128 v[0:3], v47 offset:976
	s_wait_dscnt 0x0
	v_lshrrev_b32_e32 v12, 16, v1
	v_and_b32_e32 v1, 0xffff, v1
	v_lshrrev_b32_e32 v11, 16, v0
	v_and_b32_e32 v0, 0xffff, v0
	s_delay_alu instid0(VALU_DEP_3) | instskip(NEXT) | instid1(VALU_DEP_3)
	v_mul_u32_u24_e32 v1, 0x10001, v1
	v_mul_u32_u24_e32 v11, 0x10001, v11
	s_delay_alu instid0(VALU_DEP_3) | instskip(NEXT) | instid1(VALU_DEP_3)
	v_mul_u32_u24_e32 v0, 0x10001, v0
	v_pk_fma_f16 v1, v4, v1, v7
	v_lshrrev_b32_e32 v7, 16, v2
	v_mul_u32_u24_e32 v12, 0x10001, v12
	s_delay_alu instid0(VALU_DEP_4)
	v_pk_fma_f16 v0, v4, v0, v9
	v_pk_fma_f16 v6, v4, v11, v6
	v_and_b32_e32 v2, 0xffff, v2
	v_mul_u32_u24_e32 v7, 0x10001, v7
	v_pk_fma_f16 v4, v4, v12, v8
	v_lshrrev_b32_e32 v8, 16, v3
	v_and_b32_e32 v3, 0xffff, v3
	v_mul_u32_u24_e32 v2, 0x10001, v2
	v_pk_fma_f16 v6, v5, v7, v6
	s_delay_alu instid0(VALU_DEP_4) | instskip(NEXT) | instid1(VALU_DEP_4)
	v_mul_u32_u24_e32 v8, 0x10001, v8
	v_mul_u32_u24_e32 v3, 0x10001, v3
	s_delay_alu instid0(VALU_DEP_4) | instskip(NEXT) | instid1(VALU_DEP_3)
	v_pk_fma_f16 v9, v5, v2, v0
	v_pk_fma_f16 v8, v5, v8, v4
	s_delay_alu instid0(VALU_DEP_3)
	v_pk_fma_f16 v7, v5, v3, v1
	ds_load_2addr_b32 v[4:5], v10 offset0:128 offset1:160
	;; [unrolled: 33-line block ×3, first 2 shown]
	ds_load_b128 v[0:3], v47 offset:1008
	s_wait_dscnt 0x0
	s_barrier_signal -1
	s_barrier_wait -1
	s_load_b32 s11, s[6:7], 0x4
	v_lshrrev_b32_e32 v11, 16, v1
	v_and_b32_e32 v1, 0xffff, v1
	v_lshrrev_b32_e32 v10, 16, v0
	v_and_b32_e32 v0, 0xffff, v0
	s_wait_kmcnt 0x0
	s_lshl_b32 s11, s11, 7
	v_mul_u32_u24_e32 v1, 0x10001, v1
	v_mul_u32_u24_e32 v10, 0x10001, v10
	;; [unrolled: 1-line block ×3, first 2 shown]
	s_add_co_i32 s18, s11, s18
	s_delay_alu instid0(VALU_DEP_3)
	v_pk_fma_f16 v1, v4, v1, v7
	v_lshrrev_b32_e32 v7, 16, v2
	v_mul_u32_u24_e32 v11, 0x10001, v11
	v_pk_fma_f16 v0, v4, v0, v9
	v_pk_fma_f16 v6, v4, v10, v6
	v_and_b32_e32 v2, 0xffff, v2
	v_mul_u32_u24_e32 v7, 0x10001, v7
	v_pk_fma_f16 v4, v4, v11, v8
	v_lshrrev_b32_e32 v8, 16, v3
	v_and_b32_e32 v3, 0xffff, v3
	v_mul_u32_u24_e32 v2, 0x10001, v2
	v_pk_fma_f16 v81, v5, v7, v6
	s_cmp_lt_i32 s18, s3
	v_mul_u32_u24_e32 v8, 0x10001, v8
	v_mul_u32_u24_e32 v3, 0x10001, v3
	v_pk_fma_f16 v82, v5, v2, v0
	s_delay_alu instid0(VALU_DEP_3) | instskip(NEXT) | instid1(VALU_DEP_3)
	v_pk_fma_f16 v91, v5, v8, v4
	v_pk_fma_f16 v80, v5, v3, v1
	s_cbranch_scc0 .LBB59_44
; %bb.42:                               ;   in Loop: Header=BB59_8 Depth=1
	v_dual_mov_b32 v95, v20 :: v_dual_mov_b32 v94, v21
	v_dual_mov_b32 v93, v22 :: v_dual_mov_b32 v92, v23
	s_branch .LBB59_8
.LBB59_43:
	v_dual_mov_b32 v20, 0xfeffffff :: v_dual_mov_b32 v17, 0
	v_dual_mov_b32 v82, 0 :: v_dual_mov_b32 v18, 0
	;; [unrolled: 1-line block ×3, first 2 shown]
	s_delay_alu instid0(VALU_DEP_3)
	v_dual_mov_b32 v21, v20 :: v_dual_mov_b32 v22, v20
	v_dual_mov_b32 v23, v20 :: v_dual_mov_b32 v16, 0
	v_mov_b32_e32 v91, 0
.LBB59_44:
	v_lshlrev_b32_e32 v56, 1, v44
	s_cmp_gt_i32 s2, s18
	s_cbranch_scc1 .LBB59_47
; %bb.45:
	v_mbcnt_lo_u32_b32 v0, -1, 0
	v_mov_b32_e32 v34, 32
	s_delay_alu instid0(VALU_DEP_2)
	v_xor_b32_e32 v35, 16, v0
	v_xor_b32_e32 v32, 8, v0
	;; [unrolled: 1-line block ×5, first 2 shown]
	s_cbranch_execz .LBB59_48
; %bb.46:
	v_mov_b32_e32 v53, v0
	s_branch .LBB59_125
.LBB59_47:
                                        ; implicit-def: $vgpr0
                                        ; implicit-def: $vgpr34
                                        ; implicit-def: $vgpr35
                                        ; implicit-def: $vgpr32
                                        ; implicit-def: $vgpr31
                                        ; implicit-def: $vgpr30
                                        ; implicit-def: $vgpr33
.LBB59_48:
	v_dual_mov_b32 v0, 0 :: v_dual_add_nc_u32 v57, v83, v73
	s_ashr_i32 s19, s18, 31
	s_ashr_i32 s9, s8, 31
	v_dual_lshlrev_b32 v1, 20, v53 :: v_dual_bitop2_b32 v2, 28, v76 bitop3:0x40
	s_delay_alu instid0(VALU_DEP_2)
	v_mul_lo_u32 v8, s8, v57
	s_mul_u64 s[6:7], s[18:19], s[8:9]
	s_sub_co_i32 s15, s2, s18
	s_lshl_b64 s[6:7], s[6:7], 2
	v_add_nc_u64_e32 v[10:11], src_flat_scratch_base_lo, v[0:1]
	s_add_nc_u64 s[10:11], s[4:5], s[6:7]
	s_mov_b32 s4, 0
	v_cmp_gt_i32_e64 s9, s15, v57
	s_mov_b32 s5, s4
	s_mov_b32 s6, s4
	v_dual_mov_b32 v55, 0 :: v_dual_ashrrev_i32 v9, 31, v8
	v_dual_lshlrev_b32 v54, 2, v2 :: v_dual_mov_b32 v4, s4
	v_dual_mov_b32 v5, s5 :: v_dual_mov_b32 v6, s6
	s_delay_alu instid0(VALU_DEP_3)
	v_lshl_add_u64 v[2:3], v[8:9], 2, s[10:11]
	s_clause 0x1
	scratch_store_b32 off, v55, off
	scratch_store_b96 off, v[4:6], off offset:4
	s_lshl_b32 s2, s8, 4
	v_add_nc_u64_e32 v[0:1], v[2:3], v[54:55]
	v_dual_add_nc_u32 v8, s2, v8 :: v_dual_add_nc_u32 v58, 16, v57
	v_mad_u32_u24 v7, 0x90, v57, v54
	v_add_nc_u32_e32 v62, 0x50, v57
	v_add_nc_u32_e32 v63, 0x60, v57
	;; [unrolled: 1-line block ×3, first 2 shown]
	v_dual_cndmask_b32 v1, v11, v1, s9 :: v_dual_cndmask_b32 v0, v10, v0, s9
	v_cmp_gt_i32_e64 s8, s15, v58
	v_ashrrev_i32_e32 v9, 31, v8
	v_cmp_gt_i32_e64 s4, s15, v62
	v_cmp_gt_i32_e64 s3, s15, v63
	flat_load_b128 v[0:3], v[0:1]
	s_clause 0x1
	scratch_store_b32 off, v55, off
	scratch_store_b96 off, v[4:6], off offset:4
	v_lshl_add_u64 v[12:13], v[8:9], 2, s[10:11]
	v_dual_add_nc_u32 v59, 32, v57 :: v_dual_mov_b32 v15, v55
	s_cmp_lg_u64 s[28:29], 0
	v_add_nc_u32_e32 v60, 48, v57
	s_delay_alu instid0(VALU_DEP_3) | instskip(NEXT) | instid1(VALU_DEP_3)
	v_add_nc_u64_e32 v[12:13], v[12:13], v[54:55]
	v_cmp_gt_i32_e64 s7, s15, v59
	v_add_nc_u32_e32 v8, s2, v8
	s_cselect_b32 s12, -1, 0
	v_cmp_gt_i32_e64 s6, s15, v60
	v_dual_mov_b32 v14, v55 :: v_dual_add_nc_u32 v61, 64, v57
	v_dual_cndmask_b32 v13, v11, v13, s8 :: v_dual_cndmask_b32 v12, v10, v12, s8
	v_ashrrev_i32_e32 v9, 31, v8
	s_delay_alu instid0(VALU_DEP_3)
	v_cmp_gt_i32_e64 s5, s15, v61
	s_wait_loadcnt_dscnt 0x0
	ds_store_b128 v7, v[0:3]
	flat_load_b128 v[0:3], v[12:13]
	s_wait_xcnt 0x0
	v_lshl_add_u64 v[12:13], v[8:9], 2, s[10:11]
	s_clause 0x1
	scratch_store_b32 off, v55, off
	scratch_store_b96 off, v[4:6], off offset:4
	v_add_nc_u64_e32 v[12:13], v[12:13], v[54:55]
	s_delay_alu instid0(VALU_DEP_1) | instskip(SKIP_1) | instid1(VALU_DEP_1)
	v_dual_cndmask_b32 v13, v11, v13, s7 :: v_dual_cndmask_b32 v12, v10, v12, s7
	v_add_nc_u32_e32 v8, s2, v8
	v_ashrrev_i32_e32 v9, 31, v8
	s_wait_loadcnt_dscnt 0x0
	ds_store_b128 v7, v[0:3] offset:2304
	flat_load_b128 v[0:3], v[12:13]
	s_wait_xcnt 0x0
	v_lshl_add_u64 v[12:13], v[8:9], 2, s[10:11]
	s_clause 0x1
	scratch_store_b32 off, v55, off
	scratch_store_b96 off, v[4:6], off offset:4
	v_add_nc_u32_e32 v8, s2, v8
	v_add_nc_u64_e32 v[12:13], v[12:13], v[54:55]
	s_delay_alu instid0(VALU_DEP_1) | instskip(NEXT) | instid1(VALU_DEP_2)
	v_dual_ashrrev_i32 v9, 31, v8 :: v_dual_cndmask_b32 v13, v11, v13, s6
	v_cndmask_b32_e64 v12, v10, v12, s6
	s_wait_loadcnt_dscnt 0x0
	ds_store_b128 v7, v[0:3] offset:4608
	flat_load_b128 v[0:3], v[12:13]
	s_wait_xcnt 0x0
	v_lshl_add_u64 v[12:13], v[8:9], 2, s[10:11]
	s_clause 0x1
	scratch_store_b32 off, v55, off
	scratch_store_b96 off, v[4:6], off offset:4
	v_add_nc_u64_e32 v[12:13], v[12:13], v[54:55]
	s_delay_alu instid0(VALU_DEP_1) | instskip(SKIP_1) | instid1(VALU_DEP_1)
	v_dual_cndmask_b32 v13, v11, v13, s5 :: v_dual_cndmask_b32 v12, v10, v12, s5
	v_add_nc_u32_e32 v8, s2, v8
	v_ashrrev_i32_e32 v9, 31, v8
	s_wait_loadcnt_dscnt 0x0
	ds_store_b128 v7, v[0:3] offset:6912
	flat_load_b128 v[0:3], v[12:13]
	s_wait_xcnt 0x0
	v_lshl_add_u64 v[12:13], v[8:9], 2, s[10:11]
	s_clause 0x1
	scratch_store_b32 off, v55, off
	scratch_store_b96 off, v[4:6], off offset:4
	v_add_nc_u32_e32 v8, s2, v8
	v_add_nc_u64_e32 v[12:13], v[12:13], v[54:55]
	s_delay_alu instid0(VALU_DEP_1) | instskip(NEXT) | instid1(VALU_DEP_2)
	v_dual_ashrrev_i32 v9, 31, v8 :: v_dual_cndmask_b32 v13, v11, v13, s4
	v_cndmask_b32_e64 v12, v10, v12, s4
	s_wait_loadcnt_dscnt 0x0
	ds_store_b128 v7, v[0:3] offset:9216
	flat_load_b128 v[0:3], v[12:13]
	s_wait_xcnt 0x0
	v_lshl_add_u64 v[12:13], v[8:9], 2, s[10:11]
	v_add_nc_u32_e32 v8, s2, v8
	v_cmp_gt_i32_e64 s2, s15, v64
	s_clause 0x1
	scratch_store_b32 off, v55, off
	scratch_store_b96 off, v[4:6], off offset:4
	v_add_nc_u64_e32 v[12:13], v[12:13], v[54:55]
	v_ashrrev_i32_e32 v9, 31, v8
	s_delay_alu instid0(VALU_DEP_1) | instskip(NEXT) | instid1(VALU_DEP_3)
	v_lshl_add_u64 v[8:9], v[8:9], 2, s[10:11]
	v_cndmask_b32_e64 v13, v11, v13, s3
	v_cmp_gt_i32_e64 s10, s15, v44
	s_delay_alu instid0(VALU_DEP_3) | instskip(NEXT) | instid1(VALU_DEP_1)
	v_add_nc_u64_e32 v[8:9], v[8:9], v[54:55]
	v_dual_cndmask_b32 v12, v10, v12, s3 :: v_dual_cndmask_b32 v9, v11, v9, s2
	s_delay_alu instid0(VALU_DEP_2)
	v_cndmask_b32_e64 v8, v10, v8, s2
	s_wait_loadcnt_dscnt 0x0
	ds_store_b128 v7, v[0:3] offset:11520
	flat_load_b128 v[0:3], v[12:13]
	s_clause 0x1
	scratch_store_b32 off, v55, off
	scratch_store_b96 off, v[4:6], off offset:4
	s_wait_xcnt 0x0
	v_dual_mov_b32 v4, v55 :: v_dual_mov_b32 v5, v55
	s_wait_loadcnt_dscnt 0x0
	ds_store_b128 v7, v[0:3] offset:13824
	flat_load_b128 v[0:3], v[8:9]
	s_wait_loadcnt_dscnt 0x0
	ds_store_b128 v7, v[0:3] offset:16128
	s_wait_storecnt_dscnt 0x0
	s_barrier_signal -1
	s_barrier_wait -1
	s_wait_xcnt 0x0
	ds_load_b128 v[6:9], v79
	ds_load_b128 v[36:39], v45 offset:22528
	ds_load_b128 v[32:35], v45 offset:22656
	;; [unrolled: 1-line block ×3, first 2 shown]
	v_mov_b32_e32 v0, v55
	ds_load_b128 v[28:31], v45 offset:22912
	ds_load_b128 v[10:13], v79 offset:4608
	;; [unrolled: 1-line block ×4, first 2 shown]
	s_wait_dscnt 0x6
	;;#ASMSTART
	v_dot2_f32_f16 v0, v6, v36, v0
	;;#ASMEND
	;;#ASMSTART
	v_dot2_f32_f16 v0, v7, v37, v0
	;;#ASMEND
	v_mov_b32_e32 v1, v55
	;;#ASMSTART
	v_dot2_f32_f16 v0, v8, v38, v0
	;;#ASMEND
	;;#ASMSTART
	v_dot2_f32_f16 v0, v9, v39, v0
	;;#ASMEND
	s_wait_dscnt 0x5
	;;#ASMSTART
	v_dot2_f32_f16 v1, v6, v32, v1
	;;#ASMEND
	;;#ASMSTART
	v_dot2_f32_f16 v1, v7, v33, v1
	;;#ASMEND
	v_mov_b32_e32 v2, v55
	;;#ASMSTART
	v_dot2_f32_f16 v1, v8, v34, v1
	;;#ASMEND
	;;#ASMSTART
	v_dot2_f32_f16 v1, v9, v35, v1
	;;#ASMEND
	;; [unrolled: 14-line block ×3, first 2 shown]
	s_wait_dscnt 0x3
	;;#ASMSTART
	v_dot2_f32_f16 v3, v6, v28, v3
	;;#ASMEND
	;;#ASMSTART
	v_dot2_f32_f16 v3, v7, v29, v3
	;;#ASMEND
	;; [unrolled: 3-line block ×4, first 2 shown]
	s_wait_dscnt 0x2
	;;#ASMSTART
	v_dot2_f32_f16 v4, v10, v36, v4
	;;#ASMEND
	;;#ASMSTART
	v_dot2_f32_f16 v4, v11, v37, v4
	;;#ASMEND
	;; [unrolled: 3-line block ×4, first 2 shown]
	v_mov_b32_e32 v6, v55
	;;#ASMSTART
	v_dot2_f32_f16 v5, v10, v32, v5
	;;#ASMEND
	;;#ASMSTART
	v_dot2_f32_f16 v5, v11, v33, v5
	;;#ASMEND
	;; [unrolled: 3-line block ×7, first 2 shown]
	v_dual_mov_b32 v7, v55 :: v_dual_mov_b32 v8, v55
	;;#ASMSTART
	v_dot2_f32_f16 v6, v13, v27, v6
	;;#ASMEND
	;;#ASMSTART
	v_dot2_f32_f16 v7, v10, v28, v7
	;;#ASMEND
	;; [unrolled: 3-line block ×5, first 2 shown]
	s_wait_dscnt 0x1
	;;#ASMSTART
	v_dot2_f32_f16 v8, v40, v36, v8
	;;#ASMEND
	;;#ASMSTART
	v_dot2_f32_f16 v8, v41, v37, v8
	;;#ASMEND
	;; [unrolled: 3-line block ×3, first 2 shown]
	v_dual_mov_b32 v9, v55 :: v_dual_mov_b32 v10, v55
	;;#ASMSTART
	v_dot2_f32_f16 v8, v43, v39, v8
	;;#ASMEND
	;;#ASMSTART
	v_dot2_f32_f16 v9, v40, v32, v9
	;;#ASMEND
	;;#ASMSTART
	v_dot2_f32_f16 v9, v41, v33, v9
	;;#ASMEND
	;;#ASMSTART
	v_dot2_f32_f16 v9, v42, v34, v9
	;;#ASMEND
	;;#ASMSTART
	v_dot2_f32_f16 v9, v43, v35, v9
	;;#ASMEND
	;;#ASMSTART
	v_dot2_f32_f16 v10, v40, v24, v10
	;;#ASMEND
	;;#ASMSTART
	v_dot2_f32_f16 v10, v41, v25, v10
	;;#ASMEND
	;;#ASMSTART
	v_dot2_f32_f16 v10, v42, v26, v10
	;;#ASMEND
	v_dual_mov_b32 v11, v55 :: v_dual_mov_b32 v12, v55
	;;#ASMSTART
	v_dot2_f32_f16 v10, v43, v27, v10
	;;#ASMEND
	;;#ASMSTART
	v_dot2_f32_f16 v11, v40, v28, v11
	;;#ASMEND
	;; [unrolled: 3-line block ×5, first 2 shown]
	s_wait_dscnt 0x0
	;;#ASMSTART
	v_dot2_f32_f16 v12, v84, v36, v12
	;;#ASMEND
	;;#ASMSTART
	v_dot2_f32_f16 v12, v85, v37, v12
	;;#ASMEND
	;; [unrolled: 3-line block ×3, first 2 shown]
	v_mov_b32_e32 v13, v55
	;;#ASMSTART
	v_dot2_f32_f16 v12, v87, v39, v12
	;;#ASMEND
	;;#ASMSTART
	v_dot2_f32_f16 v13, v84, v32, v13
	;;#ASMEND
	;; [unrolled: 3-line block ×13, first 2 shown]
	ds_load_b128 v[84:87], v79 offset:16
	ds_load_b128 v[40:43], v45 offset:22544
	;; [unrolled: 1-line block ×8, first 2 shown]
	s_wait_dscnt 0x6
	;;#ASMSTART
	v_dot2_f32_f16 v0, v84, v40, v0
	;;#ASMEND
	;;#ASMSTART
	v_dot2_f32_f16 v0, v85, v41, v0
	;;#ASMEND
	;;#ASMSTART
	v_dot2_f32_f16 v0, v86, v42, v0
	;;#ASMEND
	;;#ASMSTART
	v_dot2_f32_f16 v0, v87, v43, v0
	;;#ASMEND
	s_wait_dscnt 0x5
	;;#ASMSTART
	v_dot2_f32_f16 v1, v84, v36, v1
	;;#ASMEND
	;;#ASMSTART
	v_dot2_f32_f16 v1, v85, v37, v1
	;;#ASMEND
	;;#ASMSTART
	v_dot2_f32_f16 v1, v86, v38, v1
	;;#ASMEND
	;;#ASMSTART
	v_dot2_f32_f16 v1, v87, v39, v1
	;;#ASMEND
	s_wait_dscnt 0x4
	;;#ASMSTART
	v_dot2_f32_f16 v2, v84, v32, v2
	;;#ASMEND
	;;#ASMSTART
	v_dot2_f32_f16 v2, v85, v33, v2
	;;#ASMEND
	;;#ASMSTART
	v_dot2_f32_f16 v2, v86, v34, v2
	;;#ASMEND
	;;#ASMSTART
	v_dot2_f32_f16 v2, v87, v35, v2
	;;#ASMEND
	s_wait_dscnt 0x3
	;;#ASMSTART
	v_dot2_f32_f16 v3, v84, v24, v3
	;;#ASMEND
	;;#ASMSTART
	v_dot2_f32_f16 v3, v85, v25, v3
	;;#ASMEND
	;;#ASMSTART
	v_dot2_f32_f16 v3, v86, v26, v3
	;;#ASMEND
	;;#ASMSTART
	v_dot2_f32_f16 v3, v87, v27, v3
	;;#ASMEND
	s_wait_dscnt 0x2
	;;#ASMSTART
	v_dot2_f32_f16 v4, v92, v40, v4
	;;#ASMEND
	;;#ASMSTART
	v_dot2_f32_f16 v4, v93, v41, v4
	;;#ASMEND
	;;#ASMSTART
	v_dot2_f32_f16 v4, v94, v42, v4
	;;#ASMEND
	;;#ASMSTART
	v_dot2_f32_f16 v4, v95, v43, v4
	;;#ASMEND
	;;#ASMSTART
	v_dot2_f32_f16 v5, v92, v36, v5
	;;#ASMEND
	;;#ASMSTART
	v_dot2_f32_f16 v5, v93, v37, v5
	;;#ASMEND
	;;#ASMSTART
	v_dot2_f32_f16 v5, v94, v38, v5
	;;#ASMEND
	;;#ASMSTART
	v_dot2_f32_f16 v5, v95, v39, v5
	;;#ASMEND
	;;#ASMSTART
	v_dot2_f32_f16 v6, v92, v32, v6
	;;#ASMEND
	;;#ASMSTART
	v_dot2_f32_f16 v6, v93, v33, v6
	;;#ASMEND
	;;#ASMSTART
	v_dot2_f32_f16 v6, v94, v34, v6
	;;#ASMEND
	;;#ASMSTART
	v_dot2_f32_f16 v6, v95, v35, v6
	;;#ASMEND
	;;#ASMSTART
	v_dot2_f32_f16 v7, v92, v24, v7
	;;#ASMEND
	;;#ASMSTART
	v_dot2_f32_f16 v7, v93, v25, v7
	;;#ASMEND
	;;#ASMSTART
	v_dot2_f32_f16 v7, v94, v26, v7
	;;#ASMEND
	;;#ASMSTART
	v_dot2_f32_f16 v7, v95, v27, v7
	;;#ASMEND
	s_wait_dscnt 0x1
	;;#ASMSTART
	v_dot2_f32_f16 v8, v96, v40, v8
	;;#ASMEND
	;;#ASMSTART
	v_dot2_f32_f16 v8, v97, v41, v8
	;;#ASMEND
	;; [unrolled: 3-line block ×16, first 2 shown]
	s_wait_dscnt 0x0
	;;#ASMSTART
	v_dot2_f32_f16 v12, v28, v40, v12
	;;#ASMEND
	;;#ASMSTART
	v_dot2_f32_f16 v12, v29, v41, v12
	;;#ASMEND
	;; [unrolled: 3-line block ×16, first 2 shown]
	ds_load_b128 v[84:87], v79 offset:32
	ds_load_b128 v[40:43], v45 offset:22560
	;; [unrolled: 1-line block ×8, first 2 shown]
	s_wait_dscnt 0x6
	;;#ASMSTART
	v_dot2_f32_f16 v0, v84, v40, v0
	;;#ASMEND
	;;#ASMSTART
	v_dot2_f32_f16 v0, v85, v41, v0
	;;#ASMEND
	;;#ASMSTART
	v_dot2_f32_f16 v0, v86, v42, v0
	;;#ASMEND
	;;#ASMSTART
	v_dot2_f32_f16 v0, v87, v43, v0
	;;#ASMEND
	s_wait_dscnt 0x5
	;;#ASMSTART
	v_dot2_f32_f16 v1, v84, v36, v1
	;;#ASMEND
	;;#ASMSTART
	v_dot2_f32_f16 v1, v85, v37, v1
	;;#ASMEND
	;;#ASMSTART
	v_dot2_f32_f16 v1, v86, v38, v1
	;;#ASMEND
	;;#ASMSTART
	v_dot2_f32_f16 v1, v87, v39, v1
	;;#ASMEND
	;; [unrolled: 13-line block ×5, first 2 shown]
	;;#ASMSTART
	v_dot2_f32_f16 v5, v92, v36, v5
	;;#ASMEND
	;;#ASMSTART
	v_dot2_f32_f16 v5, v93, v37, v5
	;;#ASMEND
	;; [unrolled: 3-line block ×12, first 2 shown]
	s_wait_dscnt 0x1
	;;#ASMSTART
	v_dot2_f32_f16 v8, v96, v40, v8
	;;#ASMEND
	;;#ASMSTART
	v_dot2_f32_f16 v8, v97, v41, v8
	;;#ASMEND
	;; [unrolled: 3-line block ×16, first 2 shown]
	s_wait_dscnt 0x0
	;;#ASMSTART
	v_dot2_f32_f16 v12, v28, v40, v12
	;;#ASMEND
	;;#ASMSTART
	v_dot2_f32_f16 v12, v29, v41, v12
	;;#ASMEND
	;; [unrolled: 3-line block ×16, first 2 shown]
	ds_load_b128 v[84:87], v79 offset:48
	ds_load_b128 v[40:43], v45 offset:22576
	;; [unrolled: 1-line block ×8, first 2 shown]
	s_wait_dscnt 0x6
	;;#ASMSTART
	v_dot2_f32_f16 v0, v84, v40, v0
	;;#ASMEND
	;;#ASMSTART
	v_dot2_f32_f16 v0, v85, v41, v0
	;;#ASMEND
	;;#ASMSTART
	v_dot2_f32_f16 v0, v86, v42, v0
	;;#ASMEND
	;;#ASMSTART
	v_dot2_f32_f16 v0, v87, v43, v0
	;;#ASMEND
	s_wait_dscnt 0x5
	;;#ASMSTART
	v_dot2_f32_f16 v1, v84, v36, v1
	;;#ASMEND
	;;#ASMSTART
	v_dot2_f32_f16 v1, v85, v37, v1
	;;#ASMEND
	;;#ASMSTART
	v_dot2_f32_f16 v1, v86, v38, v1
	;;#ASMEND
	;;#ASMSTART
	v_dot2_f32_f16 v1, v87, v39, v1
	;;#ASMEND
	;; [unrolled: 13-line block ×5, first 2 shown]
	;;#ASMSTART
	v_dot2_f32_f16 v5, v92, v36, v5
	;;#ASMEND
	;;#ASMSTART
	v_dot2_f32_f16 v5, v93, v37, v5
	;;#ASMEND
	;; [unrolled: 3-line block ×12, first 2 shown]
	s_wait_dscnt 0x1
	;;#ASMSTART
	v_dot2_f32_f16 v8, v96, v40, v8
	;;#ASMEND
	;;#ASMSTART
	v_dot2_f32_f16 v8, v97, v41, v8
	;;#ASMEND
	;; [unrolled: 3-line block ×16, first 2 shown]
	s_wait_dscnt 0x0
	;;#ASMSTART
	v_dot2_f32_f16 v12, v28, v40, v12
	;;#ASMEND
	;;#ASMSTART
	v_dot2_f32_f16 v12, v29, v41, v12
	;;#ASMEND
	;; [unrolled: 3-line block ×16, first 2 shown]
	ds_load_b128 v[84:87], v79 offset:64
	ds_load_b128 v[40:43], v45 offset:22592
	;; [unrolled: 1-line block ×8, first 2 shown]
	s_wait_dscnt 0x6
	;;#ASMSTART
	v_dot2_f32_f16 v0, v84, v40, v0
	;;#ASMEND
	;;#ASMSTART
	v_dot2_f32_f16 v0, v85, v41, v0
	;;#ASMEND
	;;#ASMSTART
	v_dot2_f32_f16 v0, v86, v42, v0
	;;#ASMEND
	;;#ASMSTART
	v_dot2_f32_f16 v0, v87, v43, v0
	;;#ASMEND
	s_wait_dscnt 0x5
	;;#ASMSTART
	v_dot2_f32_f16 v1, v84, v36, v1
	;;#ASMEND
	;;#ASMSTART
	v_dot2_f32_f16 v1, v85, v37, v1
	;;#ASMEND
	;;#ASMSTART
	v_dot2_f32_f16 v1, v86, v38, v1
	;;#ASMEND
	;;#ASMSTART
	v_dot2_f32_f16 v1, v87, v39, v1
	;;#ASMEND
	;; [unrolled: 13-line block ×5, first 2 shown]
	;;#ASMSTART
	v_dot2_f32_f16 v5, v92, v36, v5
	;;#ASMEND
	;;#ASMSTART
	v_dot2_f32_f16 v5, v93, v37, v5
	;;#ASMEND
	;;#ASMSTART
	v_dot2_f32_f16 v5, v94, v38, v5
	;;#ASMEND
	;;#ASMSTART
	v_dot2_f32_f16 v5, v95, v39, v5
	;;#ASMEND
	;;#ASMSTART
	v_dot2_f32_f16 v6, v92, v32, v6
	;;#ASMEND
	;;#ASMSTART
	v_dot2_f32_f16 v6, v93, v33, v6
	;;#ASMEND
	;;#ASMSTART
	v_dot2_f32_f16 v6, v94, v34, v6
	;;#ASMEND
	;;#ASMSTART
	v_dot2_f32_f16 v6, v95, v35, v6
	;;#ASMEND
	;;#ASMSTART
	v_dot2_f32_f16 v7, v92, v24, v7
	;;#ASMEND
	;;#ASMSTART
	v_dot2_f32_f16 v7, v93, v25, v7
	;;#ASMEND
	;;#ASMSTART
	v_dot2_f32_f16 v7, v94, v26, v7
	;;#ASMEND
	;;#ASMSTART
	v_dot2_f32_f16 v7, v95, v27, v7
	;;#ASMEND
	s_wait_dscnt 0x1
	;;#ASMSTART
	v_dot2_f32_f16 v8, v96, v40, v8
	;;#ASMEND
	;;#ASMSTART
	v_dot2_f32_f16 v8, v97, v41, v8
	;;#ASMEND
	;; [unrolled: 3-line block ×16, first 2 shown]
	s_wait_dscnt 0x0
	;;#ASMSTART
	v_dot2_f32_f16 v12, v28, v40, v12
	;;#ASMEND
	;;#ASMSTART
	v_dot2_f32_f16 v12, v29, v41, v12
	;;#ASMEND
	;; [unrolled: 3-line block ×16, first 2 shown]
	ds_load_b128 v[84:87], v79 offset:80
	ds_load_b128 v[40:43], v45 offset:22608
	;; [unrolled: 1-line block ×8, first 2 shown]
	s_wait_dscnt 0x6
	;;#ASMSTART
	v_dot2_f32_f16 v0, v84, v40, v0
	;;#ASMEND
	;;#ASMSTART
	v_dot2_f32_f16 v0, v85, v41, v0
	;;#ASMEND
	;;#ASMSTART
	v_dot2_f32_f16 v0, v86, v42, v0
	;;#ASMEND
	;;#ASMSTART
	v_dot2_f32_f16 v0, v87, v43, v0
	;;#ASMEND
	s_wait_dscnt 0x5
	;;#ASMSTART
	v_dot2_f32_f16 v1, v84, v36, v1
	;;#ASMEND
	;;#ASMSTART
	v_dot2_f32_f16 v1, v85, v37, v1
	;;#ASMEND
	;;#ASMSTART
	v_dot2_f32_f16 v1, v86, v38, v1
	;;#ASMEND
	;;#ASMSTART
	v_dot2_f32_f16 v1, v87, v39, v1
	;;#ASMEND
	;; [unrolled: 13-line block ×5, first 2 shown]
	;;#ASMSTART
	v_dot2_f32_f16 v5, v92, v36, v5
	;;#ASMEND
	;;#ASMSTART
	v_dot2_f32_f16 v5, v93, v37, v5
	;;#ASMEND
	;; [unrolled: 3-line block ×12, first 2 shown]
	s_wait_dscnt 0x1
	;;#ASMSTART
	v_dot2_f32_f16 v8, v96, v40, v8
	;;#ASMEND
	;;#ASMSTART
	v_dot2_f32_f16 v8, v97, v41, v8
	;;#ASMEND
	;; [unrolled: 3-line block ×16, first 2 shown]
	s_wait_dscnt 0x0
	;;#ASMSTART
	v_dot2_f32_f16 v12, v28, v40, v12
	;;#ASMEND
	;;#ASMSTART
	v_dot2_f32_f16 v12, v29, v41, v12
	;;#ASMEND
	;; [unrolled: 3-line block ×16, first 2 shown]
	ds_load_b128 v[84:87], v79 offset:96
	ds_load_b128 v[40:43], v45 offset:22624
	;; [unrolled: 1-line block ×8, first 2 shown]
	s_wait_dscnt 0x6
	;;#ASMSTART
	v_dot2_f32_f16 v0, v84, v40, v0
	;;#ASMEND
	;;#ASMSTART
	v_dot2_f32_f16 v0, v85, v41, v0
	;;#ASMEND
	;;#ASMSTART
	v_dot2_f32_f16 v0, v86, v42, v0
	;;#ASMEND
	;;#ASMSTART
	v_dot2_f32_f16 v0, v87, v43, v0
	;;#ASMEND
	s_wait_dscnt 0x5
	;;#ASMSTART
	v_dot2_f32_f16 v1, v84, v36, v1
	;;#ASMEND
	;;#ASMSTART
	v_dot2_f32_f16 v1, v85, v37, v1
	;;#ASMEND
	;;#ASMSTART
	v_dot2_f32_f16 v1, v86, v38, v1
	;;#ASMEND
	;;#ASMSTART
	v_dot2_f32_f16 v1, v87, v39, v1
	;;#ASMEND
	;; [unrolled: 13-line block ×5, first 2 shown]
	;;#ASMSTART
	v_dot2_f32_f16 v5, v92, v36, v5
	;;#ASMEND
	;;#ASMSTART
	v_dot2_f32_f16 v5, v93, v37, v5
	;;#ASMEND
	;; [unrolled: 3-line block ×12, first 2 shown]
	s_wait_dscnt 0x1
	;;#ASMSTART
	v_dot2_f32_f16 v8, v96, v40, v8
	;;#ASMEND
	;;#ASMSTART
	v_dot2_f32_f16 v8, v97, v41, v8
	;;#ASMEND
	;; [unrolled: 3-line block ×16, first 2 shown]
	s_wait_dscnt 0x0
	;;#ASMSTART
	v_dot2_f32_f16 v12, v28, v40, v12
	;;#ASMEND
	;;#ASMSTART
	v_dot2_f32_f16 v12, v29, v41, v12
	;;#ASMEND
	;; [unrolled: 3-line block ×16, first 2 shown]
	ds_load_b128 v[40:43], v45 offset:22640
	ds_load_b128 v[36:39], v45 offset:22768
	;; [unrolled: 1-line block ×8, first 2 shown]
	s_wait_dscnt 0x3
	;;#ASMSTART
	v_dot2_f32_f16 v0, v84, v40, v0
	;;#ASMEND
	;;#ASMSTART
	v_dot2_f32_f16 v0, v85, v41, v0
	;;#ASMEND
	;;#ASMSTART
	v_dot2_f32_f16 v0, v86, v42, v0
	;;#ASMEND
	;;#ASMSTART
	v_dot2_f32_f16 v0, v87, v43, v0
	;;#ASMEND
	;;#ASMSTART
	v_dot2_f32_f16 v1, v84, v36, v1
	;;#ASMEND
	;;#ASMSTART
	v_dot2_f32_f16 v1, v85, v37, v1
	;;#ASMEND
	;;#ASMSTART
	v_dot2_f32_f16 v1, v86, v38, v1
	;;#ASMEND
	;;#ASMSTART
	v_dot2_f32_f16 v1, v87, v39, v1
	;;#ASMEND
	;;#ASMSTART
	v_dot2_f32_f16 v2, v84, v28, v2
	;;#ASMEND
	;;#ASMSTART
	v_dot2_f32_f16 v2, v85, v29, v2
	;;#ASMEND
	;;#ASMSTART
	v_dot2_f32_f16 v2, v86, v30, v2
	;;#ASMEND
	;;#ASMSTART
	v_dot2_f32_f16 v2, v87, v31, v2
	;;#ASMEND
	;;#ASMSTART
	v_dot2_f32_f16 v3, v84, v24, v3
	;;#ASMEND
	;;#ASMSTART
	v_dot2_f32_f16 v3, v85, v25, v3
	;;#ASMEND
	;;#ASMSTART
	v_dot2_f32_f16 v3, v86, v26, v3
	;;#ASMEND
	;;#ASMSTART
	v_dot2_f32_f16 v3, v87, v27, v3
	;;#ASMEND
	s_wait_dscnt 0x2
	;;#ASMSTART
	v_dot2_f32_f16 v4, v92, v40, v4
	;;#ASMEND
	;;#ASMSTART
	v_dot2_f32_f16 v4, v93, v41, v4
	;;#ASMEND
	;;#ASMSTART
	v_dot2_f32_f16 v4, v94, v42, v4
	;;#ASMEND
	;;#ASMSTART
	v_dot2_f32_f16 v4, v95, v43, v4
	;;#ASMEND
	;;#ASMSTART
	v_dot2_f32_f16 v5, v92, v36, v5
	;;#ASMEND
	;;#ASMSTART
	v_dot2_f32_f16 v5, v93, v37, v5
	;;#ASMEND
	;;#ASMSTART
	v_dot2_f32_f16 v5, v94, v38, v5
	;;#ASMEND
	;;#ASMSTART
	v_dot2_f32_f16 v5, v95, v39, v5
	;;#ASMEND
	;;#ASMSTART
	v_dot2_f32_f16 v6, v92, v28, v6
	;;#ASMEND
	;;#ASMSTART
	v_dot2_f32_f16 v6, v93, v29, v6
	;;#ASMEND
	;;#ASMSTART
	v_dot2_f32_f16 v6, v94, v30, v6
	;;#ASMEND
	;;#ASMSTART
	v_dot2_f32_f16 v6, v95, v31, v6
	;;#ASMEND
	;;#ASMSTART
	v_dot2_f32_f16 v7, v92, v24, v7
	;;#ASMEND
	;;#ASMSTART
	v_dot2_f32_f16 v7, v93, v25, v7
	;;#ASMEND
	;;#ASMSTART
	v_dot2_f32_f16 v7, v94, v26, v7
	;;#ASMEND
	;;#ASMSTART
	v_dot2_f32_f16 v7, v95, v27, v7
	;;#ASMEND
	;; [unrolled: 49-line block ×3, first 2 shown]
	s_wait_dscnt 0x0
	;;#ASMSTART
	v_dot2_f32_f16 v12, v32, v40, v12
	;;#ASMEND
	;;#ASMSTART
	v_dot2_f32_f16 v12, v33, v41, v12
	;;#ASMEND
	;; [unrolled: 3-line block ×13, first 2 shown]
	v_mad_u32 v28, v52, s39, s18
	;;#ASMSTART
	v_dot2_f32_f16 v15, v33, v25, v15
	;;#ASMEND
	;;#ASMSTART
	v_dot2_f32_f16 v15, v34, v26, v15
	;;#ASMEND
	;; [unrolled: 3-line block ×3, first 2 shown]
	v_mov_b64_e32 v[26:27], v[22:23]
	v_mov_b64_e32 v[24:25], v[20:21]
	v_cndmask_b32_e64 v39, 0, 1, s12
	s_and_saveexec_b32 s11, s10
	s_cbranch_execz .LBB59_52
; %bb.49:
	s_and_not1_b32 vcc_lo, exec_lo, s12
	s_cbranch_vccnz .LBB59_51
; %bb.50:
	v_add_nc_u32_e32 v24, v28, v44
	global_load_u16 v24, v24, s[28:29] scale_offset
	s_wait_loadcnt 0x0
	v_cvt_f32_f16_e32 v24, v24
	s_delay_alu instid0(VALU_DEP_1)
	v_mul_f32_e32 v55, v78, v24
.LBB59_51:
	v_max_num_f32_e32 v25, v20, v20
	s_delay_alu instid0(VALU_DEP_2) | instskip(NEXT) | instid1(VALU_DEP_1)
	v_add_f32_e32 v0, v0, v55
	v_add_f32_e32 v24, 0x40051340, v0
	s_delay_alu instid0(VALU_DEP_1) | instskip(SKIP_2) | instid1(VALU_DEP_3)
	v_max_num_f32_e32 v29, v25, v24
	v_mov_b64_e32 v[26:27], v[22:23]
	v_mov_b64_e32 v[24:25], v[20:21]
	v_mov_b32_e32 v24, v29
.LBB59_52:
	s_or_b32 exec_lo, exec_lo, s11
	v_add_nc_u32_e32 v36, 32, v44
	s_delay_alu instid0(VALU_DEP_1)
	v_cmp_gt_i32_e64 s11, s15, v36
	s_and_saveexec_b32 s12, s11
	s_cbranch_execz .LBB59_57
; %bb.53:
	v_cmp_ne_u32_e32 vcc_lo, 1, v39
	s_cbranch_vccnz .LBB59_55
; %bb.54:
	v_dual_ashrrev_i32 v29, 31, v28 :: v_dual_mov_b32 v45, 0
	s_delay_alu instid0(VALU_DEP_1) | instskip(NEXT) | instid1(VALU_DEP_1)
	v_add_nc_u64_e32 v[30:31], v[28:29], v[44:45]
	v_lshl_add_u64 v[30:31], v[30:31], 1, s[28:29]
	global_load_u16 v29, v[30:31], off offset:64
	s_wait_loadcnt 0x0
	v_cvt_f32_f16_e32 v29, v29
	s_delay_alu instid0(VALU_DEP_1)
	v_mul_f32_e32 v29, v78, v29
	s_branch .LBB59_56
.LBB59_55:
	v_mov_b32_e32 v29, 0
.LBB59_56:
	s_delay_alu instid0(VALU_DEP_1) | instskip(SKIP_1) | instid1(VALU_DEP_2)
	v_add_f32_e32 v4, v4, v29
	v_max_num_f32_e32 v24, v24, v24
	v_add_f32_e32 v29, 0x40051340, v4
	s_delay_alu instid0(VALU_DEP_1)
	v_max_num_f32_e32 v24, v24, v29
.LBB59_57:
	s_or_b32 exec_lo, exec_lo, s12
	v_add_nc_u32_e32 v37, 64, v44
	s_delay_alu instid0(VALU_DEP_1)
	v_cmp_gt_i32_e64 s12, s15, v37
	s_and_saveexec_b32 s13, s12
	s_cbranch_execz .LBB59_62
; %bb.58:
	v_cmp_ne_u32_e32 vcc_lo, 1, v39
	s_cbranch_vccnz .LBB59_60
; %bb.59:
	v_dual_ashrrev_i32 v29, 31, v28 :: v_dual_mov_b32 v45, 0
	s_delay_alu instid0(VALU_DEP_1) | instskip(NEXT) | instid1(VALU_DEP_1)
	v_add_nc_u64_e32 v[30:31], v[28:29], v[44:45]
	v_lshl_add_u64 v[30:31], v[30:31], 1, s[28:29]
	global_load_u16 v29, v[30:31], off offset:128
	s_wait_loadcnt 0x0
	v_cvt_f32_f16_e32 v29, v29
	s_delay_alu instid0(VALU_DEP_1)
	v_mul_f32_e32 v29, v78, v29
	s_branch .LBB59_61
.LBB59_60:
	v_mov_b32_e32 v29, 0
.LBB59_61:
	s_delay_alu instid0(VALU_DEP_1) | instskip(SKIP_1) | instid1(VALU_DEP_2)
	v_add_f32_e32 v8, v8, v29
	v_max_num_f32_e32 v24, v24, v24
	v_add_f32_e32 v29, 0x40051340, v8
	s_delay_alu instid0(VALU_DEP_1)
	v_max_num_f32_e32 v24, v24, v29
.LBB59_62:
	;; [unrolled: 30-line block ×3, first 2 shown]
	s_or_b32 exec_lo, exec_lo, s35
	v_xor_b32_e32 v35, 16, v53
	v_xor_b32_e32 v32, 8, v53
	;; [unrolled: 1-line block ×3, first 2 shown]
	v_dual_mov_b32 v51, 0 :: v_dual_bitop2_b32 v30, 2, v53 bitop3:0x14
	s_delay_alu instid0(VALU_DEP_4) | instskip(SKIP_2) | instid1(VALU_DEP_2)
	v_cmp_gt_i32_e32 vcc_lo, 32, v35
	v_cndmask_b32_e32 v28, v53, v35, vcc_lo
	v_cmp_gt_i32_e32 vcc_lo, 32, v32
	v_lshlrev_b32_e32 v40, 2, v28
	v_cndmask_b32_e32 v29, v53, v32, vcc_lo
	v_cmp_gt_i32_e32 vcc_lo, 32, v31
	ds_bpermute_b32 v28, v40, v24
	v_dual_max_num_f32 v24, v24, v24 :: v_dual_lshlrev_b32 v41, 2, v29
	v_cndmask_b32_e32 v29, v53, v31, vcc_lo
	v_cmp_gt_i32_e32 vcc_lo, 32, v30
	s_wait_dscnt 0x0
	s_delay_alu instid0(VALU_DEP_2) | instskip(NEXT) | instid1(VALU_DEP_1)
	v_dual_lshlrev_b32 v42, 2, v29 :: v_dual_max_num_f32 v28, v28, v28
	v_max_num_f32_e32 v24, v24, v28
	ds_bpermute_b32 v28, v41, v24
	s_wait_dscnt 0x0
	v_max_num_f32_e32 v28, v28, v28
	s_delay_alu instid0(VALU_DEP_1) | instskip(SKIP_3) | instid1(VALU_DEP_1)
	v_max_num_f32_e32 v24, v24, v28
	ds_bpermute_b32 v28, v42, v24
	s_wait_dscnt 0x0
	v_dual_cndmask_b32 v33, v53, v30 :: v_dual_max_num_f32 v34, v28, v28
	v_lshlrev_b32_e32 v43, 2, v33
	v_mul_u64_e32 v[28:29], s[36:37], v[50:51]
	s_delay_alu instid0(VALU_DEP_3) | instskip(SKIP_3) | instid1(VALU_DEP_1)
	v_max_num_f32_e32 v24, v24, v34
	ds_bpermute_b32 v28, v43, v24
	s_wait_dscnt 0x0
	v_dual_max_num_f32 v28, v28, v28 :: v_dual_bitop2_b32 v33, 1, v53 bitop3:0x14
	v_cmp_gt_i32_e32 vcc_lo, 32, v33
	s_delay_alu instid0(VALU_DEP_2) | instskip(NEXT) | instid1(VALU_DEP_1)
	v_dual_max_num_f32 v24, v24, v28 :: v_dual_cndmask_b32 v34, v53, v33, vcc_lo
	v_dual_add_nc_u32 v29, v50, v29 :: v_dual_lshlrev_b32 v52, 2, v34
	s_delay_alu instid0(VALU_DEP_1) | instskip(SKIP_4) | instid1(VALU_DEP_1)
	v_dual_lshrrev_b32 v28, s25, v29 :: v_dual_mov_b32 v34, 32
	ds_bpermute_b32 v29, v52, v24
	s_wait_dscnt 0x0
	v_max_num_f32_e32 v29, v29, v29
	v_mul_lo_u32 v28, v28, s26
	v_dual_max_num_f32 v24, v24, v29 :: v_dual_sub_nc_u32 v28, v50, v28
	s_delay_alu instid0(VALU_DEP_1)
	v_mad_u32 v28, v28, s39, s18
	s_and_saveexec_b32 s35, s10
	s_cbranch_execnz .LBB59_71
; %bb.68:
	s_or_b32 exec_lo, exec_lo, s35
	s_and_saveexec_b32 s35, s11
	s_cbranch_execnz .LBB59_74
.LBB59_69:
	s_or_b32 exec_lo, exec_lo, s35
	s_and_saveexec_b32 s35, s12
	s_cbranch_execnz .LBB59_78
.LBB59_70:
	s_or_b32 exec_lo, exec_lo, s35
	s_and_saveexec_b32 s35, s13
	s_cbranch_execnz .LBB59_82
	s_branch .LBB59_86
.LBB59_71:
	v_cmp_ne_u32_e32 vcc_lo, 1, v39
	s_cbranch_vccnz .LBB59_73
; %bb.72:
	s_delay_alu instid0(VALU_DEP_2) | instskip(SKIP_3) | instid1(VALU_DEP_1)
	v_add_nc_u32_e32 v29, v28, v44
	global_load_u16 v29, v29, s[28:29] scale_offset
	s_wait_loadcnt 0x0
	v_cvt_f32_f16_e32 v29, v29
	v_mul_f32_e32 v51, v78, v29
.LBB59_73:
	s_delay_alu instid0(VALU_DEP_1) | instskip(SKIP_1) | instid1(VALU_DEP_2)
	v_add_f32_e32 v1, v1, v51
	v_max_num_f32_e32 v25, v25, v25
	v_add_f32_e32 v29, 0x40051340, v1
	s_delay_alu instid0(VALU_DEP_1)
	v_max_num_f32_e32 v25, v25, v29
	s_or_b32 exec_lo, exec_lo, s35
	s_and_saveexec_b32 s35, s11
	s_cbranch_execz .LBB59_69
.LBB59_74:
	v_cmp_ne_u32_e32 vcc_lo, 1, v39
	s_cbranch_vccnz .LBB59_76
; %bb.75:
	s_delay_alu instid0(VALU_DEP_2) | instskip(NEXT) | instid1(VALU_DEP_1)
	v_dual_ashrrev_i32 v29, 31, v28 :: v_dual_mov_b32 v45, 0
	v_add_nc_u64_e32 v[50:51], v[28:29], v[44:45]
	s_delay_alu instid0(VALU_DEP_1) | instskip(SKIP_3) | instid1(VALU_DEP_1)
	v_lshl_add_u64 v[50:51], v[50:51], 1, s[28:29]
	global_load_u16 v29, v[50:51], off offset:64
	s_wait_loadcnt 0x0
	v_cvt_f32_f16_e32 v29, v29
	v_mul_f32_e32 v29, v78, v29
	s_branch .LBB59_77
.LBB59_76:
	v_mov_b32_e32 v29, 0
.LBB59_77:
	s_delay_alu instid0(VALU_DEP_1) | instskip(SKIP_1) | instid1(VALU_DEP_2)
	v_add_f32_e32 v5, v5, v29
	v_max_num_f32_e32 v25, v25, v25
	v_add_f32_e32 v29, 0x40051340, v5
	s_delay_alu instid0(VALU_DEP_1)
	v_max_num_f32_e32 v25, v25, v29
	s_or_b32 exec_lo, exec_lo, s35
	s_and_saveexec_b32 s35, s12
	s_cbranch_execz .LBB59_70
.LBB59_78:
	v_cmp_ne_u32_e32 vcc_lo, 1, v39
	s_cbranch_vccnz .LBB59_80
; %bb.79:
	v_dual_ashrrev_i32 v29, 31, v28 :: v_dual_mov_b32 v45, 0
	s_delay_alu instid0(VALU_DEP_1) | instskip(NEXT) | instid1(VALU_DEP_1)
	v_add_nc_u64_e32 v[50:51], v[28:29], v[44:45]
	v_lshl_add_u64 v[50:51], v[50:51], 1, s[28:29]
	global_load_u16 v29, v[50:51], off offset:128
	s_wait_loadcnt 0x0
	v_cvt_f32_f16_e32 v29, v29
	s_delay_alu instid0(VALU_DEP_1)
	v_mul_f32_e32 v29, v78, v29
	s_branch .LBB59_81
.LBB59_80:
	v_mov_b32_e32 v29, 0
.LBB59_81:
	s_delay_alu instid0(VALU_DEP_1) | instskip(SKIP_1) | instid1(VALU_DEP_2)
	v_add_f32_e32 v9, v9, v29
	v_max_num_f32_e32 v25, v25, v25
	v_add_f32_e32 v29, 0x40051340, v9
	s_delay_alu instid0(VALU_DEP_1)
	v_max_num_f32_e32 v25, v25, v29
	s_or_b32 exec_lo, exec_lo, s35
	s_and_saveexec_b32 s35, s13
	s_cbranch_execz .LBB59_86
.LBB59_82:
	v_cmp_ne_u32_e32 vcc_lo, 1, v39
	s_cbranch_vccnz .LBB59_84
; %bb.83:
	v_dual_ashrrev_i32 v29, 31, v28 :: v_dual_mov_b32 v45, 0
	s_delay_alu instid0(VALU_DEP_1) | instskip(NEXT) | instid1(VALU_DEP_1)
	v_add_nc_u64_e32 v[28:29], v[28:29], v[44:45]
	v_lshl_add_u64 v[28:29], v[28:29], 1, s[28:29]
	global_load_u16 v28, v[28:29], off offset:192
	s_wait_loadcnt 0x0
	v_cvt_f32_f16_e32 v28, v28
	s_delay_alu instid0(VALU_DEP_1)
	v_mul_f32_e32 v28, v78, v28
	s_branch .LBB59_85
.LBB59_84:
	v_mov_b32_e32 v28, 0
.LBB59_85:
	s_delay_alu instid0(VALU_DEP_1) | instskip(SKIP_1) | instid1(VALU_DEP_2)
	v_add_f32_e32 v13, v13, v28
	v_max_num_f32_e32 v25, v25, v25
	v_add_f32_e32 v28, 0x40051340, v13
	s_delay_alu instid0(VALU_DEP_1)
	v_max_num_f32_e32 v25, v25, v28
.LBB59_86:
	s_or_b32 exec_lo, exec_lo, s35
	ds_bpermute_b32 v28, v40, v25
	v_dual_max_num_f32 v25, v25, v25 :: v_dual_mov_b32 v49, 0
	s_wait_dscnt 0x0
	v_max_num_f32_e32 v28, v28, v28
	s_delay_alu instid0(VALU_DEP_1) | instskip(SKIP_3) | instid1(VALU_DEP_1)
	v_max_num_f32_e32 v25, v25, v28
	ds_bpermute_b32 v28, v41, v25
	s_wait_dscnt 0x0
	v_max_num_f32_e32 v28, v28, v28
	v_max_num_f32_e32 v25, v25, v28
	ds_bpermute_b32 v28, v42, v25
	s_wait_dscnt 0x0
	v_max_num_f32_e32 v45, v28, v28
	v_mul_u64_e32 v[28:29], s[36:37], v[48:49]
	s_delay_alu instid0(VALU_DEP_2) | instskip(SKIP_3) | instid1(VALU_DEP_1)
	v_max_num_f32_e32 v25, v25, v45
	ds_bpermute_b32 v28, v43, v25
	s_wait_dscnt 0x0
	v_max_num_f32_e32 v28, v28, v28
	v_dual_add_nc_u32 v29, v48, v29 :: v_dual_max_num_f32 v25, v25, v28
	s_delay_alu instid0(VALU_DEP_1) | instskip(SKIP_4) | instid1(VALU_DEP_1)
	v_lshrrev_b32_e32 v28, s25, v29
	ds_bpermute_b32 v29, v52, v25
	s_wait_dscnt 0x0
	v_max_num_f32_e32 v29, v29, v29
	v_mul_lo_u32 v28, v28, s26
	v_dual_max_num_f32 v25, v25, v29 :: v_dual_sub_nc_u32 v28, v48, v28
	s_delay_alu instid0(VALU_DEP_1)
	v_mad_u32 v28, v28, s39, s18
	s_and_saveexec_b32 s35, s10
	s_cbranch_execnz .LBB59_90
; %bb.87:
	s_or_b32 exec_lo, exec_lo, s35
	s_and_saveexec_b32 s35, s11
	s_cbranch_execnz .LBB59_93
.LBB59_88:
	s_or_b32 exec_lo, exec_lo, s35
	s_and_saveexec_b32 s35, s12
	s_cbranch_execnz .LBB59_97
.LBB59_89:
	s_or_b32 exec_lo, exec_lo, s35
	s_and_saveexec_b32 s35, s13
	s_cbranch_execnz .LBB59_101
	s_branch .LBB59_105
.LBB59_90:
	v_cmp_ne_u32_e32 vcc_lo, 1, v39
	s_cbranch_vccnz .LBB59_92
; %bb.91:
	s_delay_alu instid0(VALU_DEP_2) | instskip(SKIP_3) | instid1(VALU_DEP_1)
	v_add_nc_u32_e32 v29, v28, v44
	global_load_u16 v29, v29, s[28:29] scale_offset
	s_wait_loadcnt 0x0
	v_cvt_f32_f16_e32 v29, v29
	v_mul_f32_e32 v49, v78, v29
.LBB59_92:
	s_delay_alu instid0(VALU_DEP_1) | instskip(SKIP_1) | instid1(VALU_DEP_2)
	v_add_f32_e32 v2, v2, v49
	v_max_num_f32_e32 v26, v26, v26
	v_add_f32_e32 v29, 0x40051340, v2
	s_delay_alu instid0(VALU_DEP_1)
	v_max_num_f32_e32 v26, v26, v29
	s_or_b32 exec_lo, exec_lo, s35
	s_and_saveexec_b32 s35, s11
	s_cbranch_execz .LBB59_88
.LBB59_93:
	v_cmp_ne_u32_e32 vcc_lo, 1, v39
	s_cbranch_vccnz .LBB59_95
; %bb.94:
	s_delay_alu instid0(VALU_DEP_2) | instskip(NEXT) | instid1(VALU_DEP_1)
	v_dual_ashrrev_i32 v29, 31, v28 :: v_dual_mov_b32 v45, 0
	v_add_nc_u64_e32 v[48:49], v[28:29], v[44:45]
	s_delay_alu instid0(VALU_DEP_1) | instskip(SKIP_3) | instid1(VALU_DEP_1)
	v_lshl_add_u64 v[48:49], v[48:49], 1, s[28:29]
	global_load_u16 v29, v[48:49], off offset:64
	s_wait_loadcnt 0x0
	v_cvt_f32_f16_e32 v29, v29
	v_mul_f32_e32 v29, v78, v29
	s_branch .LBB59_96
.LBB59_95:
	v_mov_b32_e32 v29, 0
.LBB59_96:
	s_delay_alu instid0(VALU_DEP_1) | instskip(SKIP_1) | instid1(VALU_DEP_2)
	v_add_f32_e32 v6, v6, v29
	v_max_num_f32_e32 v26, v26, v26
	v_add_f32_e32 v29, 0x40051340, v6
	s_delay_alu instid0(VALU_DEP_1)
	v_max_num_f32_e32 v26, v26, v29
	s_or_b32 exec_lo, exec_lo, s35
	s_and_saveexec_b32 s35, s12
	s_cbranch_execz .LBB59_89
.LBB59_97:
	v_cmp_ne_u32_e32 vcc_lo, 1, v39
	s_cbranch_vccnz .LBB59_99
; %bb.98:
	v_dual_ashrrev_i32 v29, 31, v28 :: v_dual_mov_b32 v45, 0
	s_delay_alu instid0(VALU_DEP_1) | instskip(NEXT) | instid1(VALU_DEP_1)
	v_add_nc_u64_e32 v[48:49], v[28:29], v[44:45]
	v_lshl_add_u64 v[48:49], v[48:49], 1, s[28:29]
	global_load_u16 v29, v[48:49], off offset:128
	s_wait_loadcnt 0x0
	v_cvt_f32_f16_e32 v29, v29
	s_delay_alu instid0(VALU_DEP_1)
	v_mul_f32_e32 v29, v78, v29
	s_branch .LBB59_100
.LBB59_99:
	v_mov_b32_e32 v29, 0
.LBB59_100:
	s_delay_alu instid0(VALU_DEP_1) | instskip(SKIP_1) | instid1(VALU_DEP_2)
	v_add_f32_e32 v10, v10, v29
	v_max_num_f32_e32 v26, v26, v26
	v_add_f32_e32 v29, 0x40051340, v10
	s_delay_alu instid0(VALU_DEP_1)
	v_max_num_f32_e32 v26, v26, v29
	s_or_b32 exec_lo, exec_lo, s35
	s_and_saveexec_b32 s35, s13
	s_cbranch_execz .LBB59_105
.LBB59_101:
	v_cmp_ne_u32_e32 vcc_lo, 1, v39
	s_cbranch_vccnz .LBB59_103
; %bb.102:
	v_dual_ashrrev_i32 v29, 31, v28 :: v_dual_mov_b32 v45, 0
	s_delay_alu instid0(VALU_DEP_1) | instskip(NEXT) | instid1(VALU_DEP_1)
	v_add_nc_u64_e32 v[28:29], v[28:29], v[44:45]
	v_lshl_add_u64 v[28:29], v[28:29], 1, s[28:29]
	global_load_u16 v28, v[28:29], off offset:192
	s_wait_loadcnt 0x0
	v_cvt_f32_f16_e32 v28, v28
	s_delay_alu instid0(VALU_DEP_1)
	v_mul_f32_e32 v28, v78, v28
	s_branch .LBB59_104
.LBB59_103:
	v_mov_b32_e32 v28, 0
.LBB59_104:
	s_delay_alu instid0(VALU_DEP_1) | instskip(SKIP_1) | instid1(VALU_DEP_2)
	v_add_f32_e32 v14, v14, v28
	v_max_num_f32_e32 v26, v26, v26
	v_add_f32_e32 v28, 0x40051340, v14
	s_delay_alu instid0(VALU_DEP_1)
	v_max_num_f32_e32 v26, v26, v28
.LBB59_105:
	s_or_b32 exec_lo, exec_lo, s35
	ds_bpermute_b32 v28, v40, v26
	v_dual_max_num_f32 v26, v26, v26 :: v_dual_mov_b32 v47, 0
	s_wait_dscnt 0x0
	v_max_num_f32_e32 v28, v28, v28
	s_delay_alu instid0(VALU_DEP_1) | instskip(SKIP_3) | instid1(VALU_DEP_1)
	v_max_num_f32_e32 v26, v26, v28
	ds_bpermute_b32 v28, v41, v26
	s_wait_dscnt 0x0
	v_max_num_f32_e32 v28, v28, v28
	v_max_num_f32_e32 v26, v26, v28
	ds_bpermute_b32 v28, v42, v26
	s_wait_dscnt 0x0
	v_max_num_f32_e32 v45, v28, v28
	v_mul_u64_e32 v[28:29], s[36:37], v[46:47]
	s_delay_alu instid0(VALU_DEP_2) | instskip(SKIP_3) | instid1(VALU_DEP_1)
	v_max_num_f32_e32 v26, v26, v45
	ds_bpermute_b32 v28, v43, v26
	s_wait_dscnt 0x0
	v_dual_max_num_f32 v28, v28, v28 :: v_dual_add_nc_u32 v29, v46, v29
	v_dual_max_num_f32 v26, v26, v28 :: v_dual_lshrrev_b32 v28, s25, v29
	ds_bpermute_b32 v29, v52, v26
	v_mul_lo_u32 v28, v28, s26
	s_delay_alu instid0(VALU_DEP_1) | instskip(NEXT) | instid1(VALU_DEP_1)
	v_sub_nc_u32_e32 v28, v46, v28
	v_mad_u32 v28, v28, s39, s18
	s_wait_dscnt 0x0
	v_max_num_f32_e32 v29, v29, v29
	s_delay_alu instid0(VALU_DEP_1)
	v_max_num_f32_e32 v26, v26, v29
	s_and_saveexec_b32 s25, s10
	s_cbranch_execnz .LBB59_109
; %bb.106:
	s_or_b32 exec_lo, exec_lo, s25
	s_and_saveexec_b32 s10, s11
	s_cbranch_execnz .LBB59_112
.LBB59_107:
	s_or_b32 exec_lo, exec_lo, s10
	s_and_saveexec_b32 s10, s12
	s_cbranch_execnz .LBB59_116
.LBB59_108:
	s_or_b32 exec_lo, exec_lo, s10
	s_and_saveexec_b32 s10, s13
	s_cbranch_execnz .LBB59_120
	s_branch .LBB59_124
.LBB59_109:
	v_cmp_ne_u32_e32 vcc_lo, 1, v39
	s_cbranch_vccnz .LBB59_111
; %bb.110:
	s_delay_alu instid0(VALU_DEP_4) | instskip(SKIP_3) | instid1(VALU_DEP_1)
	v_add_nc_u32_e32 v29, v28, v44
	global_load_u16 v29, v29, s[28:29] scale_offset
	s_wait_loadcnt 0x0
	v_cvt_f32_f16_e32 v29, v29
	v_mul_f32_e32 v47, v78, v29
.LBB59_111:
	s_delay_alu instid0(VALU_DEP_1) | instskip(SKIP_1) | instid1(VALU_DEP_2)
	v_add_f32_e32 v3, v3, v47
	v_max_num_f32_e32 v27, v27, v27
	v_add_f32_e32 v29, 0x40051340, v3
	s_delay_alu instid0(VALU_DEP_1)
	v_max_num_f32_e32 v27, v27, v29
	s_or_b32 exec_lo, exec_lo, s25
	s_and_saveexec_b32 s10, s11
	s_cbranch_execz .LBB59_107
.LBB59_112:
	v_cmp_ne_u32_e32 vcc_lo, 1, v39
	s_cbranch_vccnz .LBB59_114
; %bb.113:
	v_dual_ashrrev_i32 v29, 31, v28 :: v_dual_mov_b32 v45, 0
	s_delay_alu instid0(VALU_DEP_1) | instskip(NEXT) | instid1(VALU_DEP_1)
	v_add_nc_u64_e32 v[46:47], v[28:29], v[44:45]
	v_lshl_add_u64 v[46:47], v[46:47], 1, s[28:29]
	global_load_u16 v29, v[46:47], off offset:64
	s_wait_loadcnt 0x0
	v_cvt_f32_f16_e32 v29, v29
	s_delay_alu instid0(VALU_DEP_1)
	v_mul_f32_e32 v29, v78, v29
	s_branch .LBB59_115
.LBB59_114:
	v_mov_b32_e32 v29, 0
.LBB59_115:
	s_delay_alu instid0(VALU_DEP_1) | instskip(SKIP_1) | instid1(VALU_DEP_2)
	v_add_f32_e32 v7, v7, v29
	v_max_num_f32_e32 v27, v27, v27
	v_add_f32_e32 v29, 0x40051340, v7
	s_delay_alu instid0(VALU_DEP_1)
	v_max_num_f32_e32 v27, v27, v29
	s_or_b32 exec_lo, exec_lo, s10
	s_and_saveexec_b32 s10, s12
	s_cbranch_execz .LBB59_108
.LBB59_116:
	v_cmp_ne_u32_e32 vcc_lo, 1, v39
	s_cbranch_vccnz .LBB59_118
; %bb.117:
	v_dual_ashrrev_i32 v29, 31, v28 :: v_dual_mov_b32 v45, 0
	s_delay_alu instid0(VALU_DEP_1) | instskip(NEXT) | instid1(VALU_DEP_1)
	v_add_nc_u64_e32 v[46:47], v[28:29], v[44:45]
	v_lshl_add_u64 v[46:47], v[46:47], 1, s[28:29]
	global_load_u16 v29, v[46:47], off offset:128
	s_wait_loadcnt 0x0
	v_cvt_f32_f16_e32 v29, v29
	s_delay_alu instid0(VALU_DEP_1)
	v_mul_f32_e32 v29, v78, v29
	s_branch .LBB59_119
.LBB59_118:
	v_mov_b32_e32 v29, 0
.LBB59_119:
	s_delay_alu instid0(VALU_DEP_1) | instskip(SKIP_1) | instid1(VALU_DEP_2)
	v_add_f32_e32 v11, v11, v29
	v_max_num_f32_e32 v27, v27, v27
	v_add_f32_e32 v29, 0x40051340, v11
	s_delay_alu instid0(VALU_DEP_1)
	v_max_num_f32_e32 v27, v27, v29
	s_or_b32 exec_lo, exec_lo, s10
	s_and_saveexec_b32 s10, s13
	s_cbranch_execz .LBB59_124
.LBB59_120:
	v_cmp_ne_u32_e32 vcc_lo, 1, v39
	s_cbranch_vccnz .LBB59_122
; %bb.121:
	v_dual_ashrrev_i32 v29, 31, v28 :: v_dual_mov_b32 v45, 0
	s_delay_alu instid0(VALU_DEP_1) | instskip(NEXT) | instid1(VALU_DEP_1)
	v_add_nc_u64_e32 v[28:29], v[28:29], v[44:45]
	v_lshl_add_u64 v[28:29], v[28:29], 1, s[28:29]
	global_load_u16 v28, v[28:29], off offset:192
	s_wait_loadcnt 0x0
	v_cvt_f32_f16_e32 v28, v28
	s_delay_alu instid0(VALU_DEP_1)
	v_mul_f32_e32 v28, v78, v28
	s_branch .LBB59_123
.LBB59_122:
	v_mov_b32_e32 v28, 0
.LBB59_123:
	s_delay_alu instid0(VALU_DEP_1) | instskip(SKIP_1) | instid1(VALU_DEP_2)
	v_add_f32_e32 v15, v15, v28
	v_max_num_f32_e32 v27, v27, v27
	v_add_f32_e32 v28, 0x40051340, v15
	s_delay_alu instid0(VALU_DEP_1)
	v_max_num_f32_e32 v27, v27, v28
.LBB59_124:
	s_or_b32 exec_lo, exec_lo, s10
	v_sub_f32_e32 v0, v0, v24
	v_sub_f32_e32 v29, v20, v24
	ds_bpermute_b32 v28, v40, v27
	v_cmp_gt_u32_e64 s10, s15, v44
	v_sub_f32_e32 v12, v12, v24
	v_mul_f32_e32 v20, 0x3fb8aa3b, v0
	v_cmp_ngt_f32_e32 vcc_lo, 0xc2ce8ed0, v0
	v_cmp_gt_u32_e64 s12, s15, v36
	v_dual_sub_f32 v8, v8, v24 :: v_dual_sub_f32 v1, v1, v25
	s_delay_alu instid0(VALU_DEP_4)
	v_fma_f32 v39, 0x3fb8aa3b, v0, -v20
	v_rndne_f32_e32 v40, v20
	v_cmp_ngt_f32_e64 s13, 0xc2ce8ed0, v12
	v_cmp_gt_u32_e64 s11, s15, v37
	v_sub_f32_e32 v9, v9, v25
	v_fmac_f32_e32 v39, 0x32a5705f, v0
	v_dual_sub_f32 v20, v20, v40 :: v_dual_sub_f32 v13, v13, v25
	v_sub_f32_e32 v14, v14, v26
	s_wait_dscnt 0x0
	v_max_num_f32_e32 v27, v27, v27
	s_delay_alu instid0(VALU_DEP_3)
	v_add_f32_e32 v20, v20, v39
	v_cvt_i32_f32_e32 v39, v40
	v_max_num_f32_e32 v28, v28, v28
	s_barrier_signal -1
	s_barrier_wait -1
	v_exp_f32_e32 v20, v20
	s_delay_alu instid0(VALU_DEP_1) | instskip(SKIP_4) | instid1(TRANS32_DEP_1)
	v_max_num_f32_e32 v27, v27, v28
	s_mov_b32 s28, 0
	v_lshl_or_b32 v45, v58, 7, v54
	s_mov_b32 s29, s28
	v_lshl_or_b32 v50, v59, 7, v54
	v_ldexp_f32 v20, v20, v39
	ds_bpermute_b32 v28, v41, v27
	v_lshl_or_b32 v51, v60, 7, v54
	v_dual_sub_f32 v21, v21, v25 :: v_dual_sub_f32 v2, v2, v26
	v_cndmask_b32_e32 v20, 0, v20, vcc_lo
	v_cmp_nlt_f32_e32 vcc_lo, 0x42b17218, v0
	s_delay_alu instid0(VALU_DEP_2) | instskip(NEXT) | instid1(VALU_DEP_1)
	v_dual_mov_b32 v55, 0 :: v_dual_cndmask_b32 v0, 0x7f800000, v20
	v_cndmask_b32_e64 v20, 0, v0, s10
	v_sub_f32_e32 v0, v4, v24
	s_wait_dscnt 0x0
	v_max_num_f32_e32 v28, v28, v28
	s_delay_alu instid0(VALU_DEP_2) | instskip(SKIP_1) | instid1(VALU_DEP_3)
	v_mul_f32_e32 v4, 0x3fb8aa3b, v0
	v_cmp_ngt_f32_e32 vcc_lo, 0xc2ce8ed0, v0
	v_max_num_f32_e32 v27, v27, v28
	s_delay_alu instid0(VALU_DEP_3) | instskip(SKIP_4) | instid1(VALU_DEP_1)
	v_fma_f32 v39, 0x3fb8aa3b, v0, -v4
	v_rndne_f32_e32 v40, v4
	ds_bpermute_b32 v28, v42, v27
	v_fmac_f32_e32 v39, 0x32a5705f, v0
	v_sub_f32_e32 v4, v4, v40
	v_add_f32_e32 v4, v4, v39
	v_cvt_i32_f32_e32 v39, v40
	s_delay_alu instid0(VALU_DEP_2) | instskip(SKIP_1) | instid1(TRANS32_DEP_1)
	v_exp_f32_e32 v4, v4
	v_nop
	v_ldexp_f32 v4, v4, v39
	v_mul_f32_e32 v39, 0x3fb8aa3b, v8
	s_wait_dscnt 0x0
	v_max_num_f32_e32 v28, v28, v28
	s_delay_alu instid0(VALU_DEP_3) | instskip(NEXT) | instid1(VALU_DEP_3)
	v_cndmask_b32_e32 v4, 0, v4, vcc_lo
	v_fma_f32 v40, 0x3fb8aa3b, v8, -v39
	v_rndne_f32_e32 v41, v39
	v_cmp_nlt_f32_e32 vcc_lo, 0x42b17218, v0
	v_max_num_f32_e32 v27, v27, v28
	s_delay_alu instid0(VALU_DEP_3)
	v_dual_fmac_f32 v40, 0x32a5705f, v8 :: v_dual_sub_f32 v39, v39, v41
	v_cndmask_b32_e32 v0, 0x7f800000, v4, vcc_lo
	v_cmp_ngt_f32_e32 vcc_lo, 0xc2ce8ed0, v8
	ds_bpermute_b32 v28, v43, v27
	v_add_f32_e32 v39, v39, v40
	v_cvt_i32_f32_e32 v40, v41
	v_cndmask_b32_e64 v4, 0, v0, s12
	s_delay_alu instid0(VALU_DEP_3) | instskip(SKIP_1) | instid1(TRANS32_DEP_1)
	v_exp_f32_e32 v39, v39
	v_nop
	v_ldexp_f32 v39, v39, v40
	s_delay_alu instid0(VALU_DEP_1) | instskip(SKIP_3) | instid1(VALU_DEP_3)
	v_cndmask_b32_e32 v39, 0, v39, vcc_lo
	v_cmp_nlt_f32_e32 vcc_lo, 0x42b17218, v8
	s_wait_dscnt 0x0
	v_max_num_f32_e32 v28, v28, v28
	v_cndmask_b32_e32 v8, 0x7f800000, v39, vcc_lo
	v_cmp_gt_u32_e32 vcc_lo, s15, v38
	v_mul_f32_e32 v39, 0x3fb8aa3b, v12
	s_delay_alu instid0(VALU_DEP_4) | instskip(SKIP_1) | instid1(VALU_DEP_2)
	v_max_num_f32_e32 v27, v27, v28
	s_ashr_i32 s15, s14, 31
	v_fma_f32 v40, 0x3fb8aa3b, v12, -v39
	v_rndne_f32_e32 v41, v39
	ds_bpermute_b32 v28, v52, v27
	v_lshl_or_b32 v52, v61, 7, v54
	v_dual_fmac_f32 v40, 0x32a5705f, v12 :: v_dual_sub_f32 v39, v39, v41
	s_delay_alu instid0(VALU_DEP_1) | instskip(SKIP_1) | instid1(VALU_DEP_2)
	v_add_f32_e32 v39, v39, v40
	v_cvt_i32_f32_e32 v40, v41
	v_exp_f32_e32 v39, v39
	s_wait_dscnt 0x0
	v_max_num_f32_e32 v28, v28, v28
	s_delay_alu instid0(TRANS32_DEP_1) | instskip(NEXT) | instid1(VALU_DEP_2)
	v_ldexp_f32 v39, v39, v40
	v_dual_max_num_f32 v27, v27, v28 :: v_dual_lshlrev_b32 v28, 10, v77
	s_delay_alu instid0(VALU_DEP_2) | instskip(SKIP_1) | instid1(VALU_DEP_3)
	v_cndmask_b32_e64 v39, 0, v39, s13
	v_cmp_nlt_f32_e64 s13, 0x42b17218, v12
	v_dual_sub_f32 v10, v10, v26 :: v_dual_sub_f32 v3, v3, v27
	s_delay_alu instid0(VALU_DEP_2) | instskip(SKIP_2) | instid1(VALU_DEP_3)
	v_cndmask_b32_e64 v12, 0x7f800000, v39, s13
	v_mul_f32_e32 v39, 0x3fb8aa3b, v29
	v_cmp_ngt_f32_e64 s13, 0xc2ce8ed0, v29
	v_cndmask_b32_e32 v12, 0, v12, vcc_lo
	s_delay_alu instid0(VALU_DEP_3) | instskip(SKIP_1) | instid1(VALU_DEP_2)
	v_fma_f32 v40, 0x3fb8aa3b, v29, -v39
	v_rndne_f32_e32 v41, v39
	v_fmac_f32_e32 v40, 0x32a5705f, v29
	s_delay_alu instid0(VALU_DEP_2) | instskip(NEXT) | instid1(VALU_DEP_1)
	v_sub_f32_e32 v39, v39, v41
	v_add_f32_e32 v39, v39, v40
	v_cvt_i32_f32_e32 v40, v41
	v_cndmask_b32_e64 v8, 0, v8, s11
	s_delay_alu instid0(VALU_DEP_3) | instskip(SKIP_1) | instid1(TRANS32_DEP_1)
	v_exp_f32_e32 v39, v39
	v_nop
	v_ldexp_f32 v39, v39, v40
	s_delay_alu instid0(VALU_DEP_1) | instskip(NEXT) | instid1(VALU_DEP_1)
	v_dual_add_f32 v0, v20, v4 :: v_dual_cndmask_b32 v39, 0, v39, s13
	v_add_f32_e32 v0, v8, v0
	v_cmp_nlt_f32_e64 s13, 0x42b17218, v29
	s_delay_alu instid0(VALU_DEP_2) | instskip(NEXT) | instid1(VALU_DEP_2)
	v_add_f32_e32 v0, v12, v0
	v_cndmask_b32_e64 v29, 0x7f800000, v39, s13
	v_cmp_ngt_f32_e64 s13, 0xc2ce8ed0, v1
	s_delay_alu instid0(VALU_DEP_2) | instskip(SKIP_1) | instid1(VALU_DEP_1)
	v_fmac_f32_e32 v0, v16, v29
	v_cvt_f16_f32_e32 v16, v29
	v_and_b32_e32 v16, 0xffff, v16
	s_delay_alu instid0(VALU_DEP_1) | instskip(SKIP_1) | instid1(VALU_DEP_1)
	v_mul_u32_u24_e32 v29, 0x10001, v16
	v_mul_f32_e32 v16, 0x3fb8aa3b, v1
	v_fma_f32 v39, 0x3fb8aa3b, v1, -v16
	v_rndne_f32_e32 v40, v16
	s_delay_alu instid0(VALU_DEP_1) | instskip(NEXT) | instid1(VALU_DEP_1)
	v_dual_fmac_f32 v39, 0x32a5705f, v1 :: v_dual_sub_f32 v16, v16, v40
	v_add_f32_e32 v16, v16, v39
	v_cvt_i32_f32_e32 v39, v40
	s_delay_alu instid0(VALU_DEP_2) | instskip(SKIP_1) | instid1(TRANS32_DEP_1)
	v_exp_f32_e32 v16, v16
	v_nop
	v_ldexp_f32 v16, v16, v39
	s_delay_alu instid0(VALU_DEP_1) | instskip(SKIP_1) | instid1(VALU_DEP_1)
	v_cndmask_b32_e64 v16, 0, v16, s13
	v_cmp_nlt_f32_e64 s13, 0x42b17218, v1
	v_cndmask_b32_e64 v1, 0x7f800000, v16, s13
	s_delay_alu instid0(VALU_DEP_1) | instskip(SKIP_1) | instid1(VALU_DEP_1)
	v_cndmask_b32_e64 v16, 0, v1, s10
	v_sub_f32_e32 v1, v5, v25
	v_mul_f32_e32 v5, 0x3fb8aa3b, v1
	v_cmp_ngt_f32_e64 s13, 0xc2ce8ed0, v1
	s_delay_alu instid0(VALU_DEP_2) | instskip(SKIP_1) | instid1(VALU_DEP_2)
	v_fma_f32 v39, 0x3fb8aa3b, v1, -v5
	v_rndne_f32_e32 v40, v5
	v_fmac_f32_e32 v39, 0x32a5705f, v1
	s_delay_alu instid0(VALU_DEP_2) | instskip(NEXT) | instid1(VALU_DEP_1)
	v_sub_f32_e32 v5, v5, v40
	v_add_f32_e32 v5, v5, v39
	v_cvt_i32_f32_e32 v39, v40
	s_delay_alu instid0(VALU_DEP_2) | instskip(SKIP_1) | instid1(TRANS32_DEP_1)
	v_exp_f32_e32 v5, v5
	v_nop
	v_ldexp_f32 v5, v5, v39
	v_mul_f32_e32 v39, 0x3fb8aa3b, v9
	s_delay_alu instid0(VALU_DEP_2) | instskip(SKIP_1) | instid1(VALU_DEP_3)
	v_cndmask_b32_e64 v5, 0, v5, s13
	v_cmp_nlt_f32_e64 s13, 0x42b17218, v1
	v_fma_f32 v40, 0x3fb8aa3b, v9, -v39
	v_rndne_f32_e32 v41, v39
	s_delay_alu instid0(VALU_DEP_3) | instskip(NEXT) | instid1(VALU_DEP_3)
	v_cndmask_b32_e64 v1, 0x7f800000, v5, s13
	v_fmac_f32_e32 v40, 0x32a5705f, v9
	s_delay_alu instid0(VALU_DEP_3) | instskip(SKIP_1) | instid1(VALU_DEP_2)
	v_sub_f32_e32 v39, v39, v41
	v_cmp_ngt_f32_e64 s13, 0xc2ce8ed0, v9
	v_dual_cndmask_b32 v5, 0, v1, s12 :: v_dual_add_f32 v39, v39, v40
	v_cvt_i32_f32_e32 v40, v41
	s_delay_alu instid0(VALU_DEP_2) | instskip(SKIP_1) | instid1(TRANS32_DEP_1)
	v_exp_f32_e32 v39, v39
	v_nop
	v_ldexp_f32 v39, v39, v40
	v_add_f32_e32 v1, v16, v5
	v_cvt_pk_f16_f32 v16, v20, v16
	s_delay_alu instid0(VALU_DEP_3) | instskip(SKIP_1) | instid1(VALU_DEP_1)
	v_cndmask_b32_e64 v39, 0, v39, s13
	v_cmp_nlt_f32_e64 s13, 0x42b17218, v9
	v_cndmask_b32_e64 v9, 0x7f800000, v39, s13
	v_mul_f32_e32 v39, 0x3fb8aa3b, v13
	v_cmp_ngt_f32_e64 s13, 0xc2ce8ed0, v13
	s_delay_alu instid0(VALU_DEP_2) | instskip(SKIP_1) | instid1(VALU_DEP_2)
	v_fma_f32 v40, 0x3fb8aa3b, v13, -v39
	v_rndne_f32_e32 v41, v39
	v_fmac_f32_e32 v40, 0x32a5705f, v13
	s_delay_alu instid0(VALU_DEP_2) | instskip(NEXT) | instid1(VALU_DEP_1)
	v_sub_f32_e32 v39, v39, v41
	v_add_f32_e32 v39, v39, v40
	v_cvt_i32_f32_e32 v40, v41
	s_delay_alu instid0(VALU_DEP_2) | instskip(SKIP_1) | instid1(TRANS32_DEP_1)
	v_exp_f32_e32 v39, v39
	v_nop
	v_ldexp_f32 v39, v39, v40
	s_delay_alu instid0(VALU_DEP_1) | instskip(SKIP_1) | instid1(VALU_DEP_1)
	v_dual_cndmask_b32 v9, 0, v9, s11 :: v_dual_cndmask_b32 v39, 0, v39, s13
	v_cmp_nlt_f32_e64 s13, 0x42b17218, v13
	v_cndmask_b32_e64 v13, 0x7f800000, v39, s13
	v_mul_f32_e32 v39, 0x3fb8aa3b, v21
	v_cmp_ngt_f32_e64 s13, 0xc2ce8ed0, v21
	s_delay_alu instid0(VALU_DEP_3) | instskip(NEXT) | instid1(VALU_DEP_3)
	v_cndmask_b32_e32 v13, 0, v13, vcc_lo
	v_fma_f32 v40, 0x3fb8aa3b, v21, -v39
	v_rndne_f32_e32 v41, v39
	s_delay_alu instid0(VALU_DEP_2) | instskip(NEXT) | instid1(VALU_DEP_2)
	v_fmac_f32_e32 v40, 0x32a5705f, v21
	v_sub_f32_e32 v39, v39, v41
	s_delay_alu instid0(VALU_DEP_1) | instskip(SKIP_1) | instid1(VALU_DEP_2)
	v_dual_add_f32 v1, v9, v1 :: v_dual_add_f32 v39, v39, v40
	v_cvt_i32_f32_e32 v40, v41
	v_add_f32_e32 v1, v13, v1
	s_delay_alu instid0(VALU_DEP_3) | instskip(SKIP_1) | instid1(TRANS32_DEP_1)
	v_exp_f32_e32 v39, v39
	v_nop
	v_ldexp_f32 v39, v39, v40
	s_delay_alu instid0(VALU_DEP_1) | instskip(SKIP_1) | instid1(VALU_DEP_1)
	v_cndmask_b32_e64 v39, 0, v39, s13
	v_cmp_nlt_f32_e64 s13, 0x42b17218, v21
	v_cndmask_b32_e64 v21, 0x7f800000, v39, s13
	v_cmp_ngt_f32_e64 s13, 0xc2ce8ed0, v2
	s_delay_alu instid0(VALU_DEP_2) | instskip(SKIP_2) | instid1(VALU_DEP_2)
	v_fmac_f32_e32 v1, v17, v21
	v_cvt_f16_f32_e32 v17, v21
	v_sub_f32_e32 v21, v22, v26
	v_and_b32_e32 v17, 0xffff, v17
	s_delay_alu instid0(VALU_DEP_1) | instskip(SKIP_1) | instid1(VALU_DEP_1)
	v_mul_u32_u24_e32 v39, 0x10001, v17
	v_mul_f32_e32 v17, 0x3fb8aa3b, v2
	v_fma_f32 v22, 0x3fb8aa3b, v2, -v17
	v_rndne_f32_e32 v40, v17
	s_delay_alu instid0(VALU_DEP_1) | instskip(NEXT) | instid1(VALU_DEP_1)
	v_dual_fmac_f32 v22, 0x32a5705f, v2 :: v_dual_sub_f32 v17, v17, v40
	v_add_f32_e32 v17, v17, v22
	v_cvt_i32_f32_e32 v22, v40
	s_delay_alu instid0(VALU_DEP_2) | instskip(SKIP_1) | instid1(TRANS32_DEP_1)
	v_exp_f32_e32 v17, v17
	v_nop
	v_ldexp_f32 v17, v17, v22
	s_delay_alu instid0(VALU_DEP_1) | instskip(SKIP_1) | instid1(VALU_DEP_1)
	v_cndmask_b32_e64 v17, 0, v17, s13
	v_cmp_nlt_f32_e64 s13, 0x42b17218, v2
	v_cndmask_b32_e64 v2, 0x7f800000, v17, s13
	s_delay_alu instid0(VALU_DEP_1) | instskip(SKIP_1) | instid1(VALU_DEP_1)
	v_cndmask_b32_e64 v17, 0, v2, s10
	v_sub_f32_e32 v2, v6, v26
	v_mul_f32_e32 v6, 0x3fb8aa3b, v2
	v_cmp_ngt_f32_e64 s13, 0xc2ce8ed0, v2
	s_delay_alu instid0(VALU_DEP_2) | instskip(SKIP_1) | instid1(VALU_DEP_2)
	v_fma_f32 v22, 0x3fb8aa3b, v2, -v6
	v_rndne_f32_e32 v40, v6
	v_fmac_f32_e32 v22, 0x32a5705f, v2
	s_delay_alu instid0(VALU_DEP_2) | instskip(NEXT) | instid1(VALU_DEP_1)
	v_sub_f32_e32 v6, v6, v40
	v_add_f32_e32 v6, v6, v22
	v_cvt_i32_f32_e32 v22, v40
	s_delay_alu instid0(VALU_DEP_2) | instskip(SKIP_1) | instid1(TRANS32_DEP_1)
	v_exp_f32_e32 v6, v6
	v_nop
	v_ldexp_f32 v6, v6, v22
	v_mul_f32_e32 v22, 0x3fb8aa3b, v10
	s_delay_alu instid0(VALU_DEP_2) | instskip(SKIP_1) | instid1(VALU_DEP_3)
	v_cndmask_b32_e64 v6, 0, v6, s13
	v_cmp_nlt_f32_e64 s13, 0x42b17218, v2
	v_fma_f32 v40, 0x3fb8aa3b, v10, -v22
	v_rndne_f32_e32 v41, v22
	s_delay_alu instid0(VALU_DEP_3) | instskip(NEXT) | instid1(VALU_DEP_3)
	v_cndmask_b32_e64 v2, 0x7f800000, v6, s13
	v_fmac_f32_e32 v40, 0x32a5705f, v10
	s_delay_alu instid0(VALU_DEP_3) | instskip(SKIP_1) | instid1(VALU_DEP_2)
	v_sub_f32_e32 v22, v22, v41
	v_cmp_ngt_f32_e64 s13, 0xc2ce8ed0, v10
	v_dual_cndmask_b32 v6, 0, v2, s12 :: v_dual_add_f32 v22, v22, v40
	v_cvt_i32_f32_e32 v40, v41
	s_delay_alu instid0(VALU_DEP_2) | instskip(NEXT) | instid1(VALU_DEP_3)
	v_add_f32_e32 v2, v17, v6
	v_exp_f32_e32 v22, v22
	v_nop
	s_delay_alu instid0(TRANS32_DEP_1) | instskip(NEXT) | instid1(VALU_DEP_1)
	v_ldexp_f32 v22, v22, v40
	v_cndmask_b32_e64 v22, 0, v22, s13
	v_cmp_nlt_f32_e64 s13, 0x42b17218, v10
	s_delay_alu instid0(VALU_DEP_1) | instskip(SKIP_2) | instid1(VALU_DEP_2)
	v_cndmask_b32_e64 v10, 0x7f800000, v22, s13
	v_mul_f32_e32 v22, 0x3fb8aa3b, v14
	v_cmp_ngt_f32_e64 s13, 0xc2ce8ed0, v14
	v_fma_f32 v40, 0x3fb8aa3b, v14, -v22
	v_rndne_f32_e32 v41, v22
	v_cndmask_b32_e64 v10, 0, v10, s11
	s_delay_alu instid0(VALU_DEP_3) | instskip(NEXT) | instid1(VALU_DEP_3)
	v_fmac_f32_e32 v40, 0x32a5705f, v14
	v_sub_f32_e32 v22, v22, v41
	s_delay_alu instid0(VALU_DEP_1) | instskip(SKIP_1) | instid1(VALU_DEP_2)
	v_add_f32_e32 v22, v22, v40
	v_cvt_i32_f32_e32 v40, v41
	v_exp_f32_e32 v22, v22
	v_nop
	s_delay_alu instid0(TRANS32_DEP_1) | instskip(NEXT) | instid1(VALU_DEP_1)
	v_ldexp_f32 v22, v22, v40
	v_cndmask_b32_e64 v22, 0, v22, s13
	v_cmp_nlt_f32_e64 s13, 0x42b17218, v14
	s_delay_alu instid0(VALU_DEP_1) | instskip(SKIP_2) | instid1(VALU_DEP_3)
	v_cndmask_b32_e64 v14, 0x7f800000, v22, s13
	v_mul_f32_e32 v22, 0x3fb8aa3b, v21
	v_cmp_ngt_f32_e64 s13, 0xc2ce8ed0, v21
	v_cndmask_b32_e32 v14, 0, v14, vcc_lo
	s_delay_alu instid0(VALU_DEP_3) | instskip(SKIP_1) | instid1(VALU_DEP_2)
	v_fma_f32 v40, 0x3fb8aa3b, v21, -v22
	v_rndne_f32_e32 v41, v22
	v_fmac_f32_e32 v40, 0x32a5705f, v21
	s_delay_alu instid0(VALU_DEP_2) | instskip(NEXT) | instid1(VALU_DEP_1)
	v_sub_f32_e32 v22, v22, v41
	v_add_f32_e32 v22, v22, v40
	v_cvt_i32_f32_e32 v40, v41
	s_delay_alu instid0(VALU_DEP_2) | instskip(SKIP_1) | instid1(TRANS32_DEP_1)
	v_exp_f32_e32 v22, v22
	v_nop
	v_ldexp_f32 v22, v22, v40
	s_delay_alu instid0(VALU_DEP_1) | instskip(SKIP_1) | instid1(VALU_DEP_1)
	v_cndmask_b32_e64 v22, 0, v22, s13
	v_cmp_nlt_f32_e64 s13, 0x42b17218, v21
	v_cndmask_b32_e64 v21, 0x7f800000, v22, s13
	v_cmp_ngt_f32_e64 s13, 0xc2ce8ed0, v3
	v_add_f32_e32 v2, v10, v2
	s_delay_alu instid0(VALU_DEP_1) | instskip(NEXT) | instid1(VALU_DEP_1)
	v_add_f32_e32 v2, v14, v2
	v_fmac_f32_e32 v2, v18, v21
	v_cvt_f16_f32_e32 v18, v21
	v_mul_f32_e32 v21, 0x3fb8aa3b, v3
	s_delay_alu instid0(VALU_DEP_2) | instskip(NEXT) | instid1(VALU_DEP_2)
	v_and_b32_e32 v18, 0xffff, v18
	v_fma_f32 v22, 0x3fb8aa3b, v3, -v21
	s_delay_alu instid0(VALU_DEP_2) | instskip(SKIP_2) | instid1(VALU_DEP_4)
	v_mul_u32_u24_e32 v40, 0x10001, v18
	v_sub_f32_e32 v18, v23, v27
	v_rndne_f32_e32 v23, v21
	v_fmac_f32_e32 v22, 0x32a5705f, v3
	s_delay_alu instid0(VALU_DEP_2) | instskip(NEXT) | instid1(VALU_DEP_1)
	v_sub_f32_e32 v21, v21, v23
	v_add_f32_e32 v21, v21, v22
	v_cvt_i32_f32_e32 v22, v23
	s_delay_alu instid0(VALU_DEP_2) | instskip(SKIP_1) | instid1(TRANS32_DEP_1)
	v_exp_f32_e32 v21, v21
	v_nop
	v_ldexp_f32 v21, v21, v22
	s_delay_alu instid0(VALU_DEP_1) | instskip(SKIP_1) | instid1(VALU_DEP_1)
	v_cndmask_b32_e64 v21, 0, v21, s13
	v_cmp_nlt_f32_e64 s13, 0x42b17218, v3
	v_cndmask_b32_e64 v3, 0x7f800000, v21, s13
	s_delay_alu instid0(VALU_DEP_1) | instskip(SKIP_1) | instid1(VALU_DEP_2)
	v_cndmask_b32_e64 v21, 0, v3, s10
	v_sub_f32_e32 v3, v7, v27
	v_cvt_pk_f16_f32 v17, v17, v21
	s_delay_alu instid0(VALU_DEP_2) | instskip(SKIP_1) | instid1(VALU_DEP_2)
	v_mul_f32_e32 v7, 0x3fb8aa3b, v3
	v_cmp_ngt_f32_e64 s10, 0xc2ce8ed0, v3
	v_fma_f32 v22, 0x3fb8aa3b, v3, -v7
	v_rndne_f32_e32 v23, v7
	s_delay_alu instid0(VALU_DEP_2) | instskip(NEXT) | instid1(VALU_DEP_2)
	v_fmac_f32_e32 v22, 0x32a5705f, v3
	v_sub_f32_e32 v7, v7, v23
	s_delay_alu instid0(VALU_DEP_1) | instskip(SKIP_1) | instid1(VALU_DEP_2)
	v_add_f32_e32 v7, v7, v22
	v_cvt_i32_f32_e32 v22, v23
	v_exp_f32_e32 v7, v7
	v_nop
	s_delay_alu instid0(TRANS32_DEP_1) | instskip(NEXT) | instid1(VALU_DEP_1)
	v_ldexp_f32 v7, v7, v22
	v_cndmask_b32_e64 v7, 0, v7, s10
	v_cmp_nlt_f32_e64 s10, 0x42b17218, v3
	s_delay_alu instid0(VALU_DEP_1) | instskip(SKIP_1) | instid1(VALU_DEP_2)
	v_cndmask_b32_e64 v3, 0x7f800000, v7, s10
	v_sub_f32_e32 v7, v11, v27
	v_cndmask_b32_e64 v22, 0, v3, s12
	s_delay_alu instid0(VALU_DEP_2) | instskip(SKIP_4) | instid1(VALU_DEP_2)
	v_mul_f32_e32 v11, 0x3fb8aa3b, v7
	v_cmp_ngt_f32_e64 s10, 0xc2ce8ed0, v7
	s_lshl_b32 s12, s14, 4
	v_fma_f32 v23, 0x3fb8aa3b, v7, -v11
	v_rndne_f32_e32 v41, v11
	v_fmac_f32_e32 v23, 0x32a5705f, v7
	s_delay_alu instid0(VALU_DEP_2) | instskip(NEXT) | instid1(VALU_DEP_1)
	v_dual_sub_f32 v11, v11, v41 :: v_dual_add_f32 v3, v21, v22
	v_add_f32_e32 v11, v11, v23
	v_cvt_i32_f32_e32 v23, v41
	s_delay_alu instid0(VALU_DEP_2) | instskip(SKIP_1) | instid1(TRANS32_DEP_1)
	v_exp_f32_e32 v11, v11
	v_nop
	v_ldexp_f32 v11, v11, v23
	s_delay_alu instid0(VALU_DEP_1) | instskip(SKIP_1) | instid1(VALU_DEP_1)
	v_cndmask_b32_e64 v11, 0, v11, s10
	v_cmp_nlt_f32_e64 s10, 0x42b17218, v7
	v_cndmask_b32_e64 v7, 0x7f800000, v11, s10
	s_delay_alu instid0(VALU_DEP_1) | instskip(SKIP_1) | instid1(VALU_DEP_1)
	v_cndmask_b32_e64 v11, 0, v7, s11
	v_sub_f32_e32 v7, v15, v27
	v_mul_f32_e32 v15, 0x3fb8aa3b, v7
	v_cmp_ngt_f32_e64 s10, 0xc2ce8ed0, v7
	s_delay_alu instid0(VALU_DEP_2) | instskip(SKIP_1) | instid1(VALU_DEP_2)
	v_fma_f32 v23, 0x3fb8aa3b, v7, -v15
	v_rndne_f32_e32 v41, v15
	v_fmac_f32_e32 v23, 0x32a5705f, v7
	s_delay_alu instid0(VALU_DEP_2) | instskip(NEXT) | instid1(VALU_DEP_1)
	v_sub_f32_e32 v15, v15, v41
	v_add_f32_e32 v15, v15, v23
	v_cvt_i32_f32_e32 v23, v41
	s_delay_alu instid0(VALU_DEP_2) | instskip(SKIP_1) | instid1(TRANS32_DEP_1)
	v_exp_f32_e32 v15, v15
	v_nop
	v_ldexp_f32 v15, v15, v23
	s_delay_alu instid0(VALU_DEP_1) | instskip(SKIP_1) | instid1(VALU_DEP_1)
	v_cndmask_b32_e64 v15, 0, v15, s10
	v_cmp_nlt_f32_e64 s10, 0x42b17218, v7
	v_cndmask_b32_e64 v7, 0x7f800000, v15, s10
	s_mul_u64 s[10:11], s[18:19], s[14:15]
	s_delay_alu instid0(SALU_CYCLE_1) | instskip(NEXT) | instid1(VALU_DEP_1)
	s_lshl_b64 s[10:11], s[10:11], 2
	v_cndmask_b32_e32 v15, 0, v7, vcc_lo
	v_mul_f32_e32 v7, 0x3fb8aa3b, v18
	v_cmp_ngt_f32_e32 vcc_lo, 0xc2ce8ed0, v18
	v_add_f32_e32 v3, v11, v3
	s_add_nc_u64 s[10:11], s[30:31], s[10:11]
	s_mov_b32 s30, s28
	v_fma_f32 v23, 0x3fb8aa3b, v18, -v7
	v_rndne_f32_e32 v41, v7
	v_add_f32_e32 v3, v15, v3
	s_delay_alu instid0(VALU_DEP_3) | instskip(NEXT) | instid1(VALU_DEP_3)
	v_fmac_f32_e32 v23, 0x32a5705f, v18
	v_sub_f32_e32 v7, v7, v41
	s_delay_alu instid0(VALU_DEP_1) | instskip(SKIP_2) | instid1(VALU_DEP_3)
	v_add_f32_e32 v7, v7, v23
	v_cvt_i32_f32_e32 v23, v41
	v_lshl_or_b32 v41, v57, 7, v54
	v_exp_f32_e32 v7, v7
	v_nop
	s_delay_alu instid0(TRANS32_DEP_1) | instskip(NEXT) | instid1(VALU_DEP_1)
	v_ldexp_f32 v7, v7, v23
	v_cndmask_b32_e32 v7, 0, v7, vcc_lo
	v_cmp_nlt_f32_e32 vcc_lo, 0x42b17218, v18
	v_add_nc_u32_e32 v18, 0x4800, v28
	s_delay_alu instid0(VALU_DEP_3) | instskip(NEXT) | instid1(VALU_DEP_1)
	v_cndmask_b32_e32 v7, 0x7f800000, v7, vcc_lo
	v_fmac_f32_e32 v3, v19, v7
	s_delay_alu instid0(VALU_DEP_3)
	v_lshl_add_u32 v19, v44, 3, v18
	ds_store_b64 v19, v[16:17]
	v_lshl_add_u32 v19, v36, 3, v18
	v_cvt_pk_f16_f32 v17, v6, v22
	v_cvt_pk_f16_f32 v16, v4, v5
	v_lshl_add_u32 v6, v37, 3, v18
	v_cvt_pk_f16_f32 v5, v10, v11
	v_cvt_pk_f16_f32 v4, v8, v9
	v_lshl_or_b32 v37, v63, 7, v54
	ds_store_b64 v19, v[16:17]
	v_lshl_or_b32 v36, v64, 7, v54
	ds_store_b64 v6, v[4:5]
	v_lshl_add_u32 v6, v38, 3, v18
	v_cvt_pk_f16_f32 v5, v14, v15
	v_cvt_pk_f16_f32 v4, v12, v13
	v_lshl_or_b32 v38, v62, 7, v54
	ds_store_b64 v6, v[4:5]
	v_mbcnt_lo_u32_b32 v4, -1, 0
	s_delay_alu instid0(VALU_DEP_1) | instskip(NEXT) | instid1(VALU_DEP_1)
	v_dual_mov_b32 v4, 0 :: v_dual_lshlrev_b32 v5, 20, v4
	v_add_nc_u64_e32 v[8:9], src_flat_scratch_base_lo, v[4:5]
	v_mul_lo_u32 v4, s14, v57
	s_delay_alu instid0(VALU_DEP_1) | instskip(NEXT) | instid1(VALU_DEP_1)
	v_ashrrev_i32_e32 v5, 31, v4
	v_lshl_add_u64 v[10:11], v[4:5], 2, s[10:11]
	v_add_nc_u32_e32 v4, s12, v4
	s_delay_alu instid0(VALU_DEP_2) | instskip(NEXT) | instid1(VALU_DEP_2)
	v_add_nc_u64_e32 v[42:43], v[10:11], v[54:55]
	v_ashrrev_i32_e32 v5, 31, v4
	s_delay_alu instid0(VALU_DEP_1) | instskip(NEXT) | instid1(VALU_DEP_3)
	v_lshl_add_u64 v[10:11], v[4:5], 2, s[10:11]
	v_dual_add_nc_u32 v4, s12, v4 :: v_dual_cndmask_b32 v43, v9, v43, s9
	s_delay_alu instid0(VALU_DEP_2) | instskip(NEXT) | instid1(VALU_DEP_2)
	v_add_nc_u64_e32 v[22:23], v[10:11], v[54:55]
	v_dual_ashrrev_i32 v5, 31, v4 :: v_dual_cndmask_b32 v42, v8, v42, s9
	s_delay_alu instid0(VALU_DEP_1) | instskip(NEXT) | instid1(VALU_DEP_3)
	v_lshl_add_u64 v[10:11], v[4:5], 2, s[10:11]
	v_dual_add_nc_u32 v4, s12, v4 :: v_dual_cndmask_b32 v23, v9, v23, s8
	s_delay_alu instid0(VALU_DEP_2) | instskip(NEXT) | instid1(VALU_DEP_2)
	v_add_nc_u64_e32 v[20:21], v[10:11], v[54:55]
	v_dual_ashrrev_i32 v5, 31, v4 :: v_dual_cndmask_b32 v22, v8, v22, s8
	s_delay_alu instid0(VALU_DEP_1) | instskip(NEXT) | instid1(VALU_DEP_3)
	v_lshl_add_u64 v[10:11], v[4:5], 2, s[10:11]
	v_dual_add_nc_u32 v4, s12, v4 :: v_dual_cndmask_b32 v21, v9, v21, s7
	s_delay_alu instid0(VALU_DEP_2) | instskip(NEXT) | instid1(VALU_DEP_2)
	v_add_nc_u64_e32 v[18:19], v[10:11], v[54:55]
	v_ashrrev_i32_e32 v5, 31, v4
	v_cndmask_b32_e64 v20, v8, v20, s7
	s_delay_alu instid0(VALU_DEP_2) | instskip(NEXT) | instid1(VALU_DEP_4)
	v_lshl_add_u64 v[10:11], v[4:5], 2, s[10:11]
	v_dual_add_nc_u32 v4, s12, v4 :: v_dual_cndmask_b32 v19, v9, v19, s6
	s_delay_alu instid0(VALU_DEP_2) | instskip(NEXT) | instid1(VALU_DEP_2)
	v_add_nc_u64_e32 v[16:17], v[10:11], v[54:55]
	v_dual_ashrrev_i32 v5, 31, v4 :: v_dual_cndmask_b32 v18, v8, v18, s6
	s_delay_alu instid0(VALU_DEP_1) | instskip(NEXT) | instid1(VALU_DEP_3)
	v_lshl_add_u64 v[10:11], v[4:5], 2, s[10:11]
	v_dual_add_nc_u32 v4, s12, v4 :: v_dual_cndmask_b32 v17, v9, v17, s5
	s_delay_alu instid0(VALU_DEP_2) | instskip(NEXT) | instid1(VALU_DEP_2)
	v_add_nc_u64_e32 v[14:15], v[10:11], v[54:55]
	v_ashrrev_i32_e32 v5, 31, v4
	v_cndmask_b32_e64 v16, v8, v16, s5
	s_delay_alu instid0(VALU_DEP_2) | instskip(NEXT) | instid1(VALU_DEP_4)
	v_lshl_add_u64 v[10:11], v[4:5], 2, s[10:11]
	v_dual_add_nc_u32 v4, s12, v4 :: v_dual_cndmask_b32 v15, v9, v15, s4
	s_delay_alu instid0(VALU_DEP_2) | instskip(NEXT) | instid1(VALU_DEP_2)
	v_add_nc_u64_e32 v[12:13], v[10:11], v[54:55]
	v_dual_ashrrev_i32 v5, 31, v4 :: v_dual_cndmask_b32 v14, v8, v14, s4
	s_delay_alu instid0(VALU_DEP_1) | instskip(NEXT) | instid1(VALU_DEP_3)
	v_lshl_add_u64 v[4:5], v[4:5], 2, s[10:11]
	v_cndmask_b32_e64 v13, v9, v13, s3
	s_delay_alu instid0(VALU_DEP_2)
	v_add_nc_u64_e32 v[10:11], v[4:5], v[54:55]
	v_dual_mov_b32 v4, s28 :: v_dual_mov_b32 v5, s29
	v_mov_b32_e32 v6, s30
	scratch_store_b32 off, v55, off
	v_cndmask_b32_e64 v12, v8, v12, s3
	scratch_store_b96 off, v[4:6], off offset:4
	flat_load_b128 v[46:49], v[42:43]
	s_wait_loadcnt_dscnt 0x0
	ds_store_b128 v41, v[46:49]
	s_clause 0x1
	scratch_store_b32 off, v55, off
	scratch_store_b96 off, v[4:6], off offset:4
	flat_load_b128 v[46:49], v[22:23]
	s_wait_loadcnt_dscnt 0x0
	ds_store_b128 v45, v[46:49]
	s_clause 0x1
	scratch_store_b32 off, v55, off
	;; [unrolled: 6-line block ×7, first 2 shown]
	scratch_store_b96 off, v[4:6], off offset:4
	s_wait_xcnt 0x0
	v_dual_cndmask_b32 v5, v9, v11, s2 :: v_dual_cndmask_b32 v4, v8, v10, s2
	flat_load_b128 v[8:11], v[4:5]
	s_wait_loadcnt_dscnt 0x0
	ds_store_b128 v36, v[8:11]
	s_wait_storecnt_dscnt 0x0
	s_barrier_signal -1
	s_barrier_wait -1
	s_wait_xcnt 0x0
	ds_load_2addr_b32 v[4:5], v76 offset1:32
	ds_load_b128 v[8:11], v28 offset:18432
	ds_load_b128 v[12:15], v28 offset:18448
	;; [unrolled: 1-line block ×4, first 2 shown]
	s_wait_dscnt 0x3
	v_lshrrev_b32_e32 v6, 16, v8
	v_cvt_f16_f32_e32 v7, v7
	v_and_b32_e32 v8, 0xffff, v8
	v_lshrrev_b32_e32 v36, 16, v9
	v_and_b32_e32 v9, 0xffff, v9
	v_mul_u32_u24_e32 v6, 0x10001, v6
	v_and_b32_e32 v7, 0xffff, v7
	v_mul_u32_u24_e32 v8, 0x10001, v8
	v_mul_u32_u24_e32 v36, 0x10001, v36
	;; [unrolled: 1-line block ×3, first 2 shown]
	v_pk_mul_f16 v6, v4, v6
	v_mul_u32_u24_e32 v7, 0x10001, v7
	v_pk_mul_f16 v8, v4, v8
	s_delay_alu instid0(VALU_DEP_4) | instskip(NEXT) | instid1(VALU_DEP_4)
	v_pk_mul_f16 v9, v4, v9
	v_pk_fma_f16 v6, v81, v39, v6
	s_delay_alu instid0(VALU_DEP_4) | instskip(NEXT) | instid1(VALU_DEP_4)
	v_pk_mul_f16 v7, v91, v7
	v_pk_fma_f16 v8, v82, v29, v8
	v_lshrrev_b32_e32 v29, 16, v11
	v_and_b32_e32 v11, 0xffff, v11
	v_pk_fma_f16 v9, v80, v40, v9
	v_pk_fma_f16 v4, v4, v36, v7
	v_lshrrev_b32_e32 v7, 16, v10
	v_and_b32_e32 v10, 0xffff, v10
	v_mul_u32_u24_e32 v11, 0x10001, v11
	v_mul_u32_u24_e32 v29, 0x10001, v29
	s_delay_alu instid0(VALU_DEP_4) | instskip(NEXT) | instid1(VALU_DEP_4)
	v_mul_u32_u24_e32 v7, 0x10001, v7
	v_mul_u32_u24_e32 v10, 0x10001, v10
	s_delay_alu instid0(VALU_DEP_2) | instskip(NEXT) | instid1(VALU_DEP_2)
	v_pk_fma_f16 v6, v5, v7, v6
	v_pk_fma_f16 v8, v5, v10, v8
	;; [unrolled: 1-line block ×4, first 2 shown]
	ds_load_2addr_b32 v[4:5], v76 offset0:64 offset1:96
	s_wait_dscnt 0x3
	v_dual_lshrrev_b32 v10, 16, v12 :: v_dual_lshrrev_b32 v11, 16, v13
	v_and_b32_e32 v12, 0xffff, v12
	v_and_b32_e32 v13, 0xffff, v13
	s_delay_alu instid0(VALU_DEP_3) | instskip(NEXT) | instid1(VALU_DEP_4)
	v_mul_u32_u24_e32 v10, 0x10001, v10
	v_mul_u32_u24_e32 v11, 0x10001, v11
	s_delay_alu instid0(VALU_DEP_4) | instskip(NEXT) | instid1(VALU_DEP_4)
	v_mul_u32_u24_e32 v12, 0x10001, v12
	v_mul_u32_u24_e32 v13, 0x10001, v13
	s_wait_dscnt 0x0
	s_delay_alu instid0(VALU_DEP_2) | instskip(SKIP_1) | instid1(VALU_DEP_3)
	v_pk_fma_f16 v8, v4, v12, v8
	v_pk_fma_f16 v6, v4, v10, v6
	v_pk_fma_f16 v7, v4, v13, v7
	v_pk_fma_f16 v4, v4, v11, v9
	v_dual_lshrrev_b32 v9, 16, v14 :: v_dual_lshrrev_b32 v10, 16, v15
	v_and_b32_e32 v11, 0xffff, v14
	v_and_b32_e32 v12, 0xffff, v15
	;; [unrolled: 1-line block ×3, first 2 shown]
	s_delay_alu instid0(VALU_DEP_4)
	v_mul_u32_u24_e32 v9, 0x10001, v9
	v_mul_u32_u24_e32 v10, 0x10001, v10
	;; [unrolled: 1-line block ×5, first 2 shown]
	v_pk_fma_f16 v6, v5, v9, v6
	v_pk_fma_f16 v9, v5, v10, v4
	;; [unrolled: 1-line block ×4, first 2 shown]
	ds_load_2addr_b32 v[4:5], v76 offset0:128 offset1:160
	v_dual_lshrrev_b32 v10, 16, v16 :: v_dual_lshrrev_b32 v11, 16, v17
	v_and_b32_e32 v12, 0xffff, v16
	s_delay_alu instid0(VALU_DEP_2) | instskip(NEXT) | instid1(VALU_DEP_3)
	v_mul_u32_u24_e32 v10, 0x10001, v10
	v_mul_u32_u24_e32 v11, 0x10001, v11
	s_delay_alu instid0(VALU_DEP_3) | instskip(SKIP_1) | instid1(VALU_DEP_1)
	v_mul_u32_u24_e32 v12, 0x10001, v12
	s_wait_dscnt 0x0
	v_pk_fma_f16 v8, v4, v12, v8
	v_pk_fma_f16 v6, v4, v10, v6
	;; [unrolled: 1-line block ×4, first 2 shown]
	v_dual_lshrrev_b32 v9, 16, v18 :: v_dual_lshrrev_b32 v10, 16, v19
	v_and_b32_e32 v11, 0xffff, v18
	v_and_b32_e32 v12, 0xffff, v19
	;; [unrolled: 1-line block ×3, first 2 shown]
	s_delay_alu instid0(VALU_DEP_4)
	v_mul_u32_u24_e32 v9, 0x10001, v9
	v_mul_u32_u24_e32 v10, 0x10001, v10
	;; [unrolled: 1-line block ×5, first 2 shown]
	v_pk_fma_f16 v6, v5, v9, v6
	v_pk_fma_f16 v9, v5, v10, v4
	;; [unrolled: 1-line block ×4, first 2 shown]
	ds_load_2addr_b32 v[4:5], v76 offset0:192 offset1:224
	v_dual_lshrrev_b32 v10, 16, v20 :: v_dual_lshrrev_b32 v11, 16, v21
	v_and_b32_e32 v12, 0xffff, v20
	s_delay_alu instid0(VALU_DEP_2) | instskip(NEXT) | instid1(VALU_DEP_3)
	v_mul_u32_u24_e32 v10, 0x10001, v10
	v_mul_u32_u24_e32 v11, 0x10001, v11
	s_delay_alu instid0(VALU_DEP_3) | instskip(SKIP_1) | instid1(VALU_DEP_1)
	v_mul_u32_u24_e32 v12, 0x10001, v12
	s_wait_dscnt 0x0
	v_pk_fma_f16 v8, v4, v12, v8
	v_pk_fma_f16 v6, v4, v10, v6
	v_pk_fma_f16 v7, v4, v13, v7
	v_pk_fma_f16 v4, v4, v11, v9
	v_dual_lshrrev_b32 v9, 16, v22 :: v_dual_lshrrev_b32 v10, 16, v23
	v_and_b32_e32 v11, 0xffff, v22
	v_and_b32_e32 v12, 0xffff, v23
	v_mov_b64_e32 v[20:21], v[24:25]
	s_delay_alu instid0(VALU_DEP_4)
	v_mul_u32_u24_e32 v9, 0x10001, v9
	v_mul_u32_u24_e32 v10, 0x10001, v10
	v_mul_u32_u24_e32 v11, 0x10001, v11
	v_mul_u32_u24_e32 v12, 0x10001, v12
	v_mov_b64_e32 v[22:23], v[26:27]
	v_pk_fma_f16 v14, v5, v9, v6
	v_add_nc_u32_e32 v6, 0x400, v76
	v_pk_fma_f16 v13, v5, v11, v8
	v_pk_fma_f16 v7, v5, v12, v7
	;; [unrolled: 1-line block ×3, first 2 shown]
	ds_load_2addr_b32 v[4:5], v6 offset1:32
	ds_load_b128 v[8:11], v28 offset:18496
	s_wait_dscnt 0x0
	v_dual_lshrrev_b32 v15, 16, v8 :: v_dual_lshrrev_b32 v16, 16, v9
	v_and_b32_e32 v8, 0xffff, v8
	v_and_b32_e32 v9, 0xffff, v9
	s_delay_alu instid0(VALU_DEP_3) | instskip(NEXT) | instid1(VALU_DEP_4)
	v_mul_u32_u24_e32 v15, 0x10001, v15
	v_mul_u32_u24_e32 v16, 0x10001, v16
	s_delay_alu instid0(VALU_DEP_4) | instskip(NEXT) | instid1(VALU_DEP_4)
	v_mul_u32_u24_e32 v8, 0x10001, v8
	v_mul_u32_u24_e32 v9, 0x10001, v9
	s_delay_alu instid0(VALU_DEP_2) | instskip(SKIP_1) | instid1(VALU_DEP_3)
	v_pk_fma_f16 v8, v4, v8, v13
	v_pk_fma_f16 v13, v4, v15, v14
	;; [unrolled: 1-line block ×4, first 2 shown]
	v_dual_lshrrev_b32 v9, 16, v10 :: v_dual_lshrrev_b32 v12, 16, v11
	v_and_b32_e32 v10, 0xffff, v10
	v_and_b32_e32 v11, 0xffff, v11
	s_delay_alu instid0(VALU_DEP_3) | instskip(NEXT) | instid1(VALU_DEP_4)
	v_mul_u32_u24_e32 v9, 0x10001, v9
	v_mul_u32_u24_e32 v12, 0x10001, v12
	s_delay_alu instid0(VALU_DEP_4) | instskip(NEXT) | instid1(VALU_DEP_4)
	v_mul_u32_u24_e32 v10, 0x10001, v10
	v_mul_u32_u24_e32 v11, 0x10001, v11
	s_delay_alu instid0(VALU_DEP_4) | instskip(NEXT) | instid1(VALU_DEP_4)
	v_pk_fma_f16 v13, v5, v9, v13
	v_pk_fma_f16 v12, v5, v12, v4
	s_delay_alu instid0(VALU_DEP_4) | instskip(NEXT) | instid1(VALU_DEP_4)
	v_pk_fma_f16 v14, v5, v10, v8
	v_pk_fma_f16 v7, v5, v11, v7
	ds_load_2addr_b32 v[4:5], v6 offset0:64 offset1:96
	ds_load_b128 v[8:11], v28 offset:18512
	s_wait_dscnt 0x0
	v_dual_lshrrev_b32 v15, 16, v8 :: v_dual_lshrrev_b32 v16, 16, v9
	v_and_b32_e32 v8, 0xffff, v8
	v_and_b32_e32 v9, 0xffff, v9
	s_delay_alu instid0(VALU_DEP_3) | instskip(NEXT) | instid1(VALU_DEP_4)
	v_mul_u32_u24_e32 v15, 0x10001, v15
	v_mul_u32_u24_e32 v16, 0x10001, v16
	s_delay_alu instid0(VALU_DEP_4) | instskip(NEXT) | instid1(VALU_DEP_4)
	v_mul_u32_u24_e32 v8, 0x10001, v8
	v_mul_u32_u24_e32 v9, 0x10001, v9
	s_delay_alu instid0(VALU_DEP_4) | instskip(NEXT) | instid1(VALU_DEP_3)
	v_pk_fma_f16 v13, v4, v15, v13
	v_pk_fma_f16 v8, v4, v8, v14
	s_delay_alu instid0(VALU_DEP_3) | instskip(SKIP_4) | instid1(VALU_DEP_3)
	v_pk_fma_f16 v7, v4, v9, v7
	v_pk_fma_f16 v4, v4, v16, v12
	v_dual_lshrrev_b32 v9, 16, v10 :: v_dual_lshrrev_b32 v12, 16, v11
	v_and_b32_e32 v10, 0xffff, v10
	v_and_b32_e32 v11, 0xffff, v11
	v_mul_u32_u24_e32 v9, 0x10001, v9
	s_delay_alu instid0(VALU_DEP_4) | instskip(NEXT) | instid1(VALU_DEP_4)
	v_mul_u32_u24_e32 v12, 0x10001, v12
	v_mul_u32_u24_e32 v10, 0x10001, v10
	s_delay_alu instid0(VALU_DEP_4) | instskip(NEXT) | instid1(VALU_DEP_4)
	v_mul_u32_u24_e32 v11, 0x10001, v11
	v_pk_fma_f16 v13, v5, v9, v13
	s_delay_alu instid0(VALU_DEP_4) | instskip(NEXT) | instid1(VALU_DEP_4)
	v_pk_fma_f16 v12, v5, v12, v4
	v_pk_fma_f16 v14, v5, v10, v8
	s_delay_alu instid0(VALU_DEP_4)
	v_pk_fma_f16 v7, v5, v11, v7
	ds_load_2addr_b32 v[4:5], v6 offset0:128 offset1:160
	ds_load_b128 v[8:11], v28 offset:18528
	s_wait_dscnt 0x0
	v_dual_lshrrev_b32 v15, 16, v8 :: v_dual_lshrrev_b32 v16, 16, v9
	v_and_b32_e32 v8, 0xffff, v8
	v_and_b32_e32 v9, 0xffff, v9
	s_delay_alu instid0(VALU_DEP_3) | instskip(NEXT) | instid1(VALU_DEP_4)
	v_mul_u32_u24_e32 v15, 0x10001, v15
	v_mul_u32_u24_e32 v16, 0x10001, v16
	s_delay_alu instid0(VALU_DEP_4) | instskip(NEXT) | instid1(VALU_DEP_4)
	v_mul_u32_u24_e32 v8, 0x10001, v8
	v_mul_u32_u24_e32 v9, 0x10001, v9
	s_delay_alu instid0(VALU_DEP_4) | instskip(NEXT) | instid1(VALU_DEP_3)
	v_pk_fma_f16 v13, v4, v15, v13
	v_pk_fma_f16 v8, v4, v8, v14
	s_delay_alu instid0(VALU_DEP_3) | instskip(SKIP_4) | instid1(VALU_DEP_3)
	v_pk_fma_f16 v7, v4, v9, v7
	v_pk_fma_f16 v4, v4, v16, v12
	v_dual_lshrrev_b32 v9, 16, v10 :: v_dual_lshrrev_b32 v12, 16, v11
	v_and_b32_e32 v10, 0xffff, v10
	v_and_b32_e32 v11, 0xffff, v11
	v_mul_u32_u24_e32 v9, 0x10001, v9
	s_delay_alu instid0(VALU_DEP_4) | instskip(NEXT) | instid1(VALU_DEP_4)
	v_mul_u32_u24_e32 v12, 0x10001, v12
	v_mul_u32_u24_e32 v10, 0x10001, v10
	s_delay_alu instid0(VALU_DEP_4) | instskip(NEXT) | instid1(VALU_DEP_4)
	v_mul_u32_u24_e32 v11, 0x10001, v11
	v_pk_fma_f16 v13, v5, v9, v13
	s_delay_alu instid0(VALU_DEP_4) | instskip(NEXT) | instid1(VALU_DEP_4)
	v_pk_fma_f16 v12, v5, v12, v4
	v_pk_fma_f16 v10, v5, v10, v8
	s_delay_alu instid0(VALU_DEP_4)
	v_pk_fma_f16 v11, v5, v11, v7
	ds_load_2addr_b32 v[8:9], v6 offset0:192 offset1:224
	ds_load_b128 v[4:7], v28 offset:18544
	s_wait_dscnt 0x0
	v_dual_lshrrev_b32 v14, 16, v4 :: v_dual_lshrrev_b32 v15, 16, v5
	v_and_b32_e32 v4, 0xffff, v4
	v_and_b32_e32 v5, 0xffff, v5
	s_delay_alu instid0(VALU_DEP_3) | instskip(NEXT) | instid1(VALU_DEP_4)
	v_mul_u32_u24_e32 v14, 0x10001, v14
	v_mul_u32_u24_e32 v15, 0x10001, v15
	s_delay_alu instid0(VALU_DEP_4) | instskip(NEXT) | instid1(VALU_DEP_4)
	v_mul_u32_u24_e32 v4, 0x10001, v4
	v_mul_u32_u24_e32 v5, 0x10001, v5
	s_delay_alu instid0(VALU_DEP_2) | instskip(SKIP_1) | instid1(VALU_DEP_3)
	v_pk_fma_f16 v4, v8, v4, v10
	v_pk_fma_f16 v10, v8, v14, v13
	;; [unrolled: 1-line block ×4, first 2 shown]
	v_dual_lshrrev_b32 v11, 16, v6 :: v_dual_lshrrev_b32 v12, 16, v7
	v_and_b32_e32 v6, 0xffff, v6
	v_and_b32_e32 v7, 0xffff, v7
	v_add_nc_u32_e32 v14, 0x800, v76
	s_delay_alu instid0(VALU_DEP_4) | instskip(SKIP_3) | instid1(VALU_DEP_4)
	v_mul_u32_u24_e32 v11, 0x10001, v11
	v_mul_u32_u24_e32 v12, 0x10001, v12
	;; [unrolled: 1-line block ×4, first 2 shown]
	v_pk_fma_f16 v10, v9, v11, v10
	s_delay_alu instid0(VALU_DEP_4) | instskip(NEXT) | instid1(VALU_DEP_4)
	v_pk_fma_f16 v12, v9, v12, v8
	v_pk_fma_f16 v13, v9, v6, v4
	s_delay_alu instid0(VALU_DEP_4)
	v_pk_fma_f16 v11, v9, v7, v5
	ds_load_2addr_b32 v[8:9], v14 offset1:32
	ds_load_b128 v[4:7], v28 offset:18560
	s_wait_dscnt 0x0
	v_dual_lshrrev_b32 v15, 16, v4 :: v_dual_lshrrev_b32 v16, 16, v5
	v_and_b32_e32 v4, 0xffff, v4
	v_and_b32_e32 v5, 0xffff, v5
	s_delay_alu instid0(VALU_DEP_3) | instskip(NEXT) | instid1(VALU_DEP_4)
	v_mul_u32_u24_e32 v15, 0x10001, v15
	v_mul_u32_u24_e32 v16, 0x10001, v16
	s_delay_alu instid0(VALU_DEP_4) | instskip(NEXT) | instid1(VALU_DEP_4)
	v_mul_u32_u24_e32 v4, 0x10001, v4
	v_mul_u32_u24_e32 v5, 0x10001, v5
	s_delay_alu instid0(VALU_DEP_4) | instskip(NEXT) | instid1(VALU_DEP_3)
	v_pk_fma_f16 v10, v8, v15, v10
	v_pk_fma_f16 v4, v8, v4, v13
	s_delay_alu instid0(VALU_DEP_3) | instskip(SKIP_4) | instid1(VALU_DEP_3)
	v_pk_fma_f16 v5, v8, v5, v11
	v_pk_fma_f16 v8, v8, v16, v12
	v_dual_lshrrev_b32 v11, 16, v6 :: v_dual_lshrrev_b32 v12, 16, v7
	v_and_b32_e32 v6, 0xffff, v6
	v_and_b32_e32 v7, 0xffff, v7
	v_mul_u32_u24_e32 v11, 0x10001, v11
	s_delay_alu instid0(VALU_DEP_4) | instskip(NEXT) | instid1(VALU_DEP_4)
	v_mul_u32_u24_e32 v12, 0x10001, v12
	v_mul_u32_u24_e32 v6, 0x10001, v6
	s_delay_alu instid0(VALU_DEP_4) | instskip(NEXT) | instid1(VALU_DEP_4)
	v_mul_u32_u24_e32 v7, 0x10001, v7
	v_pk_fma_f16 v10, v9, v11, v10
	s_delay_alu instid0(VALU_DEP_4) | instskip(NEXT) | instid1(VALU_DEP_4)
	v_pk_fma_f16 v12, v9, v12, v8
	v_pk_fma_f16 v13, v9, v6, v4
	s_delay_alu instid0(VALU_DEP_4)
	v_pk_fma_f16 v11, v9, v7, v5
	ds_load_2addr_b32 v[8:9], v14 offset0:64 offset1:96
	ds_load_b128 v[4:7], v28 offset:18576
	s_wait_dscnt 0x0
	v_dual_lshrrev_b32 v15, 16, v4 :: v_dual_lshrrev_b32 v16, 16, v5
	v_and_b32_e32 v4, 0xffff, v4
	v_and_b32_e32 v5, 0xffff, v5
	s_delay_alu instid0(VALU_DEP_3) | instskip(NEXT) | instid1(VALU_DEP_4)
	v_mul_u32_u24_e32 v15, 0x10001, v15
	v_mul_u32_u24_e32 v16, 0x10001, v16
	s_delay_alu instid0(VALU_DEP_4) | instskip(NEXT) | instid1(VALU_DEP_4)
	v_mul_u32_u24_e32 v4, 0x10001, v4
	v_mul_u32_u24_e32 v5, 0x10001, v5
	s_delay_alu instid0(VALU_DEP_4) | instskip(NEXT) | instid1(VALU_DEP_3)
	v_pk_fma_f16 v10, v8, v15, v10
	v_pk_fma_f16 v4, v8, v4, v13
	s_delay_alu instid0(VALU_DEP_3) | instskip(SKIP_4) | instid1(VALU_DEP_3)
	v_pk_fma_f16 v5, v8, v5, v11
	v_pk_fma_f16 v8, v8, v16, v12
	v_dual_lshrrev_b32 v11, 16, v6 :: v_dual_lshrrev_b32 v12, 16, v7
	v_and_b32_e32 v6, 0xffff, v6
	v_and_b32_e32 v7, 0xffff, v7
	v_mul_u32_u24_e32 v11, 0x10001, v11
	s_delay_alu instid0(VALU_DEP_4) | instskip(NEXT) | instid1(VALU_DEP_4)
	v_mul_u32_u24_e32 v12, 0x10001, v12
	v_mul_u32_u24_e32 v6, 0x10001, v6
	s_delay_alu instid0(VALU_DEP_4) | instskip(NEXT) | instid1(VALU_DEP_4)
	v_mul_u32_u24_e32 v7, 0x10001, v7
	v_pk_fma_f16 v10, v9, v11, v10
	s_delay_alu instid0(VALU_DEP_4) | instskip(NEXT) | instid1(VALU_DEP_4)
	v_pk_fma_f16 v12, v9, v12, v8
	v_pk_fma_f16 v13, v9, v6, v4
	s_delay_alu instid0(VALU_DEP_4)
	v_pk_fma_f16 v11, v9, v7, v5
	ds_load_2addr_b32 v[8:9], v14 offset0:128 offset1:160
	;; [unrolled: 33-line block ×3, first 2 shown]
	ds_load_b128 v[4:7], v28 offset:18608
	s_wait_dscnt 0x0
	v_dual_lshrrev_b32 v14, 16, v4 :: v_dual_lshrrev_b32 v15, 16, v5
	v_and_b32_e32 v5, 0xffff, v5
	v_and_b32_e32 v4, 0xffff, v4
	s_delay_alu instid0(VALU_DEP_3) | instskip(NEXT) | instid1(VALU_DEP_4)
	v_mul_u32_u24_e32 v14, 0x10001, v14
	v_mul_u32_u24_e32 v15, 0x10001, v15
	s_delay_alu instid0(VALU_DEP_4) | instskip(NEXT) | instid1(VALU_DEP_4)
	v_mul_u32_u24_e32 v5, 0x10001, v5
	v_mul_u32_u24_e32 v4, 0x10001, v4
	s_delay_alu instid0(VALU_DEP_4) | instskip(NEXT) | instid1(VALU_DEP_3)
	v_pk_fma_f16 v10, v8, v14, v10
	v_pk_fma_f16 v5, v8, v5, v11
	v_lshrrev_b32_e32 v11, 16, v6
	v_and_b32_e32 v6, 0xffff, v6
	v_pk_fma_f16 v4, v8, v4, v13
	v_pk_fma_f16 v8, v8, v15, v12
	v_lshrrev_b32_e32 v12, 16, v7
	v_and_b32_e32 v7, 0xffff, v7
	v_mul_u32_u24_e32 v6, 0x10001, v6
	v_mul_u32_u24_e32 v11, 0x10001, v11
	s_delay_alu instid0(VALU_DEP_4) | instskip(NEXT) | instid1(VALU_DEP_4)
	v_mul_u32_u24_e32 v12, 0x10001, v12
	v_mul_u32_u24_e32 v7, 0x10001, v7
	s_delay_alu instid0(VALU_DEP_4)
	v_pk_fma_f16 v13, v9, v6, v4
	v_add_nc_u32_e32 v6, 0xc00, v76
	v_pk_fma_f16 v14, v9, v11, v10
	v_pk_fma_f16 v12, v9, v12, v8
	;; [unrolled: 1-line block ×3, first 2 shown]
	ds_load_2addr_b32 v[4:5], v6 offset1:32
	ds_load_b128 v[8:11], v28 offset:18624
	s_wait_dscnt 0x0
	v_dual_lshrrev_b32 v15, 16, v8 :: v_dual_lshrrev_b32 v16, 16, v9
	v_and_b32_e32 v8, 0xffff, v8
	v_and_b32_e32 v9, 0xffff, v9
	s_delay_alu instid0(VALU_DEP_3) | instskip(NEXT) | instid1(VALU_DEP_4)
	v_mul_u32_u24_e32 v15, 0x10001, v15
	v_mul_u32_u24_e32 v16, 0x10001, v16
	s_delay_alu instid0(VALU_DEP_4) | instskip(NEXT) | instid1(VALU_DEP_4)
	v_mul_u32_u24_e32 v8, 0x10001, v8
	v_mul_u32_u24_e32 v9, 0x10001, v9
	s_delay_alu instid0(VALU_DEP_2) | instskip(SKIP_1) | instid1(VALU_DEP_3)
	v_pk_fma_f16 v8, v4, v8, v13
	v_pk_fma_f16 v13, v4, v15, v14
	;; [unrolled: 1-line block ×4, first 2 shown]
	v_dual_lshrrev_b32 v9, 16, v10 :: v_dual_lshrrev_b32 v12, 16, v11
	v_and_b32_e32 v10, 0xffff, v10
	v_and_b32_e32 v11, 0xffff, v11
	s_delay_alu instid0(VALU_DEP_3) | instskip(NEXT) | instid1(VALU_DEP_4)
	v_mul_u32_u24_e32 v9, 0x10001, v9
	v_mul_u32_u24_e32 v12, 0x10001, v12
	s_delay_alu instid0(VALU_DEP_4) | instskip(NEXT) | instid1(VALU_DEP_4)
	v_mul_u32_u24_e32 v10, 0x10001, v10
	v_mul_u32_u24_e32 v11, 0x10001, v11
	s_delay_alu instid0(VALU_DEP_4) | instskip(NEXT) | instid1(VALU_DEP_4)
	v_pk_fma_f16 v13, v5, v9, v13
	v_pk_fma_f16 v12, v5, v12, v4
	s_delay_alu instid0(VALU_DEP_4) | instskip(NEXT) | instid1(VALU_DEP_4)
	v_pk_fma_f16 v14, v5, v10, v8
	v_pk_fma_f16 v7, v5, v11, v7
	ds_load_2addr_b32 v[4:5], v6 offset0:64 offset1:96
	ds_load_b128 v[8:11], v28 offset:18640
	s_wait_dscnt 0x0
	v_dual_lshrrev_b32 v15, 16, v8 :: v_dual_lshrrev_b32 v16, 16, v9
	v_and_b32_e32 v8, 0xffff, v8
	v_and_b32_e32 v9, 0xffff, v9
	s_delay_alu instid0(VALU_DEP_3) | instskip(NEXT) | instid1(VALU_DEP_4)
	v_mul_u32_u24_e32 v15, 0x10001, v15
	v_mul_u32_u24_e32 v16, 0x10001, v16
	s_delay_alu instid0(VALU_DEP_4) | instskip(NEXT) | instid1(VALU_DEP_4)
	v_mul_u32_u24_e32 v8, 0x10001, v8
	v_mul_u32_u24_e32 v9, 0x10001, v9
	s_delay_alu instid0(VALU_DEP_4) | instskip(NEXT) | instid1(VALU_DEP_3)
	v_pk_fma_f16 v13, v4, v15, v13
	v_pk_fma_f16 v8, v4, v8, v14
	s_delay_alu instid0(VALU_DEP_3) | instskip(SKIP_4) | instid1(VALU_DEP_3)
	v_pk_fma_f16 v7, v4, v9, v7
	v_pk_fma_f16 v4, v4, v16, v12
	v_dual_lshrrev_b32 v9, 16, v10 :: v_dual_lshrrev_b32 v12, 16, v11
	v_and_b32_e32 v10, 0xffff, v10
	v_and_b32_e32 v11, 0xffff, v11
	v_mul_u32_u24_e32 v9, 0x10001, v9
	s_delay_alu instid0(VALU_DEP_4) | instskip(NEXT) | instid1(VALU_DEP_4)
	v_mul_u32_u24_e32 v12, 0x10001, v12
	v_mul_u32_u24_e32 v10, 0x10001, v10
	s_delay_alu instid0(VALU_DEP_4) | instskip(NEXT) | instid1(VALU_DEP_4)
	v_mul_u32_u24_e32 v11, 0x10001, v11
	v_pk_fma_f16 v13, v5, v9, v13
	s_delay_alu instid0(VALU_DEP_4) | instskip(NEXT) | instid1(VALU_DEP_4)
	v_pk_fma_f16 v12, v5, v12, v4
	v_pk_fma_f16 v14, v5, v10, v8
	s_delay_alu instid0(VALU_DEP_4)
	v_pk_fma_f16 v7, v5, v11, v7
	ds_load_2addr_b32 v[4:5], v6 offset0:128 offset1:160
	ds_load_b128 v[8:11], v28 offset:18656
	s_wait_dscnt 0x0
	v_dual_lshrrev_b32 v15, 16, v8 :: v_dual_lshrrev_b32 v16, 16, v9
	v_and_b32_e32 v8, 0xffff, v8
	v_and_b32_e32 v9, 0xffff, v9
	s_delay_alu instid0(VALU_DEP_3) | instskip(NEXT) | instid1(VALU_DEP_4)
	v_mul_u32_u24_e32 v15, 0x10001, v15
	v_mul_u32_u24_e32 v16, 0x10001, v16
	s_delay_alu instid0(VALU_DEP_4) | instskip(NEXT) | instid1(VALU_DEP_4)
	v_mul_u32_u24_e32 v8, 0x10001, v8
	v_mul_u32_u24_e32 v9, 0x10001, v9
	s_delay_alu instid0(VALU_DEP_4) | instskip(NEXT) | instid1(VALU_DEP_3)
	v_pk_fma_f16 v13, v4, v15, v13
	v_pk_fma_f16 v8, v4, v8, v14
	s_delay_alu instid0(VALU_DEP_3) | instskip(SKIP_4) | instid1(VALU_DEP_3)
	v_pk_fma_f16 v7, v4, v9, v7
	v_pk_fma_f16 v4, v4, v16, v12
	v_dual_lshrrev_b32 v9, 16, v10 :: v_dual_lshrrev_b32 v12, 16, v11
	v_and_b32_e32 v10, 0xffff, v10
	v_and_b32_e32 v11, 0xffff, v11
	v_mul_u32_u24_e32 v9, 0x10001, v9
	s_delay_alu instid0(VALU_DEP_4) | instskip(NEXT) | instid1(VALU_DEP_4)
	v_mul_u32_u24_e32 v12, 0x10001, v12
	v_mul_u32_u24_e32 v10, 0x10001, v10
	s_delay_alu instid0(VALU_DEP_4) | instskip(NEXT) | instid1(VALU_DEP_4)
	v_mul_u32_u24_e32 v11, 0x10001, v11
	v_pk_fma_f16 v13, v5, v9, v13
	s_delay_alu instid0(VALU_DEP_4) | instskip(NEXT) | instid1(VALU_DEP_4)
	v_pk_fma_f16 v12, v5, v12, v4
	v_pk_fma_f16 v10, v5, v10, v8
	s_delay_alu instid0(VALU_DEP_4)
	v_pk_fma_f16 v11, v5, v11, v7
	ds_load_2addr_b32 v[8:9], v6 offset0:192 offset1:224
	ds_load_b128 v[4:7], v28 offset:18672
	s_wait_dscnt 0x0
	v_dual_lshrrev_b32 v14, 16, v4 :: v_dual_lshrrev_b32 v15, 16, v5
	v_and_b32_e32 v4, 0xffff, v4
	v_and_b32_e32 v5, 0xffff, v5
	s_delay_alu instid0(VALU_DEP_3) | instskip(NEXT) | instid1(VALU_DEP_4)
	v_mul_u32_u24_e32 v14, 0x10001, v14
	v_mul_u32_u24_e32 v15, 0x10001, v15
	s_delay_alu instid0(VALU_DEP_4) | instskip(NEXT) | instid1(VALU_DEP_4)
	v_mul_u32_u24_e32 v4, 0x10001, v4
	v_mul_u32_u24_e32 v5, 0x10001, v5
	s_delay_alu instid0(VALU_DEP_2) | instskip(SKIP_1) | instid1(VALU_DEP_3)
	v_pk_fma_f16 v4, v8, v4, v10
	v_pk_fma_f16 v10, v8, v14, v13
	;; [unrolled: 1-line block ×4, first 2 shown]
	v_dual_lshrrev_b32 v11, 16, v6 :: v_dual_lshrrev_b32 v12, 16, v7
	v_and_b32_e32 v6, 0xffff, v6
	v_and_b32_e32 v7, 0xffff, v7
	v_add_nc_u32_e32 v14, 0x1000, v76
	s_delay_alu instid0(VALU_DEP_4) | instskip(SKIP_3) | instid1(VALU_DEP_4)
	v_mul_u32_u24_e32 v11, 0x10001, v11
	v_mul_u32_u24_e32 v12, 0x10001, v12
	;; [unrolled: 1-line block ×4, first 2 shown]
	v_pk_fma_f16 v10, v9, v11, v10
	s_delay_alu instid0(VALU_DEP_4) | instskip(NEXT) | instid1(VALU_DEP_4)
	v_pk_fma_f16 v12, v9, v12, v8
	v_pk_fma_f16 v13, v9, v6, v4
	s_delay_alu instid0(VALU_DEP_4)
	v_pk_fma_f16 v11, v9, v7, v5
	ds_load_2addr_b32 v[8:9], v14 offset1:32
	ds_load_b128 v[4:7], v28 offset:18688
	s_wait_dscnt 0x0
	v_dual_lshrrev_b32 v15, 16, v4 :: v_dual_lshrrev_b32 v16, 16, v5
	v_and_b32_e32 v4, 0xffff, v4
	v_and_b32_e32 v5, 0xffff, v5
	s_delay_alu instid0(VALU_DEP_3) | instskip(NEXT) | instid1(VALU_DEP_4)
	v_mul_u32_u24_e32 v15, 0x10001, v15
	v_mul_u32_u24_e32 v16, 0x10001, v16
	s_delay_alu instid0(VALU_DEP_4) | instskip(NEXT) | instid1(VALU_DEP_4)
	v_mul_u32_u24_e32 v4, 0x10001, v4
	v_mul_u32_u24_e32 v5, 0x10001, v5
	s_delay_alu instid0(VALU_DEP_4) | instskip(NEXT) | instid1(VALU_DEP_3)
	v_pk_fma_f16 v10, v8, v15, v10
	v_pk_fma_f16 v4, v8, v4, v13
	s_delay_alu instid0(VALU_DEP_3) | instskip(SKIP_4) | instid1(VALU_DEP_3)
	v_pk_fma_f16 v5, v8, v5, v11
	v_pk_fma_f16 v8, v8, v16, v12
	v_dual_lshrrev_b32 v11, 16, v6 :: v_dual_lshrrev_b32 v12, 16, v7
	v_and_b32_e32 v6, 0xffff, v6
	v_and_b32_e32 v7, 0xffff, v7
	v_mul_u32_u24_e32 v11, 0x10001, v11
	s_delay_alu instid0(VALU_DEP_4) | instskip(NEXT) | instid1(VALU_DEP_4)
	v_mul_u32_u24_e32 v12, 0x10001, v12
	v_mul_u32_u24_e32 v6, 0x10001, v6
	s_delay_alu instid0(VALU_DEP_4) | instskip(NEXT) | instid1(VALU_DEP_4)
	v_mul_u32_u24_e32 v7, 0x10001, v7
	v_pk_fma_f16 v10, v9, v11, v10
	s_delay_alu instid0(VALU_DEP_4) | instskip(NEXT) | instid1(VALU_DEP_4)
	v_pk_fma_f16 v12, v9, v12, v8
	v_pk_fma_f16 v13, v9, v6, v4
	s_delay_alu instid0(VALU_DEP_4)
	v_pk_fma_f16 v11, v9, v7, v5
	ds_load_2addr_b32 v[8:9], v14 offset0:64 offset1:96
	ds_load_b128 v[4:7], v28 offset:18704
	s_wait_dscnt 0x0
	v_dual_lshrrev_b32 v15, 16, v4 :: v_dual_lshrrev_b32 v16, 16, v5
	v_and_b32_e32 v4, 0xffff, v4
	v_and_b32_e32 v5, 0xffff, v5
	s_delay_alu instid0(VALU_DEP_3) | instskip(NEXT) | instid1(VALU_DEP_4)
	v_mul_u32_u24_e32 v15, 0x10001, v15
	v_mul_u32_u24_e32 v16, 0x10001, v16
	s_delay_alu instid0(VALU_DEP_4) | instskip(NEXT) | instid1(VALU_DEP_4)
	v_mul_u32_u24_e32 v4, 0x10001, v4
	v_mul_u32_u24_e32 v5, 0x10001, v5
	s_delay_alu instid0(VALU_DEP_4) | instskip(NEXT) | instid1(VALU_DEP_3)
	v_pk_fma_f16 v10, v8, v15, v10
	v_pk_fma_f16 v4, v8, v4, v13
	s_delay_alu instid0(VALU_DEP_3) | instskip(SKIP_4) | instid1(VALU_DEP_3)
	v_pk_fma_f16 v5, v8, v5, v11
	v_pk_fma_f16 v8, v8, v16, v12
	v_dual_lshrrev_b32 v11, 16, v6 :: v_dual_lshrrev_b32 v12, 16, v7
	v_and_b32_e32 v6, 0xffff, v6
	v_and_b32_e32 v7, 0xffff, v7
	v_mul_u32_u24_e32 v11, 0x10001, v11
	s_delay_alu instid0(VALU_DEP_4) | instskip(NEXT) | instid1(VALU_DEP_4)
	v_mul_u32_u24_e32 v12, 0x10001, v12
	v_mul_u32_u24_e32 v6, 0x10001, v6
	s_delay_alu instid0(VALU_DEP_4) | instskip(NEXT) | instid1(VALU_DEP_4)
	v_mul_u32_u24_e32 v7, 0x10001, v7
	v_pk_fma_f16 v10, v9, v11, v10
	s_delay_alu instid0(VALU_DEP_4) | instskip(NEXT) | instid1(VALU_DEP_4)
	v_pk_fma_f16 v12, v9, v12, v8
	v_pk_fma_f16 v13, v9, v6, v4
	s_delay_alu instid0(VALU_DEP_4)
	v_pk_fma_f16 v11, v9, v7, v5
	ds_load_2addr_b32 v[8:9], v14 offset0:128 offset1:160
	;; [unrolled: 33-line block ×3, first 2 shown]
	ds_load_b128 v[4:7], v28 offset:18736
	s_wait_dscnt 0x0
	v_dual_lshrrev_b32 v14, 16, v4 :: v_dual_lshrrev_b32 v15, 16, v5
	v_and_b32_e32 v4, 0xffff, v4
	v_and_b32_e32 v5, 0xffff, v5
	s_delay_alu instid0(VALU_DEP_3) | instskip(NEXT) | instid1(VALU_DEP_4)
	v_mul_u32_u24_e32 v14, 0x10001, v14
	v_mul_u32_u24_e32 v15, 0x10001, v15
	s_delay_alu instid0(VALU_DEP_4) | instskip(NEXT) | instid1(VALU_DEP_4)
	v_mul_u32_u24_e32 v4, 0x10001, v4
	v_mul_u32_u24_e32 v5, 0x10001, v5
	s_delay_alu instid0(VALU_DEP_4) | instskip(SKIP_1) | instid1(VALU_DEP_4)
	v_pk_fma_f16 v10, v8, v14, v10
	v_add_nc_u32_e32 v14, 0x1400, v76
	v_pk_fma_f16 v4, v8, v4, v13
	s_delay_alu instid0(VALU_DEP_4) | instskip(SKIP_4) | instid1(VALU_DEP_3)
	v_pk_fma_f16 v5, v8, v5, v11
	v_pk_fma_f16 v8, v8, v15, v12
	v_dual_lshrrev_b32 v11, 16, v6 :: v_dual_lshrrev_b32 v12, 16, v7
	v_and_b32_e32 v6, 0xffff, v6
	v_and_b32_e32 v7, 0xffff, v7
	v_mul_u32_u24_e32 v11, 0x10001, v11
	s_delay_alu instid0(VALU_DEP_4) | instskip(NEXT) | instid1(VALU_DEP_4)
	v_mul_u32_u24_e32 v12, 0x10001, v12
	v_mul_u32_u24_e32 v6, 0x10001, v6
	s_delay_alu instid0(VALU_DEP_4) | instskip(NEXT) | instid1(VALU_DEP_4)
	v_mul_u32_u24_e32 v7, 0x10001, v7
	v_pk_fma_f16 v10, v9, v11, v10
	s_delay_alu instid0(VALU_DEP_4) | instskip(NEXT) | instid1(VALU_DEP_4)
	v_pk_fma_f16 v12, v9, v12, v8
	v_pk_fma_f16 v13, v9, v6, v4
	s_delay_alu instid0(VALU_DEP_4)
	v_pk_fma_f16 v11, v9, v7, v5
	ds_load_2addr_b32 v[8:9], v14 offset1:32
	ds_load_b128 v[4:7], v28 offset:18752
	s_wait_dscnt 0x0
	v_dual_lshrrev_b32 v15, 16, v4 :: v_dual_lshrrev_b32 v16, 16, v5
	v_and_b32_e32 v4, 0xffff, v4
	v_and_b32_e32 v5, 0xffff, v5
	s_delay_alu instid0(VALU_DEP_3) | instskip(NEXT) | instid1(VALU_DEP_4)
	v_mul_u32_u24_e32 v15, 0x10001, v15
	v_mul_u32_u24_e32 v16, 0x10001, v16
	s_delay_alu instid0(VALU_DEP_4) | instskip(NEXT) | instid1(VALU_DEP_4)
	v_mul_u32_u24_e32 v4, 0x10001, v4
	v_mul_u32_u24_e32 v5, 0x10001, v5
	s_delay_alu instid0(VALU_DEP_4) | instskip(NEXT) | instid1(VALU_DEP_3)
	v_pk_fma_f16 v10, v8, v15, v10
	v_pk_fma_f16 v4, v8, v4, v13
	s_delay_alu instid0(VALU_DEP_3) | instskip(SKIP_4) | instid1(VALU_DEP_3)
	v_pk_fma_f16 v5, v8, v5, v11
	v_pk_fma_f16 v8, v8, v16, v12
	v_dual_lshrrev_b32 v11, 16, v6 :: v_dual_lshrrev_b32 v12, 16, v7
	v_and_b32_e32 v6, 0xffff, v6
	v_and_b32_e32 v7, 0xffff, v7
	v_mul_u32_u24_e32 v11, 0x10001, v11
	s_delay_alu instid0(VALU_DEP_4) | instskip(NEXT) | instid1(VALU_DEP_4)
	v_mul_u32_u24_e32 v12, 0x10001, v12
	v_mul_u32_u24_e32 v6, 0x10001, v6
	s_delay_alu instid0(VALU_DEP_4) | instskip(NEXT) | instid1(VALU_DEP_4)
	v_mul_u32_u24_e32 v7, 0x10001, v7
	v_pk_fma_f16 v10, v9, v11, v10
	s_delay_alu instid0(VALU_DEP_4) | instskip(NEXT) | instid1(VALU_DEP_4)
	v_pk_fma_f16 v12, v9, v12, v8
	v_pk_fma_f16 v13, v9, v6, v4
	s_delay_alu instid0(VALU_DEP_4)
	v_pk_fma_f16 v11, v9, v7, v5
	ds_load_2addr_b32 v[8:9], v14 offset0:64 offset1:96
	ds_load_b128 v[4:7], v28 offset:18768
	s_wait_dscnt 0x0
	v_dual_lshrrev_b32 v15, 16, v4 :: v_dual_lshrrev_b32 v16, 16, v5
	v_and_b32_e32 v4, 0xffff, v4
	v_and_b32_e32 v5, 0xffff, v5
	s_delay_alu instid0(VALU_DEP_3) | instskip(NEXT) | instid1(VALU_DEP_4)
	v_mul_u32_u24_e32 v15, 0x10001, v15
	v_mul_u32_u24_e32 v16, 0x10001, v16
	s_delay_alu instid0(VALU_DEP_4) | instskip(NEXT) | instid1(VALU_DEP_4)
	v_mul_u32_u24_e32 v4, 0x10001, v4
	v_mul_u32_u24_e32 v5, 0x10001, v5
	s_delay_alu instid0(VALU_DEP_4) | instskip(NEXT) | instid1(VALU_DEP_3)
	v_pk_fma_f16 v10, v8, v15, v10
	v_pk_fma_f16 v4, v8, v4, v13
	s_delay_alu instid0(VALU_DEP_3) | instskip(SKIP_4) | instid1(VALU_DEP_3)
	v_pk_fma_f16 v5, v8, v5, v11
	v_pk_fma_f16 v8, v8, v16, v12
	v_dual_lshrrev_b32 v11, 16, v6 :: v_dual_lshrrev_b32 v12, 16, v7
	v_and_b32_e32 v6, 0xffff, v6
	v_and_b32_e32 v7, 0xffff, v7
	v_mul_u32_u24_e32 v11, 0x10001, v11
	s_delay_alu instid0(VALU_DEP_4) | instskip(NEXT) | instid1(VALU_DEP_4)
	v_mul_u32_u24_e32 v12, 0x10001, v12
	v_mul_u32_u24_e32 v6, 0x10001, v6
	s_delay_alu instid0(VALU_DEP_4) | instskip(NEXT) | instid1(VALU_DEP_4)
	v_mul_u32_u24_e32 v7, 0x10001, v7
	v_pk_fma_f16 v10, v9, v11, v10
	s_delay_alu instid0(VALU_DEP_4) | instskip(NEXT) | instid1(VALU_DEP_4)
	v_pk_fma_f16 v12, v9, v12, v8
	v_pk_fma_f16 v13, v9, v6, v4
	s_delay_alu instid0(VALU_DEP_4)
	v_pk_fma_f16 v11, v9, v7, v5
	ds_load_2addr_b32 v[8:9], v14 offset0:128 offset1:160
	;; [unrolled: 33-line block ×3, first 2 shown]
	ds_load_b128 v[4:7], v28 offset:18800
	s_wait_dscnt 0x0
	v_dual_lshrrev_b32 v14, 16, v4 :: v_dual_lshrrev_b32 v15, 16, v5
	v_and_b32_e32 v4, 0xffff, v4
	v_and_b32_e32 v5, 0xffff, v5
	s_delay_alu instid0(VALU_DEP_3) | instskip(NEXT) | instid1(VALU_DEP_4)
	v_mul_u32_u24_e32 v14, 0x10001, v14
	v_mul_u32_u24_e32 v15, 0x10001, v15
	s_delay_alu instid0(VALU_DEP_4) | instskip(NEXT) | instid1(VALU_DEP_4)
	v_mul_u32_u24_e32 v4, 0x10001, v4
	v_mul_u32_u24_e32 v5, 0x10001, v5
	s_delay_alu instid0(VALU_DEP_4) | instskip(SKIP_1) | instid1(VALU_DEP_4)
	v_pk_fma_f16 v10, v8, v14, v10
	v_add_nc_u32_e32 v14, 0x1800, v76
	v_pk_fma_f16 v4, v8, v4, v13
	s_delay_alu instid0(VALU_DEP_4) | instskip(SKIP_4) | instid1(VALU_DEP_3)
	v_pk_fma_f16 v5, v8, v5, v11
	v_pk_fma_f16 v8, v8, v15, v12
	v_dual_lshrrev_b32 v11, 16, v6 :: v_dual_lshrrev_b32 v12, 16, v7
	v_and_b32_e32 v6, 0xffff, v6
	v_and_b32_e32 v7, 0xffff, v7
	v_mul_u32_u24_e32 v11, 0x10001, v11
	s_delay_alu instid0(VALU_DEP_4) | instskip(NEXT) | instid1(VALU_DEP_4)
	v_mul_u32_u24_e32 v12, 0x10001, v12
	v_mul_u32_u24_e32 v6, 0x10001, v6
	s_delay_alu instid0(VALU_DEP_4) | instskip(NEXT) | instid1(VALU_DEP_4)
	v_mul_u32_u24_e32 v7, 0x10001, v7
	v_pk_fma_f16 v10, v9, v11, v10
	s_delay_alu instid0(VALU_DEP_4) | instskip(NEXT) | instid1(VALU_DEP_4)
	v_pk_fma_f16 v12, v9, v12, v8
	v_pk_fma_f16 v13, v9, v6, v4
	s_delay_alu instid0(VALU_DEP_4)
	v_pk_fma_f16 v11, v9, v7, v5
	ds_load_2addr_b32 v[8:9], v14 offset1:32
	ds_load_b128 v[4:7], v28 offset:18816
	s_wait_dscnt 0x0
	v_dual_lshrrev_b32 v15, 16, v4 :: v_dual_lshrrev_b32 v16, 16, v5
	v_and_b32_e32 v4, 0xffff, v4
	v_and_b32_e32 v5, 0xffff, v5
	s_delay_alu instid0(VALU_DEP_3) | instskip(NEXT) | instid1(VALU_DEP_4)
	v_mul_u32_u24_e32 v15, 0x10001, v15
	v_mul_u32_u24_e32 v16, 0x10001, v16
	s_delay_alu instid0(VALU_DEP_4) | instskip(NEXT) | instid1(VALU_DEP_4)
	v_mul_u32_u24_e32 v4, 0x10001, v4
	v_mul_u32_u24_e32 v5, 0x10001, v5
	s_delay_alu instid0(VALU_DEP_4) | instskip(NEXT) | instid1(VALU_DEP_3)
	v_pk_fma_f16 v10, v8, v15, v10
	v_pk_fma_f16 v4, v8, v4, v13
	s_delay_alu instid0(VALU_DEP_3) | instskip(SKIP_4) | instid1(VALU_DEP_3)
	v_pk_fma_f16 v5, v8, v5, v11
	v_pk_fma_f16 v8, v8, v16, v12
	v_dual_lshrrev_b32 v11, 16, v6 :: v_dual_lshrrev_b32 v12, 16, v7
	v_and_b32_e32 v6, 0xffff, v6
	v_and_b32_e32 v7, 0xffff, v7
	v_mul_u32_u24_e32 v11, 0x10001, v11
	s_delay_alu instid0(VALU_DEP_4) | instskip(NEXT) | instid1(VALU_DEP_4)
	v_mul_u32_u24_e32 v12, 0x10001, v12
	v_mul_u32_u24_e32 v6, 0x10001, v6
	s_delay_alu instid0(VALU_DEP_4) | instskip(NEXT) | instid1(VALU_DEP_4)
	v_mul_u32_u24_e32 v7, 0x10001, v7
	v_pk_fma_f16 v10, v9, v11, v10
	s_delay_alu instid0(VALU_DEP_4) | instskip(NEXT) | instid1(VALU_DEP_4)
	v_pk_fma_f16 v12, v9, v12, v8
	v_pk_fma_f16 v13, v9, v6, v4
	s_delay_alu instid0(VALU_DEP_4)
	v_pk_fma_f16 v11, v9, v7, v5
	ds_load_2addr_b32 v[8:9], v14 offset0:64 offset1:96
	ds_load_b128 v[4:7], v28 offset:18832
	s_wait_dscnt 0x0
	v_dual_lshrrev_b32 v15, 16, v4 :: v_dual_lshrrev_b32 v16, 16, v5
	v_and_b32_e32 v4, 0xffff, v4
	v_and_b32_e32 v5, 0xffff, v5
	s_delay_alu instid0(VALU_DEP_3) | instskip(NEXT) | instid1(VALU_DEP_4)
	v_mul_u32_u24_e32 v15, 0x10001, v15
	v_mul_u32_u24_e32 v16, 0x10001, v16
	s_delay_alu instid0(VALU_DEP_4) | instskip(NEXT) | instid1(VALU_DEP_4)
	v_mul_u32_u24_e32 v4, 0x10001, v4
	v_mul_u32_u24_e32 v5, 0x10001, v5
	s_delay_alu instid0(VALU_DEP_4) | instskip(NEXT) | instid1(VALU_DEP_3)
	v_pk_fma_f16 v10, v8, v15, v10
	v_pk_fma_f16 v4, v8, v4, v13
	s_delay_alu instid0(VALU_DEP_3) | instskip(SKIP_4) | instid1(VALU_DEP_3)
	v_pk_fma_f16 v5, v8, v5, v11
	v_pk_fma_f16 v8, v8, v16, v12
	v_dual_lshrrev_b32 v11, 16, v6 :: v_dual_lshrrev_b32 v12, 16, v7
	v_and_b32_e32 v6, 0xffff, v6
	v_and_b32_e32 v7, 0xffff, v7
	v_mul_u32_u24_e32 v11, 0x10001, v11
	s_delay_alu instid0(VALU_DEP_4) | instskip(NEXT) | instid1(VALU_DEP_4)
	v_mul_u32_u24_e32 v12, 0x10001, v12
	v_mul_u32_u24_e32 v6, 0x10001, v6
	s_delay_alu instid0(VALU_DEP_4) | instskip(NEXT) | instid1(VALU_DEP_4)
	v_mul_u32_u24_e32 v7, 0x10001, v7
	v_pk_fma_f16 v10, v9, v11, v10
	s_delay_alu instid0(VALU_DEP_4) | instskip(NEXT) | instid1(VALU_DEP_4)
	v_pk_fma_f16 v12, v9, v12, v8
	v_pk_fma_f16 v13, v9, v6, v4
	s_delay_alu instid0(VALU_DEP_4)
	v_pk_fma_f16 v11, v9, v7, v5
	ds_load_2addr_b32 v[8:9], v14 offset0:128 offset1:160
	;; [unrolled: 33-line block ×3, first 2 shown]
	ds_load_b128 v[4:7], v28 offset:18864
	s_wait_dscnt 0x0
	v_dual_lshrrev_b32 v14, 16, v4 :: v_dual_lshrrev_b32 v15, 16, v5
	v_and_b32_e32 v4, 0xffff, v4
	v_and_b32_e32 v5, 0xffff, v5
	s_delay_alu instid0(VALU_DEP_3) | instskip(NEXT) | instid1(VALU_DEP_4)
	v_mul_u32_u24_e32 v14, 0x10001, v14
	v_mul_u32_u24_e32 v15, 0x10001, v15
	s_delay_alu instid0(VALU_DEP_4) | instskip(NEXT) | instid1(VALU_DEP_4)
	v_mul_u32_u24_e32 v4, 0x10001, v4
	v_mul_u32_u24_e32 v5, 0x10001, v5
	s_delay_alu instid0(VALU_DEP_4) | instskip(SKIP_1) | instid1(VALU_DEP_4)
	v_pk_fma_f16 v10, v8, v14, v10
	v_add_nc_u32_e32 v14, 0x1c00, v76
	v_pk_fma_f16 v4, v8, v4, v13
	s_delay_alu instid0(VALU_DEP_4) | instskip(SKIP_4) | instid1(VALU_DEP_3)
	v_pk_fma_f16 v5, v8, v5, v11
	v_pk_fma_f16 v8, v8, v15, v12
	v_dual_lshrrev_b32 v11, 16, v6 :: v_dual_lshrrev_b32 v12, 16, v7
	v_and_b32_e32 v6, 0xffff, v6
	v_and_b32_e32 v7, 0xffff, v7
	v_mul_u32_u24_e32 v11, 0x10001, v11
	s_delay_alu instid0(VALU_DEP_4) | instskip(NEXT) | instid1(VALU_DEP_4)
	v_mul_u32_u24_e32 v12, 0x10001, v12
	v_mul_u32_u24_e32 v6, 0x10001, v6
	s_delay_alu instid0(VALU_DEP_4) | instskip(NEXT) | instid1(VALU_DEP_4)
	v_mul_u32_u24_e32 v7, 0x10001, v7
	v_pk_fma_f16 v10, v9, v11, v10
	s_delay_alu instid0(VALU_DEP_4) | instskip(NEXT) | instid1(VALU_DEP_4)
	v_pk_fma_f16 v12, v9, v12, v8
	v_pk_fma_f16 v13, v9, v6, v4
	s_delay_alu instid0(VALU_DEP_4)
	v_pk_fma_f16 v11, v9, v7, v5
	ds_load_2addr_b32 v[8:9], v14 offset1:32
	ds_load_b128 v[4:7], v28 offset:18880
	s_wait_dscnt 0x0
	v_dual_lshrrev_b32 v15, 16, v4 :: v_dual_lshrrev_b32 v16, 16, v5
	v_and_b32_e32 v4, 0xffff, v4
	v_and_b32_e32 v5, 0xffff, v5
	s_delay_alu instid0(VALU_DEP_3) | instskip(NEXT) | instid1(VALU_DEP_4)
	v_mul_u32_u24_e32 v15, 0x10001, v15
	v_mul_u32_u24_e32 v16, 0x10001, v16
	s_delay_alu instid0(VALU_DEP_4) | instskip(NEXT) | instid1(VALU_DEP_4)
	v_mul_u32_u24_e32 v4, 0x10001, v4
	v_mul_u32_u24_e32 v5, 0x10001, v5
	s_delay_alu instid0(VALU_DEP_4) | instskip(NEXT) | instid1(VALU_DEP_3)
	v_pk_fma_f16 v10, v8, v15, v10
	v_pk_fma_f16 v4, v8, v4, v13
	s_delay_alu instid0(VALU_DEP_3) | instskip(SKIP_4) | instid1(VALU_DEP_3)
	v_pk_fma_f16 v5, v8, v5, v11
	v_pk_fma_f16 v8, v8, v16, v12
	v_dual_lshrrev_b32 v11, 16, v6 :: v_dual_lshrrev_b32 v12, 16, v7
	v_and_b32_e32 v6, 0xffff, v6
	v_and_b32_e32 v7, 0xffff, v7
	v_mul_u32_u24_e32 v11, 0x10001, v11
	s_delay_alu instid0(VALU_DEP_4) | instskip(NEXT) | instid1(VALU_DEP_4)
	v_mul_u32_u24_e32 v12, 0x10001, v12
	v_mul_u32_u24_e32 v6, 0x10001, v6
	s_delay_alu instid0(VALU_DEP_4) | instskip(NEXT) | instid1(VALU_DEP_4)
	v_mul_u32_u24_e32 v7, 0x10001, v7
	v_pk_fma_f16 v10, v9, v11, v10
	s_delay_alu instid0(VALU_DEP_4) | instskip(NEXT) | instid1(VALU_DEP_4)
	v_pk_fma_f16 v12, v9, v12, v8
	v_pk_fma_f16 v13, v9, v6, v4
	s_delay_alu instid0(VALU_DEP_4)
	v_pk_fma_f16 v11, v9, v7, v5
	ds_load_2addr_b32 v[8:9], v14 offset0:64 offset1:96
	ds_load_b128 v[4:7], v28 offset:18896
	s_wait_dscnt 0x0
	v_dual_lshrrev_b32 v15, 16, v4 :: v_dual_lshrrev_b32 v16, 16, v5
	v_and_b32_e32 v4, 0xffff, v4
	v_and_b32_e32 v5, 0xffff, v5
	s_delay_alu instid0(VALU_DEP_3) | instskip(NEXT) | instid1(VALU_DEP_4)
	v_mul_u32_u24_e32 v15, 0x10001, v15
	v_mul_u32_u24_e32 v16, 0x10001, v16
	s_delay_alu instid0(VALU_DEP_4) | instskip(NEXT) | instid1(VALU_DEP_4)
	v_mul_u32_u24_e32 v4, 0x10001, v4
	v_mul_u32_u24_e32 v5, 0x10001, v5
	s_delay_alu instid0(VALU_DEP_4) | instskip(NEXT) | instid1(VALU_DEP_3)
	v_pk_fma_f16 v10, v8, v15, v10
	v_pk_fma_f16 v4, v8, v4, v13
	s_delay_alu instid0(VALU_DEP_3) | instskip(SKIP_4) | instid1(VALU_DEP_3)
	v_pk_fma_f16 v5, v8, v5, v11
	v_pk_fma_f16 v8, v8, v16, v12
	v_dual_lshrrev_b32 v11, 16, v6 :: v_dual_lshrrev_b32 v12, 16, v7
	v_and_b32_e32 v6, 0xffff, v6
	v_and_b32_e32 v7, 0xffff, v7
	v_mul_u32_u24_e32 v11, 0x10001, v11
	s_delay_alu instid0(VALU_DEP_4) | instskip(NEXT) | instid1(VALU_DEP_4)
	v_mul_u32_u24_e32 v12, 0x10001, v12
	v_mul_u32_u24_e32 v6, 0x10001, v6
	s_delay_alu instid0(VALU_DEP_4) | instskip(NEXT) | instid1(VALU_DEP_4)
	v_mul_u32_u24_e32 v7, 0x10001, v7
	v_pk_fma_f16 v10, v9, v11, v10
	s_delay_alu instid0(VALU_DEP_4) | instskip(NEXT) | instid1(VALU_DEP_4)
	v_pk_fma_f16 v12, v9, v12, v8
	v_pk_fma_f16 v13, v9, v6, v4
	s_delay_alu instid0(VALU_DEP_4)
	v_pk_fma_f16 v11, v9, v7, v5
	ds_load_2addr_b32 v[8:9], v14 offset0:128 offset1:160
	;; [unrolled: 33-line block ×3, first 2 shown]
	ds_load_b128 v[4:7], v28 offset:18928
	s_wait_dscnt 0x0
	v_dual_lshrrev_b32 v14, 16, v4 :: v_dual_lshrrev_b32 v15, 16, v5
	v_and_b32_e32 v5, 0xffff, v5
	v_and_b32_e32 v4, 0xffff, v4
	s_delay_alu instid0(VALU_DEP_3) | instskip(NEXT) | instid1(VALU_DEP_4)
	v_mul_u32_u24_e32 v14, 0x10001, v14
	v_mul_u32_u24_e32 v15, 0x10001, v15
	s_delay_alu instid0(VALU_DEP_4) | instskip(NEXT) | instid1(VALU_DEP_4)
	v_mul_u32_u24_e32 v5, 0x10001, v5
	v_mul_u32_u24_e32 v4, 0x10001, v4
	s_delay_alu instid0(VALU_DEP_4) | instskip(NEXT) | instid1(VALU_DEP_3)
	v_pk_fma_f16 v10, v8, v14, v10
	v_pk_fma_f16 v5, v8, v5, v11
	v_lshrrev_b32_e32 v11, 16, v6
	v_and_b32_e32 v6, 0xffff, v6
	v_pk_fma_f16 v4, v8, v4, v13
	v_pk_fma_f16 v8, v8, v15, v12
	v_lshrrev_b32_e32 v12, 16, v7
	v_and_b32_e32 v7, 0xffff, v7
	v_mul_u32_u24_e32 v6, 0x10001, v6
	v_mul_u32_u24_e32 v11, 0x10001, v11
	s_delay_alu instid0(VALU_DEP_4) | instskip(NEXT) | instid1(VALU_DEP_4)
	v_mul_u32_u24_e32 v12, 0x10001, v12
	v_mul_u32_u24_e32 v7, 0x10001, v7
	s_delay_alu instid0(VALU_DEP_4)
	v_pk_fma_f16 v13, v9, v6, v4
	v_add_nc_u32_e32 v4, 0x2000, v76
	v_pk_fma_f16 v14, v9, v11, v10
	v_pk_fma_f16 v12, v9, v12, v8
	v_pk_fma_f16 v5, v9, v7, v5
	ds_load_2addr_b32 v[10:11], v4 offset1:32
	ds_load_b128 v[6:9], v28 offset:18944
	s_wait_dscnt 0x0
	v_dual_lshrrev_b32 v15, 16, v6 :: v_dual_lshrrev_b32 v16, 16, v7
	v_and_b32_e32 v6, 0xffff, v6
	v_and_b32_e32 v7, 0xffff, v7
	s_delay_alu instid0(VALU_DEP_3) | instskip(NEXT) | instid1(VALU_DEP_4)
	v_mul_u32_u24_e32 v15, 0x10001, v15
	v_mul_u32_u24_e32 v16, 0x10001, v16
	s_delay_alu instid0(VALU_DEP_4) | instskip(NEXT) | instid1(VALU_DEP_4)
	v_mul_u32_u24_e32 v6, 0x10001, v6
	v_mul_u32_u24_e32 v7, 0x10001, v7
	s_delay_alu instid0(VALU_DEP_2) | instskip(SKIP_1) | instid1(VALU_DEP_3)
	v_pk_fma_f16 v6, v10, v6, v13
	v_pk_fma_f16 v13, v10, v15, v14
	;; [unrolled: 1-line block ×4, first 2 shown]
	v_dual_lshrrev_b32 v10, 16, v8 :: v_dual_lshrrev_b32 v12, 16, v9
	v_and_b32_e32 v8, 0xffff, v8
	v_and_b32_e32 v9, 0xffff, v9
	s_delay_alu instid0(VALU_DEP_3) | instskip(NEXT) | instid1(VALU_DEP_4)
	v_mul_u32_u24_e32 v10, 0x10001, v10
	v_mul_u32_u24_e32 v12, 0x10001, v12
	s_delay_alu instid0(VALU_DEP_4) | instskip(NEXT) | instid1(VALU_DEP_4)
	v_mul_u32_u24_e32 v8, 0x10001, v8
	v_mul_u32_u24_e32 v9, 0x10001, v9
	s_delay_alu instid0(VALU_DEP_4) | instskip(NEXT) | instid1(VALU_DEP_4)
	v_pk_fma_f16 v13, v11, v10, v13
	v_pk_fma_f16 v12, v11, v12, v7
	s_delay_alu instid0(VALU_DEP_4) | instskip(NEXT) | instid1(VALU_DEP_4)
	v_pk_fma_f16 v14, v11, v8, v6
	v_pk_fma_f16 v5, v11, v9, v5
	ds_load_2addr_b32 v[10:11], v4 offset0:64 offset1:96
	ds_load_b128 v[6:9], v28 offset:18960
	s_wait_dscnt 0x0
	v_dual_lshrrev_b32 v15, 16, v6 :: v_dual_lshrrev_b32 v16, 16, v7
	v_and_b32_e32 v6, 0xffff, v6
	v_and_b32_e32 v7, 0xffff, v7
	s_delay_alu instid0(VALU_DEP_3) | instskip(NEXT) | instid1(VALU_DEP_4)
	v_mul_u32_u24_e32 v15, 0x10001, v15
	v_mul_u32_u24_e32 v16, 0x10001, v16
	s_delay_alu instid0(VALU_DEP_4) | instskip(NEXT) | instid1(VALU_DEP_4)
	v_mul_u32_u24_e32 v6, 0x10001, v6
	v_mul_u32_u24_e32 v7, 0x10001, v7
	s_delay_alu instid0(VALU_DEP_4) | instskip(NEXT) | instid1(VALU_DEP_3)
	v_pk_fma_f16 v13, v10, v15, v13
	v_pk_fma_f16 v6, v10, v6, v14
	s_delay_alu instid0(VALU_DEP_3) | instskip(SKIP_4) | instid1(VALU_DEP_3)
	v_pk_fma_f16 v5, v10, v7, v5
	v_pk_fma_f16 v7, v10, v16, v12
	v_dual_lshrrev_b32 v10, 16, v8 :: v_dual_lshrrev_b32 v12, 16, v9
	v_and_b32_e32 v8, 0xffff, v8
	v_and_b32_e32 v9, 0xffff, v9
	v_mul_u32_u24_e32 v10, 0x10001, v10
	s_delay_alu instid0(VALU_DEP_4) | instskip(NEXT) | instid1(VALU_DEP_4)
	v_mul_u32_u24_e32 v12, 0x10001, v12
	v_mul_u32_u24_e32 v8, 0x10001, v8
	s_delay_alu instid0(VALU_DEP_4) | instskip(NEXT) | instid1(VALU_DEP_4)
	v_mul_u32_u24_e32 v9, 0x10001, v9
	v_pk_fma_f16 v13, v11, v10, v13
	s_delay_alu instid0(VALU_DEP_4) | instskip(NEXT) | instid1(VALU_DEP_4)
	v_pk_fma_f16 v12, v11, v12, v7
	v_pk_fma_f16 v14, v11, v8, v6
	s_delay_alu instid0(VALU_DEP_4)
	v_pk_fma_f16 v5, v11, v9, v5
	ds_load_2addr_b32 v[10:11], v4 offset0:128 offset1:160
	ds_load_b128 v[6:9], v28 offset:18976
	s_wait_dscnt 0x0
	v_dual_lshrrev_b32 v15, 16, v6 :: v_dual_lshrrev_b32 v16, 16, v7
	v_and_b32_e32 v6, 0xffff, v6
	v_and_b32_e32 v7, 0xffff, v7
	s_delay_alu instid0(VALU_DEP_3) | instskip(NEXT) | instid1(VALU_DEP_4)
	v_mul_u32_u24_e32 v15, 0x10001, v15
	v_mul_u32_u24_e32 v16, 0x10001, v16
	s_delay_alu instid0(VALU_DEP_4) | instskip(NEXT) | instid1(VALU_DEP_4)
	v_mul_u32_u24_e32 v6, 0x10001, v6
	v_mul_u32_u24_e32 v7, 0x10001, v7
	s_delay_alu instid0(VALU_DEP_4) | instskip(NEXT) | instid1(VALU_DEP_3)
	v_pk_fma_f16 v13, v10, v15, v13
	v_pk_fma_f16 v6, v10, v6, v14
	s_delay_alu instid0(VALU_DEP_3) | instskip(SKIP_4) | instid1(VALU_DEP_3)
	v_pk_fma_f16 v5, v10, v7, v5
	v_pk_fma_f16 v7, v10, v16, v12
	v_dual_lshrrev_b32 v10, 16, v8 :: v_dual_lshrrev_b32 v12, 16, v9
	v_and_b32_e32 v8, 0xffff, v8
	v_and_b32_e32 v9, 0xffff, v9
	v_mul_u32_u24_e32 v10, 0x10001, v10
	s_delay_alu instid0(VALU_DEP_4) | instskip(NEXT) | instid1(VALU_DEP_4)
	v_mul_u32_u24_e32 v12, 0x10001, v12
	v_mul_u32_u24_e32 v8, 0x10001, v8
	s_delay_alu instid0(VALU_DEP_4) | instskip(NEXT) | instid1(VALU_DEP_4)
	v_mul_u32_u24_e32 v9, 0x10001, v9
	v_pk_fma_f16 v10, v11, v10, v13
	s_delay_alu instid0(VALU_DEP_3) | instskip(NEXT) | instid1(VALU_DEP_3)
	v_pk_fma_f16 v14, v11, v8, v6
	v_pk_fma_f16 v13, v11, v9, v5
	;; [unrolled: 1-line block ×3, first 2 shown]
	ds_load_2addr_b32 v[4:5], v4 offset0:192 offset1:224
	ds_load_b128 v[6:9], v28 offset:18992
	s_wait_dscnt 0x0
	v_dual_lshrrev_b32 v12, 16, v6 :: v_dual_lshrrev_b32 v15, 16, v7
	v_and_b32_e32 v6, 0xffff, v6
	v_and_b32_e32 v7, 0xffff, v7
	s_delay_alu instid0(VALU_DEP_3) | instskip(NEXT) | instid1(VALU_DEP_4)
	v_mul_u32_u24_e32 v12, 0x10001, v12
	v_mul_u32_u24_e32 v15, 0x10001, v15
	s_delay_alu instid0(VALU_DEP_4) | instskip(NEXT) | instid1(VALU_DEP_4)
	v_mul_u32_u24_e32 v6, 0x10001, v6
	v_mul_u32_u24_e32 v7, 0x10001, v7
	s_delay_alu instid0(VALU_DEP_4) | instskip(SKIP_1) | instid1(VALU_DEP_4)
	v_pk_fma_f16 v10, v4, v12, v10
	v_lshrrev_b32_e32 v12, 16, v9
	v_pk_fma_f16 v6, v4, v6, v14
	s_delay_alu instid0(VALU_DEP_4)
	v_pk_fma_f16 v7, v4, v7, v13
	v_pk_fma_f16 v4, v4, v15, v11
	v_lshrrev_b32_e32 v11, 16, v8
	v_and_b32_e32 v8, 0xffff, v8
	v_and_b32_e32 v9, 0xffff, v9
	v_mul_u32_u24_e32 v12, 0x10001, v12
	s_delay_alu instid0(VALU_DEP_4) | instskip(NEXT) | instid1(VALU_DEP_4)
	v_mul_u32_u24_e32 v11, 0x10001, v11
	v_mul_u32_u24_e32 v8, 0x10001, v8
	s_delay_alu instid0(VALU_DEP_4) | instskip(NEXT) | instid1(VALU_DEP_3)
	v_mul_u32_u24_e32 v9, 0x10001, v9
	v_pk_fma_f16 v14, v5, v11, v10
	s_delay_alu instid0(VALU_DEP_3) | instskip(NEXT) | instid1(VALU_DEP_3)
	v_pk_fma_f16 v13, v5, v8, v6
	v_pk_fma_f16 v15, v5, v9, v7
	;; [unrolled: 1-line block ×3, first 2 shown]
	v_add_nc_u32_e32 v4, 0x2400, v76
	ds_load_2addr_b32 v[10:11], v4 offset1:32
	ds_load_b128 v[6:9], v28 offset:19008
	s_wait_dscnt 0x0
	v_dual_lshrrev_b32 v12, 16, v6 :: v_dual_lshrrev_b32 v16, 16, v7
	v_and_b32_e32 v6, 0xffff, v6
	v_and_b32_e32 v7, 0xffff, v7
	s_delay_alu instid0(VALU_DEP_3) | instskip(NEXT) | instid1(VALU_DEP_4)
	v_mul_u32_u24_e32 v12, 0x10001, v12
	v_mul_u32_u24_e32 v16, 0x10001, v16
	s_delay_alu instid0(VALU_DEP_4) | instskip(NEXT) | instid1(VALU_DEP_4)
	v_mul_u32_u24_e32 v6, 0x10001, v6
	v_mul_u32_u24_e32 v7, 0x10001, v7
	s_delay_alu instid0(VALU_DEP_4) | instskip(NEXT) | instid1(VALU_DEP_4)
	v_pk_fma_f16 v12, v10, v12, v14
	v_pk_fma_f16 v5, v10, v16, v5
	s_delay_alu instid0(VALU_DEP_4) | instskip(NEXT) | instid1(VALU_DEP_4)
	v_pk_fma_f16 v6, v10, v6, v13
	v_pk_fma_f16 v7, v10, v7, v15
	v_dual_lshrrev_b32 v10, 16, v8 :: v_dual_lshrrev_b32 v13, 16, v9
	v_and_b32_e32 v8, 0xffff, v8
	v_and_b32_e32 v9, 0xffff, v9
	s_delay_alu instid0(VALU_DEP_3) | instskip(NEXT) | instid1(VALU_DEP_4)
	v_mul_u32_u24_e32 v10, 0x10001, v10
	v_mul_u32_u24_e32 v13, 0x10001, v13
	s_delay_alu instid0(VALU_DEP_4) | instskip(NEXT) | instid1(VALU_DEP_4)
	v_mul_u32_u24_e32 v8, 0x10001, v8
	v_mul_u32_u24_e32 v9, 0x10001, v9
	s_delay_alu instid0(VALU_DEP_4) | instskip(NEXT) | instid1(VALU_DEP_4)
	v_pk_fma_f16 v12, v11, v10, v12
	v_pk_fma_f16 v5, v11, v13, v5
	s_delay_alu instid0(VALU_DEP_4) | instskip(NEXT) | instid1(VALU_DEP_4)
	v_pk_fma_f16 v14, v11, v8, v6
	v_pk_fma_f16 v15, v11, v9, v7
	ds_load_2addr_b32 v[10:11], v4 offset0:64 offset1:96
	ds_load_b128 v[6:9], v28 offset:19024
	s_wait_dscnt 0x0
	v_dual_lshrrev_b32 v13, 16, v6 :: v_dual_lshrrev_b32 v16, 16, v7
	v_and_b32_e32 v6, 0xffff, v6
	v_and_b32_e32 v7, 0xffff, v7
	s_delay_alu instid0(VALU_DEP_3) | instskip(NEXT) | instid1(VALU_DEP_4)
	v_mul_u32_u24_e32 v13, 0x10001, v13
	v_mul_u32_u24_e32 v16, 0x10001, v16
	s_delay_alu instid0(VALU_DEP_4) | instskip(NEXT) | instid1(VALU_DEP_4)
	v_mul_u32_u24_e32 v6, 0x10001, v6
	v_mul_u32_u24_e32 v7, 0x10001, v7
	s_delay_alu instid0(VALU_DEP_4) | instskip(NEXT) | instid1(VALU_DEP_4)
	v_pk_fma_f16 v12, v10, v13, v12
	v_pk_fma_f16 v5, v10, v16, v5
	s_delay_alu instid0(VALU_DEP_4) | instskip(NEXT) | instid1(VALU_DEP_4)
	v_pk_fma_f16 v6, v10, v6, v14
	v_pk_fma_f16 v7, v10, v7, v15
	v_dual_lshrrev_b32 v10, 16, v8 :: v_dual_lshrrev_b32 v13, 16, v9
	v_and_b32_e32 v8, 0xffff, v8
	v_and_b32_e32 v9, 0xffff, v9
	s_delay_alu instid0(VALU_DEP_3) | instskip(NEXT) | instid1(VALU_DEP_4)
	v_mul_u32_u24_e32 v10, 0x10001, v10
	v_mul_u32_u24_e32 v13, 0x10001, v13
	s_delay_alu instid0(VALU_DEP_4) | instskip(NEXT) | instid1(VALU_DEP_4)
	v_mul_u32_u24_e32 v8, 0x10001, v8
	v_mul_u32_u24_e32 v9, 0x10001, v9
	s_delay_alu instid0(VALU_DEP_4) | instskip(NEXT) | instid1(VALU_DEP_4)
	v_pk_fma_f16 v12, v11, v10, v12
	v_pk_fma_f16 v5, v11, v13, v5
	s_delay_alu instid0(VALU_DEP_4) | instskip(NEXT) | instid1(VALU_DEP_4)
	v_pk_fma_f16 v14, v11, v8, v6
	v_pk_fma_f16 v15, v11, v9, v7
	ds_load_2addr_b32 v[10:11], v4 offset0:128 offset1:160
	ds_load_b128 v[6:9], v28 offset:19040
	s_wait_dscnt 0x0
	v_dual_lshrrev_b32 v13, 16, v6 :: v_dual_lshrrev_b32 v16, 16, v7
	v_and_b32_e32 v6, 0xffff, v6
	v_and_b32_e32 v7, 0xffff, v7
	s_delay_alu instid0(VALU_DEP_3) | instskip(NEXT) | instid1(VALU_DEP_4)
	v_mul_u32_u24_e32 v13, 0x10001, v13
	v_mul_u32_u24_e32 v16, 0x10001, v16
	s_delay_alu instid0(VALU_DEP_4) | instskip(NEXT) | instid1(VALU_DEP_4)
	v_mul_u32_u24_e32 v6, 0x10001, v6
	v_mul_u32_u24_e32 v7, 0x10001, v7
	s_delay_alu instid0(VALU_DEP_4) | instskip(NEXT) | instid1(VALU_DEP_4)
	v_pk_fma_f16 v12, v10, v13, v12
	v_pk_fma_f16 v5, v10, v16, v5
	s_delay_alu instid0(VALU_DEP_4) | instskip(NEXT) | instid1(VALU_DEP_4)
	v_pk_fma_f16 v6, v10, v6, v14
	v_pk_fma_f16 v7, v10, v7, v15
	v_dual_lshrrev_b32 v10, 16, v8 :: v_dual_lshrrev_b32 v13, 16, v9
	v_and_b32_e32 v8, 0xffff, v8
	v_and_b32_e32 v9, 0xffff, v9
	s_delay_alu instid0(VALU_DEP_3) | instskip(NEXT) | instid1(VALU_DEP_4)
	v_mul_u32_u24_e32 v10, 0x10001, v10
	v_mul_u32_u24_e32 v13, 0x10001, v13
	s_delay_alu instid0(VALU_DEP_4) | instskip(NEXT) | instid1(VALU_DEP_4)
	v_mul_u32_u24_e32 v8, 0x10001, v8
	v_mul_u32_u24_e32 v9, 0x10001, v9
	s_delay_alu instid0(VALU_DEP_4) | instskip(NEXT) | instid1(VALU_DEP_3)
	v_pk_fma_f16 v10, v11, v10, v12
	v_pk_fma_f16 v14, v11, v8, v6
	s_delay_alu instid0(VALU_DEP_3)
	v_pk_fma_f16 v12, v11, v9, v7
	v_pk_fma_f16 v11, v11, v13, v5
	ds_load_2addr_b32 v[8:9], v4 offset0:192 offset1:224
	ds_load_b128 v[4:7], v28 offset:19056
	s_wait_dscnt 0x0
	v_dual_lshrrev_b32 v13, 16, v4 :: v_dual_lshrrev_b32 v15, 16, v5
	v_and_b32_e32 v4, 0xffff, v4
	v_and_b32_e32 v5, 0xffff, v5
	s_delay_alu instid0(VALU_DEP_3) | instskip(NEXT) | instid1(VALU_DEP_4)
	v_mul_u32_u24_e32 v13, 0x10001, v13
	v_mul_u32_u24_e32 v15, 0x10001, v15
	s_delay_alu instid0(VALU_DEP_4) | instskip(NEXT) | instid1(VALU_DEP_4)
	v_mul_u32_u24_e32 v4, 0x10001, v4
	v_mul_u32_u24_e32 v5, 0x10001, v5
	s_delay_alu instid0(VALU_DEP_4) | instskip(NEXT) | instid1(VALU_DEP_3)
	v_pk_fma_f16 v10, v8, v13, v10
	v_pk_fma_f16 v4, v8, v4, v14
	s_delay_alu instid0(VALU_DEP_3) | instskip(SKIP_4) | instid1(VALU_DEP_3)
	v_pk_fma_f16 v5, v8, v5, v12
	v_pk_fma_f16 v8, v8, v15, v11
	v_dual_lshrrev_b32 v11, 16, v6 :: v_dual_lshrrev_b32 v12, 16, v7
	v_and_b32_e32 v6, 0xffff, v6
	v_and_b32_e32 v7, 0xffff, v7
	v_mul_u32_u24_e32 v11, 0x10001, v11
	s_delay_alu instid0(VALU_DEP_4) | instskip(NEXT) | instid1(VALU_DEP_4)
	v_mul_u32_u24_e32 v12, 0x10001, v12
	v_mul_u32_u24_e32 v6, 0x10001, v6
	s_delay_alu instid0(VALU_DEP_4) | instskip(NEXT) | instid1(VALU_DEP_4)
	v_mul_u32_u24_e32 v7, 0x10001, v7
	v_pk_fma_f16 v14, v9, v11, v10
	s_delay_alu instid0(VALU_DEP_4) | instskip(NEXT) | instid1(VALU_DEP_4)
	v_pk_fma_f16 v12, v9, v12, v8
	v_pk_fma_f16 v13, v9, v6, v4
	v_add_nc_u32_e32 v4, 0x2800, v76
	v_pk_fma_f16 v5, v9, v7, v5
	ds_load_2addr_b32 v[10:11], v4 offset1:32
	ds_load_b128 v[6:9], v28 offset:19072
	s_wait_dscnt 0x0
	v_dual_lshrrev_b32 v15, 16, v6 :: v_dual_lshrrev_b32 v16, 16, v7
	v_and_b32_e32 v6, 0xffff, v6
	v_and_b32_e32 v7, 0xffff, v7
	s_delay_alu instid0(VALU_DEP_3) | instskip(NEXT) | instid1(VALU_DEP_4)
	v_mul_u32_u24_e32 v15, 0x10001, v15
	v_mul_u32_u24_e32 v16, 0x10001, v16
	s_delay_alu instid0(VALU_DEP_4) | instskip(NEXT) | instid1(VALU_DEP_4)
	v_mul_u32_u24_e32 v6, 0x10001, v6
	v_mul_u32_u24_e32 v7, 0x10001, v7
	s_delay_alu instid0(VALU_DEP_2) | instskip(SKIP_1) | instid1(VALU_DEP_3)
	v_pk_fma_f16 v6, v10, v6, v13
	v_pk_fma_f16 v13, v10, v15, v14
	;; [unrolled: 1-line block ×4, first 2 shown]
	v_dual_lshrrev_b32 v10, 16, v8 :: v_dual_lshrrev_b32 v12, 16, v9
	v_and_b32_e32 v8, 0xffff, v8
	v_and_b32_e32 v9, 0xffff, v9
	s_delay_alu instid0(VALU_DEP_3) | instskip(NEXT) | instid1(VALU_DEP_4)
	v_mul_u32_u24_e32 v10, 0x10001, v10
	v_mul_u32_u24_e32 v12, 0x10001, v12
	s_delay_alu instid0(VALU_DEP_4) | instskip(NEXT) | instid1(VALU_DEP_4)
	v_mul_u32_u24_e32 v8, 0x10001, v8
	v_mul_u32_u24_e32 v9, 0x10001, v9
	s_delay_alu instid0(VALU_DEP_4) | instskip(NEXT) | instid1(VALU_DEP_4)
	v_pk_fma_f16 v13, v11, v10, v13
	v_pk_fma_f16 v12, v11, v12, v7
	s_delay_alu instid0(VALU_DEP_4) | instskip(NEXT) | instid1(VALU_DEP_4)
	v_pk_fma_f16 v14, v11, v8, v6
	v_pk_fma_f16 v5, v11, v9, v5
	ds_load_2addr_b32 v[10:11], v4 offset0:64 offset1:96
	ds_load_b128 v[6:9], v28 offset:19088
	s_wait_dscnt 0x0
	v_dual_lshrrev_b32 v15, 16, v6 :: v_dual_lshrrev_b32 v16, 16, v7
	v_and_b32_e32 v6, 0xffff, v6
	v_and_b32_e32 v7, 0xffff, v7
	s_delay_alu instid0(VALU_DEP_3) | instskip(NEXT) | instid1(VALU_DEP_4)
	v_mul_u32_u24_e32 v15, 0x10001, v15
	v_mul_u32_u24_e32 v16, 0x10001, v16
	s_delay_alu instid0(VALU_DEP_4) | instskip(NEXT) | instid1(VALU_DEP_4)
	v_mul_u32_u24_e32 v6, 0x10001, v6
	v_mul_u32_u24_e32 v7, 0x10001, v7
	s_delay_alu instid0(VALU_DEP_4) | instskip(NEXT) | instid1(VALU_DEP_3)
	v_pk_fma_f16 v13, v10, v15, v13
	v_pk_fma_f16 v6, v10, v6, v14
	s_delay_alu instid0(VALU_DEP_3) | instskip(SKIP_4) | instid1(VALU_DEP_3)
	v_pk_fma_f16 v5, v10, v7, v5
	v_pk_fma_f16 v7, v10, v16, v12
	v_dual_lshrrev_b32 v10, 16, v8 :: v_dual_lshrrev_b32 v12, 16, v9
	v_and_b32_e32 v8, 0xffff, v8
	v_and_b32_e32 v9, 0xffff, v9
	v_mul_u32_u24_e32 v10, 0x10001, v10
	s_delay_alu instid0(VALU_DEP_4) | instskip(NEXT) | instid1(VALU_DEP_4)
	v_mul_u32_u24_e32 v12, 0x10001, v12
	v_mul_u32_u24_e32 v8, 0x10001, v8
	s_delay_alu instid0(VALU_DEP_4) | instskip(NEXT) | instid1(VALU_DEP_4)
	v_mul_u32_u24_e32 v9, 0x10001, v9
	v_pk_fma_f16 v13, v11, v10, v13
	s_delay_alu instid0(VALU_DEP_4) | instskip(NEXT) | instid1(VALU_DEP_4)
	v_pk_fma_f16 v12, v11, v12, v7
	v_pk_fma_f16 v14, v11, v8, v6
	s_delay_alu instid0(VALU_DEP_4)
	v_pk_fma_f16 v5, v11, v9, v5
	ds_load_2addr_b32 v[10:11], v4 offset0:128 offset1:160
	ds_load_b128 v[6:9], v28 offset:19104
	s_wait_dscnt 0x0
	v_dual_lshrrev_b32 v15, 16, v6 :: v_dual_lshrrev_b32 v16, 16, v7
	v_and_b32_e32 v6, 0xffff, v6
	v_and_b32_e32 v7, 0xffff, v7
	s_delay_alu instid0(VALU_DEP_3) | instskip(NEXT) | instid1(VALU_DEP_4)
	v_mul_u32_u24_e32 v15, 0x10001, v15
	v_mul_u32_u24_e32 v16, 0x10001, v16
	s_delay_alu instid0(VALU_DEP_4) | instskip(NEXT) | instid1(VALU_DEP_4)
	v_mul_u32_u24_e32 v6, 0x10001, v6
	v_mul_u32_u24_e32 v7, 0x10001, v7
	s_delay_alu instid0(VALU_DEP_4) | instskip(NEXT) | instid1(VALU_DEP_3)
	v_pk_fma_f16 v13, v10, v15, v13
	v_pk_fma_f16 v6, v10, v6, v14
	s_delay_alu instid0(VALU_DEP_3) | instskip(SKIP_4) | instid1(VALU_DEP_3)
	v_pk_fma_f16 v5, v10, v7, v5
	v_pk_fma_f16 v7, v10, v16, v12
	v_dual_lshrrev_b32 v10, 16, v8 :: v_dual_lshrrev_b32 v12, 16, v9
	v_and_b32_e32 v8, 0xffff, v8
	v_and_b32_e32 v9, 0xffff, v9
	v_mul_u32_u24_e32 v10, 0x10001, v10
	s_delay_alu instid0(VALU_DEP_4) | instskip(NEXT) | instid1(VALU_DEP_4)
	v_mul_u32_u24_e32 v12, 0x10001, v12
	v_mul_u32_u24_e32 v8, 0x10001, v8
	s_delay_alu instid0(VALU_DEP_4) | instskip(NEXT) | instid1(VALU_DEP_4)
	v_mul_u32_u24_e32 v9, 0x10001, v9
	v_pk_fma_f16 v10, v11, v10, v13
	s_delay_alu instid0(VALU_DEP_3) | instskip(NEXT) | instid1(VALU_DEP_3)
	v_pk_fma_f16 v14, v11, v8, v6
	v_pk_fma_f16 v13, v11, v9, v5
	;; [unrolled: 1-line block ×3, first 2 shown]
	ds_load_2addr_b32 v[8:9], v4 offset0:192 offset1:224
	ds_load_b128 v[4:7], v28 offset:19120
	s_wait_dscnt 0x0
	v_dual_lshrrev_b32 v12, 16, v4 :: v_dual_lshrrev_b32 v15, 16, v5
	v_and_b32_e32 v4, 0xffff, v4
	v_and_b32_e32 v5, 0xffff, v5
	s_delay_alu instid0(VALU_DEP_3) | instskip(NEXT) | instid1(VALU_DEP_4)
	v_mul_u32_u24_e32 v12, 0x10001, v12
	v_mul_u32_u24_e32 v15, 0x10001, v15
	s_delay_alu instid0(VALU_DEP_4) | instskip(NEXT) | instid1(VALU_DEP_4)
	v_mul_u32_u24_e32 v4, 0x10001, v4
	v_mul_u32_u24_e32 v5, 0x10001, v5
	s_delay_alu instid0(VALU_DEP_4) | instskip(SKIP_1) | instid1(VALU_DEP_4)
	v_pk_fma_f16 v10, v8, v12, v10
	v_lshrrev_b32_e32 v12, 16, v7
	v_pk_fma_f16 v4, v8, v4, v14
	s_delay_alu instid0(VALU_DEP_4)
	v_pk_fma_f16 v5, v8, v5, v13
	v_pk_fma_f16 v8, v8, v15, v11
	v_lshrrev_b32_e32 v11, 16, v6
	v_and_b32_e32 v6, 0xffff, v6
	v_and_b32_e32 v7, 0xffff, v7
	v_mul_u32_u24_e32 v12, 0x10001, v12
	s_delay_alu instid0(VALU_DEP_4) | instskip(NEXT) | instid1(VALU_DEP_4)
	v_mul_u32_u24_e32 v11, 0x10001, v11
	v_mul_u32_u24_e32 v6, 0x10001, v6
	s_delay_alu instid0(VALU_DEP_4) | instskip(NEXT) | instid1(VALU_DEP_4)
	v_mul_u32_u24_e32 v7, 0x10001, v7
	v_pk_fma_f16 v12, v9, v12, v8
	s_delay_alu instid0(VALU_DEP_4) | instskip(NEXT) | instid1(VALU_DEP_4)
	v_pk_fma_f16 v14, v9, v11, v10
	v_pk_fma_f16 v13, v9, v6, v4
	v_add_nc_u32_e32 v4, 0x2c00, v76
	v_pk_fma_f16 v5, v9, v7, v5
	ds_load_2addr_b32 v[10:11], v4 offset1:32
	ds_load_b128 v[6:9], v28 offset:19136
	s_wait_dscnt 0x0
	v_dual_lshrrev_b32 v15, 16, v6 :: v_dual_lshrrev_b32 v16, 16, v7
	v_and_b32_e32 v6, 0xffff, v6
	v_and_b32_e32 v7, 0xffff, v7
	s_delay_alu instid0(VALU_DEP_3) | instskip(NEXT) | instid1(VALU_DEP_4)
	v_mul_u32_u24_e32 v15, 0x10001, v15
	v_mul_u32_u24_e32 v16, 0x10001, v16
	s_delay_alu instid0(VALU_DEP_4) | instskip(NEXT) | instid1(VALU_DEP_4)
	v_mul_u32_u24_e32 v6, 0x10001, v6
	v_mul_u32_u24_e32 v7, 0x10001, v7
	s_delay_alu instid0(VALU_DEP_2) | instskip(SKIP_1) | instid1(VALU_DEP_3)
	v_pk_fma_f16 v6, v10, v6, v13
	v_pk_fma_f16 v13, v10, v15, v14
	;; [unrolled: 1-line block ×4, first 2 shown]
	v_dual_lshrrev_b32 v10, 16, v8 :: v_dual_lshrrev_b32 v12, 16, v9
	v_and_b32_e32 v8, 0xffff, v8
	v_and_b32_e32 v9, 0xffff, v9
	s_delay_alu instid0(VALU_DEP_3) | instskip(NEXT) | instid1(VALU_DEP_4)
	v_mul_u32_u24_e32 v10, 0x10001, v10
	v_mul_u32_u24_e32 v12, 0x10001, v12
	s_delay_alu instid0(VALU_DEP_4) | instskip(NEXT) | instid1(VALU_DEP_4)
	v_mul_u32_u24_e32 v8, 0x10001, v8
	v_mul_u32_u24_e32 v9, 0x10001, v9
	s_delay_alu instid0(VALU_DEP_4) | instskip(NEXT) | instid1(VALU_DEP_4)
	v_pk_fma_f16 v13, v11, v10, v13
	v_pk_fma_f16 v12, v11, v12, v7
	s_delay_alu instid0(VALU_DEP_4) | instskip(NEXT) | instid1(VALU_DEP_4)
	v_pk_fma_f16 v14, v11, v8, v6
	v_pk_fma_f16 v5, v11, v9, v5
	ds_load_2addr_b32 v[10:11], v4 offset0:64 offset1:96
	ds_load_b128 v[6:9], v28 offset:19152
	s_wait_dscnt 0x0
	v_dual_lshrrev_b32 v15, 16, v6 :: v_dual_lshrrev_b32 v16, 16, v7
	v_and_b32_e32 v6, 0xffff, v6
	v_and_b32_e32 v7, 0xffff, v7
	s_delay_alu instid0(VALU_DEP_3) | instskip(NEXT) | instid1(VALU_DEP_4)
	v_mul_u32_u24_e32 v15, 0x10001, v15
	v_mul_u32_u24_e32 v16, 0x10001, v16
	s_delay_alu instid0(VALU_DEP_4) | instskip(NEXT) | instid1(VALU_DEP_4)
	v_mul_u32_u24_e32 v6, 0x10001, v6
	v_mul_u32_u24_e32 v7, 0x10001, v7
	s_delay_alu instid0(VALU_DEP_4) | instskip(NEXT) | instid1(VALU_DEP_3)
	v_pk_fma_f16 v13, v10, v15, v13
	v_pk_fma_f16 v6, v10, v6, v14
	s_delay_alu instid0(VALU_DEP_3) | instskip(SKIP_4) | instid1(VALU_DEP_3)
	v_pk_fma_f16 v5, v10, v7, v5
	v_pk_fma_f16 v7, v10, v16, v12
	v_dual_lshrrev_b32 v10, 16, v8 :: v_dual_lshrrev_b32 v12, 16, v9
	v_and_b32_e32 v8, 0xffff, v8
	v_and_b32_e32 v9, 0xffff, v9
	v_mul_u32_u24_e32 v10, 0x10001, v10
	s_delay_alu instid0(VALU_DEP_4) | instskip(NEXT) | instid1(VALU_DEP_4)
	v_mul_u32_u24_e32 v12, 0x10001, v12
	v_mul_u32_u24_e32 v8, 0x10001, v8
	s_delay_alu instid0(VALU_DEP_4) | instskip(NEXT) | instid1(VALU_DEP_4)
	v_mul_u32_u24_e32 v9, 0x10001, v9
	v_pk_fma_f16 v13, v11, v10, v13
	s_delay_alu instid0(VALU_DEP_4) | instskip(NEXT) | instid1(VALU_DEP_4)
	v_pk_fma_f16 v12, v11, v12, v7
	v_pk_fma_f16 v14, v11, v8, v6
	s_delay_alu instid0(VALU_DEP_4)
	v_pk_fma_f16 v5, v11, v9, v5
	ds_load_2addr_b32 v[10:11], v4 offset0:128 offset1:160
	ds_load_b128 v[6:9], v28 offset:19168
	s_wait_dscnt 0x0
	v_dual_lshrrev_b32 v15, 16, v6 :: v_dual_lshrrev_b32 v16, 16, v7
	v_and_b32_e32 v6, 0xffff, v6
	v_and_b32_e32 v7, 0xffff, v7
	s_delay_alu instid0(VALU_DEP_3) | instskip(NEXT) | instid1(VALU_DEP_4)
	v_mul_u32_u24_e32 v15, 0x10001, v15
	v_mul_u32_u24_e32 v16, 0x10001, v16
	s_delay_alu instid0(VALU_DEP_4) | instskip(NEXT) | instid1(VALU_DEP_4)
	v_mul_u32_u24_e32 v6, 0x10001, v6
	v_mul_u32_u24_e32 v7, 0x10001, v7
	s_delay_alu instid0(VALU_DEP_4) | instskip(NEXT) | instid1(VALU_DEP_3)
	v_pk_fma_f16 v13, v10, v15, v13
	v_pk_fma_f16 v6, v10, v6, v14
	s_delay_alu instid0(VALU_DEP_3) | instskip(SKIP_4) | instid1(VALU_DEP_3)
	v_pk_fma_f16 v5, v10, v7, v5
	v_pk_fma_f16 v7, v10, v16, v12
	v_dual_lshrrev_b32 v10, 16, v8 :: v_dual_lshrrev_b32 v12, 16, v9
	v_and_b32_e32 v8, 0xffff, v8
	v_and_b32_e32 v9, 0xffff, v9
	v_mul_u32_u24_e32 v10, 0x10001, v10
	s_delay_alu instid0(VALU_DEP_4) | instskip(NEXT) | instid1(VALU_DEP_4)
	v_mul_u32_u24_e32 v12, 0x10001, v12
	v_mul_u32_u24_e32 v8, 0x10001, v8
	s_delay_alu instid0(VALU_DEP_4) | instskip(NEXT) | instid1(VALU_DEP_4)
	v_mul_u32_u24_e32 v9, 0x10001, v9
	v_pk_fma_f16 v10, v11, v10, v13
	s_delay_alu instid0(VALU_DEP_3) | instskip(NEXT) | instid1(VALU_DEP_3)
	v_pk_fma_f16 v14, v11, v8, v6
	v_pk_fma_f16 v13, v11, v9, v5
	;; [unrolled: 1-line block ×3, first 2 shown]
	ds_load_2addr_b32 v[8:9], v4 offset0:192 offset1:224
	ds_load_b128 v[4:7], v28 offset:19184
	s_wait_dscnt 0x0
	v_dual_lshrrev_b32 v12, 16, v4 :: v_dual_lshrrev_b32 v15, 16, v5
	v_and_b32_e32 v4, 0xffff, v4
	v_and_b32_e32 v5, 0xffff, v5
	s_delay_alu instid0(VALU_DEP_3) | instskip(NEXT) | instid1(VALU_DEP_4)
	v_mul_u32_u24_e32 v12, 0x10001, v12
	v_mul_u32_u24_e32 v15, 0x10001, v15
	s_delay_alu instid0(VALU_DEP_4) | instskip(NEXT) | instid1(VALU_DEP_4)
	v_mul_u32_u24_e32 v4, 0x10001, v4
	v_mul_u32_u24_e32 v5, 0x10001, v5
	s_delay_alu instid0(VALU_DEP_4) | instskip(SKIP_1) | instid1(VALU_DEP_4)
	v_pk_fma_f16 v10, v8, v12, v10
	v_lshrrev_b32_e32 v12, 16, v7
	v_pk_fma_f16 v4, v8, v4, v14
	s_delay_alu instid0(VALU_DEP_4)
	v_pk_fma_f16 v5, v8, v5, v13
	v_pk_fma_f16 v8, v8, v15, v11
	v_lshrrev_b32_e32 v11, 16, v6
	v_and_b32_e32 v6, 0xffff, v6
	v_and_b32_e32 v7, 0xffff, v7
	v_mul_u32_u24_e32 v12, 0x10001, v12
	s_delay_alu instid0(VALU_DEP_4) | instskip(NEXT) | instid1(VALU_DEP_4)
	v_mul_u32_u24_e32 v11, 0x10001, v11
	v_mul_u32_u24_e32 v6, 0x10001, v6
	s_delay_alu instid0(VALU_DEP_4) | instskip(NEXT) | instid1(VALU_DEP_4)
	v_mul_u32_u24_e32 v7, 0x10001, v7
	v_pk_fma_f16 v12, v9, v12, v8
	s_delay_alu instid0(VALU_DEP_4) | instskip(NEXT) | instid1(VALU_DEP_4)
	v_pk_fma_f16 v14, v9, v11, v10
	v_pk_fma_f16 v13, v9, v6, v4
	v_add_nc_u32_e32 v4, 0x3000, v76
	v_pk_fma_f16 v5, v9, v7, v5
	ds_load_2addr_b32 v[10:11], v4 offset1:32
	ds_load_b128 v[6:9], v28 offset:19200
	s_wait_dscnt 0x0
	v_dual_lshrrev_b32 v15, 16, v6 :: v_dual_lshrrev_b32 v16, 16, v7
	v_and_b32_e32 v6, 0xffff, v6
	v_and_b32_e32 v7, 0xffff, v7
	s_delay_alu instid0(VALU_DEP_3) | instskip(NEXT) | instid1(VALU_DEP_4)
	v_mul_u32_u24_e32 v15, 0x10001, v15
	v_mul_u32_u24_e32 v16, 0x10001, v16
	s_delay_alu instid0(VALU_DEP_4) | instskip(NEXT) | instid1(VALU_DEP_4)
	v_mul_u32_u24_e32 v6, 0x10001, v6
	v_mul_u32_u24_e32 v7, 0x10001, v7
	s_delay_alu instid0(VALU_DEP_2) | instskip(SKIP_1) | instid1(VALU_DEP_3)
	v_pk_fma_f16 v6, v10, v6, v13
	v_pk_fma_f16 v13, v10, v15, v14
	;; [unrolled: 1-line block ×4, first 2 shown]
	v_dual_lshrrev_b32 v10, 16, v8 :: v_dual_lshrrev_b32 v12, 16, v9
	v_and_b32_e32 v8, 0xffff, v8
	v_and_b32_e32 v9, 0xffff, v9
	s_delay_alu instid0(VALU_DEP_3) | instskip(NEXT) | instid1(VALU_DEP_4)
	v_mul_u32_u24_e32 v10, 0x10001, v10
	v_mul_u32_u24_e32 v12, 0x10001, v12
	s_delay_alu instid0(VALU_DEP_4) | instskip(NEXT) | instid1(VALU_DEP_4)
	v_mul_u32_u24_e32 v8, 0x10001, v8
	v_mul_u32_u24_e32 v9, 0x10001, v9
	s_delay_alu instid0(VALU_DEP_4) | instskip(NEXT) | instid1(VALU_DEP_4)
	v_pk_fma_f16 v13, v11, v10, v13
	v_pk_fma_f16 v12, v11, v12, v7
	s_delay_alu instid0(VALU_DEP_4) | instskip(NEXT) | instid1(VALU_DEP_4)
	v_pk_fma_f16 v14, v11, v8, v6
	v_pk_fma_f16 v5, v11, v9, v5
	ds_load_2addr_b32 v[10:11], v4 offset0:64 offset1:96
	ds_load_b128 v[6:9], v28 offset:19216
	s_wait_dscnt 0x0
	v_dual_lshrrev_b32 v15, 16, v6 :: v_dual_lshrrev_b32 v16, 16, v7
	v_and_b32_e32 v6, 0xffff, v6
	v_and_b32_e32 v7, 0xffff, v7
	s_delay_alu instid0(VALU_DEP_3) | instskip(NEXT) | instid1(VALU_DEP_4)
	v_mul_u32_u24_e32 v15, 0x10001, v15
	v_mul_u32_u24_e32 v16, 0x10001, v16
	s_delay_alu instid0(VALU_DEP_4) | instskip(NEXT) | instid1(VALU_DEP_4)
	v_mul_u32_u24_e32 v6, 0x10001, v6
	v_mul_u32_u24_e32 v7, 0x10001, v7
	s_delay_alu instid0(VALU_DEP_4) | instskip(NEXT) | instid1(VALU_DEP_3)
	v_pk_fma_f16 v13, v10, v15, v13
	v_pk_fma_f16 v6, v10, v6, v14
	s_delay_alu instid0(VALU_DEP_3) | instskip(SKIP_4) | instid1(VALU_DEP_3)
	v_pk_fma_f16 v5, v10, v7, v5
	v_pk_fma_f16 v7, v10, v16, v12
	v_dual_lshrrev_b32 v10, 16, v8 :: v_dual_lshrrev_b32 v12, 16, v9
	v_and_b32_e32 v8, 0xffff, v8
	v_and_b32_e32 v9, 0xffff, v9
	v_mul_u32_u24_e32 v10, 0x10001, v10
	s_delay_alu instid0(VALU_DEP_4) | instskip(NEXT) | instid1(VALU_DEP_4)
	v_mul_u32_u24_e32 v12, 0x10001, v12
	v_mul_u32_u24_e32 v8, 0x10001, v8
	s_delay_alu instid0(VALU_DEP_4) | instskip(NEXT) | instid1(VALU_DEP_4)
	v_mul_u32_u24_e32 v9, 0x10001, v9
	v_pk_fma_f16 v13, v11, v10, v13
	s_delay_alu instid0(VALU_DEP_4) | instskip(NEXT) | instid1(VALU_DEP_4)
	v_pk_fma_f16 v12, v11, v12, v7
	v_pk_fma_f16 v14, v11, v8, v6
	s_delay_alu instid0(VALU_DEP_4)
	v_pk_fma_f16 v5, v11, v9, v5
	ds_load_2addr_b32 v[10:11], v4 offset0:128 offset1:160
	ds_load_b128 v[6:9], v28 offset:19232
	s_wait_dscnt 0x0
	v_dual_lshrrev_b32 v15, 16, v6 :: v_dual_lshrrev_b32 v16, 16, v7
	v_and_b32_e32 v6, 0xffff, v6
	v_and_b32_e32 v7, 0xffff, v7
	s_delay_alu instid0(VALU_DEP_3) | instskip(NEXT) | instid1(VALU_DEP_4)
	v_mul_u32_u24_e32 v15, 0x10001, v15
	v_mul_u32_u24_e32 v16, 0x10001, v16
	s_delay_alu instid0(VALU_DEP_4) | instskip(NEXT) | instid1(VALU_DEP_4)
	v_mul_u32_u24_e32 v6, 0x10001, v6
	v_mul_u32_u24_e32 v7, 0x10001, v7
	s_delay_alu instid0(VALU_DEP_4) | instskip(NEXT) | instid1(VALU_DEP_3)
	v_pk_fma_f16 v13, v10, v15, v13
	v_pk_fma_f16 v6, v10, v6, v14
	s_delay_alu instid0(VALU_DEP_3) | instskip(SKIP_4) | instid1(VALU_DEP_3)
	v_pk_fma_f16 v5, v10, v7, v5
	v_pk_fma_f16 v7, v10, v16, v12
	v_dual_lshrrev_b32 v10, 16, v8 :: v_dual_lshrrev_b32 v12, 16, v9
	v_and_b32_e32 v8, 0xffff, v8
	v_and_b32_e32 v9, 0xffff, v9
	v_mul_u32_u24_e32 v10, 0x10001, v10
	s_delay_alu instid0(VALU_DEP_4) | instskip(NEXT) | instid1(VALU_DEP_4)
	v_mul_u32_u24_e32 v12, 0x10001, v12
	v_mul_u32_u24_e32 v8, 0x10001, v8
	s_delay_alu instid0(VALU_DEP_4) | instskip(NEXT) | instid1(VALU_DEP_4)
	v_mul_u32_u24_e32 v9, 0x10001, v9
	v_pk_fma_f16 v10, v11, v10, v13
	s_delay_alu instid0(VALU_DEP_3) | instskip(NEXT) | instid1(VALU_DEP_3)
	v_pk_fma_f16 v14, v11, v8, v6
	v_pk_fma_f16 v13, v11, v9, v5
	;; [unrolled: 1-line block ×3, first 2 shown]
	ds_load_2addr_b32 v[8:9], v4 offset0:192 offset1:224
	ds_load_b128 v[4:7], v28 offset:19248
	s_wait_dscnt 0x0
	v_dual_lshrrev_b32 v12, 16, v4 :: v_dual_lshrrev_b32 v15, 16, v5
	v_and_b32_e32 v4, 0xffff, v4
	v_and_b32_e32 v5, 0xffff, v5
	s_delay_alu instid0(VALU_DEP_3) | instskip(NEXT) | instid1(VALU_DEP_4)
	v_mul_u32_u24_e32 v12, 0x10001, v12
	v_mul_u32_u24_e32 v15, 0x10001, v15
	s_delay_alu instid0(VALU_DEP_4) | instskip(NEXT) | instid1(VALU_DEP_4)
	v_mul_u32_u24_e32 v4, 0x10001, v4
	v_mul_u32_u24_e32 v5, 0x10001, v5
	s_delay_alu instid0(VALU_DEP_4) | instskip(SKIP_1) | instid1(VALU_DEP_4)
	v_pk_fma_f16 v10, v8, v12, v10
	v_lshrrev_b32_e32 v12, 16, v7
	v_pk_fma_f16 v4, v8, v4, v14
	s_delay_alu instid0(VALU_DEP_4)
	v_pk_fma_f16 v5, v8, v5, v13
	v_pk_fma_f16 v8, v8, v15, v11
	v_lshrrev_b32_e32 v11, 16, v6
	v_and_b32_e32 v6, 0xffff, v6
	v_and_b32_e32 v7, 0xffff, v7
	v_mul_u32_u24_e32 v12, 0x10001, v12
	s_delay_alu instid0(VALU_DEP_4) | instskip(NEXT) | instid1(VALU_DEP_4)
	v_mul_u32_u24_e32 v11, 0x10001, v11
	v_mul_u32_u24_e32 v6, 0x10001, v6
	s_delay_alu instid0(VALU_DEP_4) | instskip(NEXT) | instid1(VALU_DEP_4)
	v_mul_u32_u24_e32 v7, 0x10001, v7
	v_pk_fma_f16 v12, v9, v12, v8
	s_delay_alu instid0(VALU_DEP_4) | instskip(NEXT) | instid1(VALU_DEP_4)
	v_pk_fma_f16 v14, v9, v11, v10
	v_pk_fma_f16 v13, v9, v6, v4
	v_add_nc_u32_e32 v4, 0x3400, v76
	v_pk_fma_f16 v5, v9, v7, v5
	ds_load_2addr_b32 v[10:11], v4 offset1:32
	ds_load_b128 v[6:9], v28 offset:19264
	s_wait_dscnt 0x0
	v_dual_lshrrev_b32 v15, 16, v6 :: v_dual_lshrrev_b32 v16, 16, v7
	v_and_b32_e32 v6, 0xffff, v6
	v_and_b32_e32 v7, 0xffff, v7
	s_delay_alu instid0(VALU_DEP_3) | instskip(NEXT) | instid1(VALU_DEP_4)
	v_mul_u32_u24_e32 v15, 0x10001, v15
	v_mul_u32_u24_e32 v16, 0x10001, v16
	s_delay_alu instid0(VALU_DEP_4) | instskip(NEXT) | instid1(VALU_DEP_4)
	v_mul_u32_u24_e32 v6, 0x10001, v6
	v_mul_u32_u24_e32 v7, 0x10001, v7
	s_delay_alu instid0(VALU_DEP_2) | instskip(SKIP_1) | instid1(VALU_DEP_3)
	v_pk_fma_f16 v6, v10, v6, v13
	v_pk_fma_f16 v13, v10, v15, v14
	;; [unrolled: 1-line block ×4, first 2 shown]
	v_dual_lshrrev_b32 v10, 16, v8 :: v_dual_lshrrev_b32 v12, 16, v9
	v_and_b32_e32 v8, 0xffff, v8
	v_and_b32_e32 v9, 0xffff, v9
	s_delay_alu instid0(VALU_DEP_3) | instskip(NEXT) | instid1(VALU_DEP_4)
	v_mul_u32_u24_e32 v10, 0x10001, v10
	v_mul_u32_u24_e32 v12, 0x10001, v12
	s_delay_alu instid0(VALU_DEP_4) | instskip(NEXT) | instid1(VALU_DEP_4)
	v_mul_u32_u24_e32 v8, 0x10001, v8
	v_mul_u32_u24_e32 v9, 0x10001, v9
	s_delay_alu instid0(VALU_DEP_4) | instskip(NEXT) | instid1(VALU_DEP_4)
	v_pk_fma_f16 v13, v11, v10, v13
	v_pk_fma_f16 v12, v11, v12, v7
	s_delay_alu instid0(VALU_DEP_4) | instskip(NEXT) | instid1(VALU_DEP_4)
	v_pk_fma_f16 v14, v11, v8, v6
	v_pk_fma_f16 v5, v11, v9, v5
	ds_load_2addr_b32 v[10:11], v4 offset0:64 offset1:96
	ds_load_b128 v[6:9], v28 offset:19280
	s_wait_dscnt 0x0
	v_dual_lshrrev_b32 v15, 16, v6 :: v_dual_lshrrev_b32 v16, 16, v7
	v_and_b32_e32 v6, 0xffff, v6
	v_and_b32_e32 v7, 0xffff, v7
	s_delay_alu instid0(VALU_DEP_3) | instskip(NEXT) | instid1(VALU_DEP_4)
	v_mul_u32_u24_e32 v15, 0x10001, v15
	v_mul_u32_u24_e32 v16, 0x10001, v16
	s_delay_alu instid0(VALU_DEP_4) | instskip(NEXT) | instid1(VALU_DEP_4)
	v_mul_u32_u24_e32 v6, 0x10001, v6
	v_mul_u32_u24_e32 v7, 0x10001, v7
	s_delay_alu instid0(VALU_DEP_4) | instskip(NEXT) | instid1(VALU_DEP_3)
	v_pk_fma_f16 v13, v10, v15, v13
	v_pk_fma_f16 v6, v10, v6, v14
	s_delay_alu instid0(VALU_DEP_3) | instskip(SKIP_4) | instid1(VALU_DEP_3)
	v_pk_fma_f16 v5, v10, v7, v5
	v_pk_fma_f16 v7, v10, v16, v12
	v_dual_lshrrev_b32 v10, 16, v8 :: v_dual_lshrrev_b32 v12, 16, v9
	v_and_b32_e32 v8, 0xffff, v8
	v_and_b32_e32 v9, 0xffff, v9
	v_mul_u32_u24_e32 v10, 0x10001, v10
	s_delay_alu instid0(VALU_DEP_4) | instskip(NEXT) | instid1(VALU_DEP_4)
	v_mul_u32_u24_e32 v12, 0x10001, v12
	v_mul_u32_u24_e32 v8, 0x10001, v8
	s_delay_alu instid0(VALU_DEP_4) | instskip(NEXT) | instid1(VALU_DEP_4)
	v_mul_u32_u24_e32 v9, 0x10001, v9
	v_pk_fma_f16 v13, v11, v10, v13
	s_delay_alu instid0(VALU_DEP_4) | instskip(NEXT) | instid1(VALU_DEP_4)
	v_pk_fma_f16 v12, v11, v12, v7
	v_pk_fma_f16 v14, v11, v8, v6
	s_delay_alu instid0(VALU_DEP_4)
	v_pk_fma_f16 v5, v11, v9, v5
	ds_load_2addr_b32 v[10:11], v4 offset0:128 offset1:160
	ds_load_b128 v[6:9], v28 offset:19296
	s_wait_dscnt 0x0
	v_dual_lshrrev_b32 v15, 16, v6 :: v_dual_lshrrev_b32 v16, 16, v7
	v_and_b32_e32 v6, 0xffff, v6
	v_and_b32_e32 v7, 0xffff, v7
	s_delay_alu instid0(VALU_DEP_3) | instskip(NEXT) | instid1(VALU_DEP_4)
	v_mul_u32_u24_e32 v15, 0x10001, v15
	v_mul_u32_u24_e32 v16, 0x10001, v16
	s_delay_alu instid0(VALU_DEP_4) | instskip(NEXT) | instid1(VALU_DEP_4)
	v_mul_u32_u24_e32 v6, 0x10001, v6
	v_mul_u32_u24_e32 v7, 0x10001, v7
	s_delay_alu instid0(VALU_DEP_4) | instskip(NEXT) | instid1(VALU_DEP_3)
	v_pk_fma_f16 v13, v10, v15, v13
	v_pk_fma_f16 v6, v10, v6, v14
	s_delay_alu instid0(VALU_DEP_3) | instskip(SKIP_4) | instid1(VALU_DEP_3)
	v_pk_fma_f16 v5, v10, v7, v5
	v_pk_fma_f16 v7, v10, v16, v12
	v_dual_lshrrev_b32 v10, 16, v8 :: v_dual_lshrrev_b32 v12, 16, v9
	v_and_b32_e32 v8, 0xffff, v8
	v_and_b32_e32 v9, 0xffff, v9
	v_mul_u32_u24_e32 v10, 0x10001, v10
	s_delay_alu instid0(VALU_DEP_4) | instskip(NEXT) | instid1(VALU_DEP_4)
	v_mul_u32_u24_e32 v12, 0x10001, v12
	v_mul_u32_u24_e32 v8, 0x10001, v8
	s_delay_alu instid0(VALU_DEP_4) | instskip(NEXT) | instid1(VALU_DEP_4)
	v_mul_u32_u24_e32 v9, 0x10001, v9
	v_pk_fma_f16 v10, v11, v10, v13
	s_delay_alu instid0(VALU_DEP_3) | instskip(NEXT) | instid1(VALU_DEP_3)
	v_pk_fma_f16 v14, v11, v8, v6
	v_pk_fma_f16 v13, v11, v9, v5
	;; [unrolled: 1-line block ×3, first 2 shown]
	ds_load_2addr_b32 v[8:9], v4 offset0:192 offset1:224
	ds_load_b128 v[4:7], v28 offset:19312
	s_wait_dscnt 0x0
	v_dual_lshrrev_b32 v12, 16, v4 :: v_dual_lshrrev_b32 v15, 16, v5
	v_and_b32_e32 v4, 0xffff, v4
	v_and_b32_e32 v5, 0xffff, v5
	s_delay_alu instid0(VALU_DEP_3) | instskip(NEXT) | instid1(VALU_DEP_4)
	v_mul_u32_u24_e32 v12, 0x10001, v12
	v_mul_u32_u24_e32 v15, 0x10001, v15
	s_delay_alu instid0(VALU_DEP_4) | instskip(NEXT) | instid1(VALU_DEP_4)
	v_mul_u32_u24_e32 v4, 0x10001, v4
	v_mul_u32_u24_e32 v5, 0x10001, v5
	s_delay_alu instid0(VALU_DEP_4) | instskip(SKIP_1) | instid1(VALU_DEP_4)
	v_pk_fma_f16 v10, v8, v12, v10
	v_lshrrev_b32_e32 v12, 16, v7
	v_pk_fma_f16 v4, v8, v4, v14
	s_delay_alu instid0(VALU_DEP_4)
	v_pk_fma_f16 v5, v8, v5, v13
	v_pk_fma_f16 v8, v8, v15, v11
	v_lshrrev_b32_e32 v11, 16, v6
	v_and_b32_e32 v6, 0xffff, v6
	v_and_b32_e32 v7, 0xffff, v7
	v_mul_u32_u24_e32 v12, 0x10001, v12
	s_delay_alu instid0(VALU_DEP_4) | instskip(NEXT) | instid1(VALU_DEP_4)
	v_mul_u32_u24_e32 v11, 0x10001, v11
	v_mul_u32_u24_e32 v6, 0x10001, v6
	s_delay_alu instid0(VALU_DEP_4) | instskip(NEXT) | instid1(VALU_DEP_4)
	v_mul_u32_u24_e32 v7, 0x10001, v7
	v_pk_fma_f16 v12, v9, v12, v8
	s_delay_alu instid0(VALU_DEP_4) | instskip(NEXT) | instid1(VALU_DEP_4)
	v_pk_fma_f16 v14, v9, v11, v10
	v_pk_fma_f16 v13, v9, v6, v4
	v_add_nc_u32_e32 v4, 0x3800, v76
	v_pk_fma_f16 v5, v9, v7, v5
	ds_load_2addr_b32 v[10:11], v4 offset1:32
	ds_load_b128 v[6:9], v28 offset:19328
	s_wait_dscnt 0x0
	v_dual_lshrrev_b32 v15, 16, v6 :: v_dual_lshrrev_b32 v16, 16, v7
	v_and_b32_e32 v6, 0xffff, v6
	v_and_b32_e32 v7, 0xffff, v7
	s_delay_alu instid0(VALU_DEP_3) | instskip(NEXT) | instid1(VALU_DEP_4)
	v_mul_u32_u24_e32 v15, 0x10001, v15
	v_mul_u32_u24_e32 v16, 0x10001, v16
	s_delay_alu instid0(VALU_DEP_4) | instskip(NEXT) | instid1(VALU_DEP_4)
	v_mul_u32_u24_e32 v6, 0x10001, v6
	v_mul_u32_u24_e32 v7, 0x10001, v7
	s_delay_alu instid0(VALU_DEP_2) | instskip(SKIP_1) | instid1(VALU_DEP_3)
	v_pk_fma_f16 v6, v10, v6, v13
	v_pk_fma_f16 v13, v10, v15, v14
	;; [unrolled: 1-line block ×4, first 2 shown]
	v_dual_lshrrev_b32 v10, 16, v8 :: v_dual_lshrrev_b32 v12, 16, v9
	v_and_b32_e32 v8, 0xffff, v8
	v_and_b32_e32 v9, 0xffff, v9
	s_delay_alu instid0(VALU_DEP_3) | instskip(NEXT) | instid1(VALU_DEP_4)
	v_mul_u32_u24_e32 v10, 0x10001, v10
	v_mul_u32_u24_e32 v12, 0x10001, v12
	s_delay_alu instid0(VALU_DEP_4) | instskip(NEXT) | instid1(VALU_DEP_4)
	v_mul_u32_u24_e32 v8, 0x10001, v8
	v_mul_u32_u24_e32 v9, 0x10001, v9
	s_delay_alu instid0(VALU_DEP_4) | instskip(NEXT) | instid1(VALU_DEP_4)
	v_pk_fma_f16 v13, v11, v10, v13
	v_pk_fma_f16 v12, v11, v12, v7
	s_delay_alu instid0(VALU_DEP_4) | instskip(NEXT) | instid1(VALU_DEP_4)
	v_pk_fma_f16 v14, v11, v8, v6
	v_pk_fma_f16 v5, v11, v9, v5
	ds_load_2addr_b32 v[10:11], v4 offset0:64 offset1:96
	ds_load_b128 v[6:9], v28 offset:19344
	s_wait_dscnt 0x0
	v_dual_lshrrev_b32 v15, 16, v6 :: v_dual_lshrrev_b32 v16, 16, v7
	v_and_b32_e32 v6, 0xffff, v6
	v_and_b32_e32 v7, 0xffff, v7
	s_delay_alu instid0(VALU_DEP_3) | instskip(NEXT) | instid1(VALU_DEP_4)
	v_mul_u32_u24_e32 v15, 0x10001, v15
	v_mul_u32_u24_e32 v16, 0x10001, v16
	s_delay_alu instid0(VALU_DEP_4) | instskip(NEXT) | instid1(VALU_DEP_4)
	v_mul_u32_u24_e32 v6, 0x10001, v6
	v_mul_u32_u24_e32 v7, 0x10001, v7
	s_delay_alu instid0(VALU_DEP_4) | instskip(NEXT) | instid1(VALU_DEP_3)
	v_pk_fma_f16 v13, v10, v15, v13
	v_pk_fma_f16 v6, v10, v6, v14
	s_delay_alu instid0(VALU_DEP_3) | instskip(SKIP_4) | instid1(VALU_DEP_3)
	v_pk_fma_f16 v5, v10, v7, v5
	v_pk_fma_f16 v7, v10, v16, v12
	v_dual_lshrrev_b32 v10, 16, v8 :: v_dual_lshrrev_b32 v12, 16, v9
	v_and_b32_e32 v8, 0xffff, v8
	v_and_b32_e32 v9, 0xffff, v9
	v_mul_u32_u24_e32 v10, 0x10001, v10
	s_delay_alu instid0(VALU_DEP_4) | instskip(NEXT) | instid1(VALU_DEP_4)
	v_mul_u32_u24_e32 v12, 0x10001, v12
	v_mul_u32_u24_e32 v8, 0x10001, v8
	s_delay_alu instid0(VALU_DEP_4) | instskip(NEXT) | instid1(VALU_DEP_4)
	v_mul_u32_u24_e32 v9, 0x10001, v9
	v_pk_fma_f16 v13, v11, v10, v13
	s_delay_alu instid0(VALU_DEP_4) | instskip(NEXT) | instid1(VALU_DEP_4)
	v_pk_fma_f16 v12, v11, v12, v7
	v_pk_fma_f16 v14, v11, v8, v6
	s_delay_alu instid0(VALU_DEP_4)
	v_pk_fma_f16 v5, v11, v9, v5
	ds_load_2addr_b32 v[10:11], v4 offset0:128 offset1:160
	ds_load_b128 v[6:9], v28 offset:19360
	s_wait_dscnt 0x0
	v_dual_lshrrev_b32 v15, 16, v6 :: v_dual_lshrrev_b32 v16, 16, v7
	v_and_b32_e32 v6, 0xffff, v6
	v_and_b32_e32 v7, 0xffff, v7
	s_delay_alu instid0(VALU_DEP_3) | instskip(NEXT) | instid1(VALU_DEP_4)
	v_mul_u32_u24_e32 v15, 0x10001, v15
	v_mul_u32_u24_e32 v16, 0x10001, v16
	s_delay_alu instid0(VALU_DEP_4) | instskip(NEXT) | instid1(VALU_DEP_4)
	v_mul_u32_u24_e32 v6, 0x10001, v6
	v_mul_u32_u24_e32 v7, 0x10001, v7
	s_delay_alu instid0(VALU_DEP_4) | instskip(NEXT) | instid1(VALU_DEP_3)
	v_pk_fma_f16 v13, v10, v15, v13
	v_pk_fma_f16 v6, v10, v6, v14
	s_delay_alu instid0(VALU_DEP_3) | instskip(SKIP_4) | instid1(VALU_DEP_3)
	v_pk_fma_f16 v5, v10, v7, v5
	v_pk_fma_f16 v7, v10, v16, v12
	v_dual_lshrrev_b32 v10, 16, v8 :: v_dual_lshrrev_b32 v12, 16, v9
	v_and_b32_e32 v8, 0xffff, v8
	v_and_b32_e32 v9, 0xffff, v9
	v_mul_u32_u24_e32 v10, 0x10001, v10
	s_delay_alu instid0(VALU_DEP_4) | instskip(NEXT) | instid1(VALU_DEP_4)
	v_mul_u32_u24_e32 v12, 0x10001, v12
	v_mul_u32_u24_e32 v8, 0x10001, v8
	s_delay_alu instid0(VALU_DEP_4) | instskip(NEXT) | instid1(VALU_DEP_4)
	v_mul_u32_u24_e32 v9, 0x10001, v9
	v_pk_fma_f16 v10, v11, v10, v13
	s_delay_alu instid0(VALU_DEP_3) | instskip(NEXT) | instid1(VALU_DEP_3)
	v_pk_fma_f16 v14, v11, v8, v6
	v_pk_fma_f16 v13, v11, v9, v5
	;; [unrolled: 1-line block ×3, first 2 shown]
	ds_load_2addr_b32 v[8:9], v4 offset0:192 offset1:224
	ds_load_b128 v[4:7], v28 offset:19376
	s_wait_dscnt 0x0
	v_dual_lshrrev_b32 v12, 16, v4 :: v_dual_lshrrev_b32 v15, 16, v5
	v_and_b32_e32 v4, 0xffff, v4
	v_and_b32_e32 v5, 0xffff, v5
	s_delay_alu instid0(VALU_DEP_3) | instskip(NEXT) | instid1(VALU_DEP_4)
	v_mul_u32_u24_e32 v12, 0x10001, v12
	v_mul_u32_u24_e32 v15, 0x10001, v15
	s_delay_alu instid0(VALU_DEP_4) | instskip(NEXT) | instid1(VALU_DEP_4)
	v_mul_u32_u24_e32 v4, 0x10001, v4
	v_mul_u32_u24_e32 v5, 0x10001, v5
	s_delay_alu instid0(VALU_DEP_4) | instskip(SKIP_1) | instid1(VALU_DEP_4)
	v_pk_fma_f16 v10, v8, v12, v10
	v_lshrrev_b32_e32 v12, 16, v7
	v_pk_fma_f16 v4, v8, v4, v14
	s_delay_alu instid0(VALU_DEP_4)
	v_pk_fma_f16 v5, v8, v5, v13
	v_pk_fma_f16 v8, v8, v15, v11
	v_lshrrev_b32_e32 v11, 16, v6
	v_and_b32_e32 v6, 0xffff, v6
	v_and_b32_e32 v7, 0xffff, v7
	v_mul_u32_u24_e32 v12, 0x10001, v12
	s_delay_alu instid0(VALU_DEP_4) | instskip(NEXT) | instid1(VALU_DEP_4)
	v_mul_u32_u24_e32 v11, 0x10001, v11
	v_mul_u32_u24_e32 v6, 0x10001, v6
	s_delay_alu instid0(VALU_DEP_4) | instskip(NEXT) | instid1(VALU_DEP_4)
	v_mul_u32_u24_e32 v7, 0x10001, v7
	v_pk_fma_f16 v12, v9, v12, v8
	s_delay_alu instid0(VALU_DEP_4) | instskip(NEXT) | instid1(VALU_DEP_4)
	v_pk_fma_f16 v14, v9, v11, v10
	v_pk_fma_f16 v13, v9, v6, v4
	v_add_nc_u32_e32 v4, 0x3c00, v76
	v_pk_fma_f16 v5, v9, v7, v5
	ds_load_2addr_b32 v[10:11], v4 offset1:32
	ds_load_b128 v[6:9], v28 offset:19392
	s_wait_dscnt 0x0
	v_dual_lshrrev_b32 v15, 16, v6 :: v_dual_lshrrev_b32 v16, 16, v7
	v_and_b32_e32 v6, 0xffff, v6
	v_and_b32_e32 v7, 0xffff, v7
	s_delay_alu instid0(VALU_DEP_3) | instskip(NEXT) | instid1(VALU_DEP_4)
	v_mul_u32_u24_e32 v15, 0x10001, v15
	v_mul_u32_u24_e32 v16, 0x10001, v16
	s_delay_alu instid0(VALU_DEP_4) | instskip(NEXT) | instid1(VALU_DEP_4)
	v_mul_u32_u24_e32 v6, 0x10001, v6
	v_mul_u32_u24_e32 v7, 0x10001, v7
	s_delay_alu instid0(VALU_DEP_2) | instskip(SKIP_1) | instid1(VALU_DEP_3)
	v_pk_fma_f16 v6, v10, v6, v13
	v_pk_fma_f16 v13, v10, v15, v14
	;; [unrolled: 1-line block ×4, first 2 shown]
	v_dual_lshrrev_b32 v10, 16, v8 :: v_dual_lshrrev_b32 v12, 16, v9
	v_and_b32_e32 v8, 0xffff, v8
	v_and_b32_e32 v9, 0xffff, v9
	s_delay_alu instid0(VALU_DEP_3) | instskip(NEXT) | instid1(VALU_DEP_4)
	v_mul_u32_u24_e32 v10, 0x10001, v10
	v_mul_u32_u24_e32 v12, 0x10001, v12
	s_delay_alu instid0(VALU_DEP_4) | instskip(NEXT) | instid1(VALU_DEP_4)
	v_mul_u32_u24_e32 v8, 0x10001, v8
	v_mul_u32_u24_e32 v9, 0x10001, v9
	s_delay_alu instid0(VALU_DEP_4) | instskip(NEXT) | instid1(VALU_DEP_4)
	v_pk_fma_f16 v13, v11, v10, v13
	v_pk_fma_f16 v12, v11, v12, v7
	s_delay_alu instid0(VALU_DEP_4) | instskip(NEXT) | instid1(VALU_DEP_4)
	v_pk_fma_f16 v14, v11, v8, v6
	v_pk_fma_f16 v5, v11, v9, v5
	ds_load_2addr_b32 v[10:11], v4 offset0:64 offset1:96
	ds_load_b128 v[6:9], v28 offset:19408
	s_wait_dscnt 0x0
	v_dual_lshrrev_b32 v15, 16, v6 :: v_dual_lshrrev_b32 v16, 16, v7
	v_and_b32_e32 v6, 0xffff, v6
	v_and_b32_e32 v7, 0xffff, v7
	s_delay_alu instid0(VALU_DEP_3) | instskip(NEXT) | instid1(VALU_DEP_4)
	v_mul_u32_u24_e32 v15, 0x10001, v15
	v_mul_u32_u24_e32 v16, 0x10001, v16
	s_delay_alu instid0(VALU_DEP_4) | instskip(NEXT) | instid1(VALU_DEP_4)
	v_mul_u32_u24_e32 v6, 0x10001, v6
	v_mul_u32_u24_e32 v7, 0x10001, v7
	s_delay_alu instid0(VALU_DEP_4) | instskip(NEXT) | instid1(VALU_DEP_3)
	v_pk_fma_f16 v13, v10, v15, v13
	v_pk_fma_f16 v6, v10, v6, v14
	s_delay_alu instid0(VALU_DEP_3) | instskip(SKIP_4) | instid1(VALU_DEP_3)
	v_pk_fma_f16 v5, v10, v7, v5
	v_pk_fma_f16 v7, v10, v16, v12
	v_dual_lshrrev_b32 v10, 16, v8 :: v_dual_lshrrev_b32 v12, 16, v9
	v_and_b32_e32 v8, 0xffff, v8
	v_and_b32_e32 v9, 0xffff, v9
	v_mul_u32_u24_e32 v10, 0x10001, v10
	s_delay_alu instid0(VALU_DEP_4) | instskip(NEXT) | instid1(VALU_DEP_4)
	v_mul_u32_u24_e32 v12, 0x10001, v12
	v_mul_u32_u24_e32 v8, 0x10001, v8
	s_delay_alu instid0(VALU_DEP_4) | instskip(NEXT) | instid1(VALU_DEP_4)
	v_mul_u32_u24_e32 v9, 0x10001, v9
	v_pk_fma_f16 v13, v11, v10, v13
	s_delay_alu instid0(VALU_DEP_4) | instskip(NEXT) | instid1(VALU_DEP_4)
	v_pk_fma_f16 v12, v11, v12, v7
	v_pk_fma_f16 v14, v11, v8, v6
	s_delay_alu instid0(VALU_DEP_4)
	v_pk_fma_f16 v5, v11, v9, v5
	ds_load_2addr_b32 v[10:11], v4 offset0:128 offset1:160
	ds_load_b128 v[6:9], v28 offset:19424
	s_wait_dscnt 0x0
	v_dual_lshrrev_b32 v15, 16, v6 :: v_dual_lshrrev_b32 v16, 16, v7
	v_and_b32_e32 v6, 0xffff, v6
	v_and_b32_e32 v7, 0xffff, v7
	s_delay_alu instid0(VALU_DEP_3) | instskip(NEXT) | instid1(VALU_DEP_4)
	v_mul_u32_u24_e32 v15, 0x10001, v15
	v_mul_u32_u24_e32 v16, 0x10001, v16
	s_delay_alu instid0(VALU_DEP_4) | instskip(NEXT) | instid1(VALU_DEP_4)
	v_mul_u32_u24_e32 v6, 0x10001, v6
	v_mul_u32_u24_e32 v7, 0x10001, v7
	s_delay_alu instid0(VALU_DEP_4) | instskip(NEXT) | instid1(VALU_DEP_3)
	v_pk_fma_f16 v13, v10, v15, v13
	v_pk_fma_f16 v6, v10, v6, v14
	s_delay_alu instid0(VALU_DEP_3)
	v_pk_fma_f16 v5, v10, v7, v5
	v_pk_fma_f16 v7, v10, v16, v12
	v_dual_lshrrev_b32 v10, 16, v8 :: v_dual_lshrrev_b32 v12, 16, v9
	v_and_b32_e32 v8, 0xffff, v8
	v_and_b32_e32 v9, 0xffff, v9
	v_mov_b64_e32 v[18:19], v[2:3]
	s_delay_alu instid0(VALU_DEP_4)
	v_mul_u32_u24_e32 v10, 0x10001, v10
	v_mul_u32_u24_e32 v12, 0x10001, v12
	;; [unrolled: 1-line block ×4, first 2 shown]
	v_mov_b64_e32 v[16:17], v[0:1]
	v_pk_fma_f16 v10, v11, v10, v13
	s_delay_alu instid0(VALU_DEP_4) | instskip(NEXT) | instid1(VALU_DEP_4)
	v_pk_fma_f16 v14, v11, v8, v6
	v_pk_fma_f16 v13, v11, v9, v5
	;; [unrolled: 1-line block ×3, first 2 shown]
	ds_load_2addr_b32 v[8:9], v4 offset0:192 offset1:224
	ds_load_b128 v[4:7], v28 offset:19440
	s_wait_dscnt 0x0
	s_barrier_signal -1
	s_barrier_wait -1
	v_dual_lshrrev_b32 v12, 16, v4 :: v_dual_lshrrev_b32 v15, 16, v5
	v_and_b32_e32 v4, 0xffff, v4
	v_and_b32_e32 v5, 0xffff, v5
	s_delay_alu instid0(VALU_DEP_3) | instskip(NEXT) | instid1(VALU_DEP_4)
	v_mul_u32_u24_e32 v12, 0x10001, v12
	v_mul_u32_u24_e32 v15, 0x10001, v15
	s_delay_alu instid0(VALU_DEP_4) | instskip(NEXT) | instid1(VALU_DEP_4)
	v_mul_u32_u24_e32 v4, 0x10001, v4
	v_mul_u32_u24_e32 v5, 0x10001, v5
	s_delay_alu instid0(VALU_DEP_4) | instskip(SKIP_1) | instid1(VALU_DEP_4)
	v_pk_fma_f16 v10, v8, v12, v10
	v_lshrrev_b32_e32 v12, 16, v7
	v_pk_fma_f16 v4, v8, v4, v14
	s_delay_alu instid0(VALU_DEP_4)
	v_pk_fma_f16 v5, v8, v5, v13
	v_pk_fma_f16 v8, v8, v15, v11
	v_lshrrev_b32_e32 v11, 16, v6
	v_and_b32_e32 v6, 0xffff, v6
	v_and_b32_e32 v7, 0xffff, v7
	v_mul_u32_u24_e32 v12, 0x10001, v12
	s_delay_alu instid0(VALU_DEP_4) | instskip(NEXT) | instid1(VALU_DEP_4)
	v_mul_u32_u24_e32 v11, 0x10001, v11
	v_mul_u32_u24_e32 v6, 0x10001, v6
	s_delay_alu instid0(VALU_DEP_4) | instskip(NEXT) | instid1(VALU_DEP_4)
	v_mul_u32_u24_e32 v7, 0x10001, v7
	v_pk_fma_f16 v91, v9, v12, v8
	s_delay_alu instid0(VALU_DEP_4) | instskip(NEXT) | instid1(VALU_DEP_4)
	v_pk_fma_f16 v81, v9, v11, v10
	v_pk_fma_f16 v82, v9, v6, v4
	s_delay_alu instid0(VALU_DEP_4)
	v_pk_fma_f16 v80, v9, v7, v5
.LBB59_125:
	v_cmp_lt_i32_e32 vcc_lo, v35, v34
	s_cmp_eq_u64 s[16:17], 0
	s_cselect_b32 s2, -1, 0
	s_cmp_lg_u32 s24, 0
	v_cndmask_b32_e32 v0, v53, v35, vcc_lo
	v_cmp_lt_i32_e32 vcc_lo, v32, v34
	s_cselect_b32 s3, -1, 0
	s_delay_alu instid0(SALU_CYCLE_1)
	s_or_b32 s2, s3, s2
	v_cndmask_b32_e32 v4, v53, v32, vcc_lo
	v_cmp_lt_i32_e32 vcc_lo, v31, v34
	v_dual_cndmask_b32 v8, v53, v31 :: v_dual_lshlrev_b32 v3, 2, v0
	ds_bpermute_b32 v0, v3, v16
	ds_bpermute_b32 v1, v3, v17
	;; [unrolled: 1-line block ×4, first 2 shown]
	v_cmp_lt_i32_e32 vcc_lo, v30, v34
	v_lshlrev_b32_e32 v7, 2, v4
	v_lshlrev_b32_e32 v8, 2, v8
	s_wait_dscnt 0x2
	v_pk_add_f32 v[0:1], v[16:17], v[0:1]
	s_wait_dscnt 0x0
	v_pk_add_f32 v[2:3], v[18:19], v[2:3]
	ds_bpermute_b32 v4, v7, v0
	ds_bpermute_b32 v5, v7, v1
	;; [unrolled: 1-line block ×4, first 2 shown]
	s_wait_dscnt 0x2
	v_pk_add_f32 v[0:1], v[0:1], v[4:5]
	s_wait_dscnt 0x0
	v_pk_add_f32 v[2:3], v[2:3], v[6:7]
	ds_bpermute_b32 v4, v8, v0
	ds_bpermute_b32 v5, v8, v1
	;; [unrolled: 1-line block ×4, first 2 shown]
	v_cndmask_b32_e32 v8, v53, v30, vcc_lo
	v_cmp_lt_i32_e32 vcc_lo, v33, v34
	s_delay_alu instid0(VALU_DEP_2)
	v_lshlrev_b32_e32 v8, 2, v8
	s_wait_dscnt 0x2
	v_pk_add_f32 v[0:1], v[0:1], v[4:5]
	s_wait_dscnt 0x0
	v_pk_add_f32 v[2:3], v[2:3], v[6:7]
	ds_bpermute_b32 v4, v8, v0
	ds_bpermute_b32 v5, v8, v1
	;; [unrolled: 1-line block ×4, first 2 shown]
	v_cndmask_b32_e32 v8, v53, v33, vcc_lo
	s_and_b32 vcc_lo, exec_lo, s2
	s_delay_alu instid0(VALU_DEP_1)
	v_lshlrev_b32_e32 v8, 2, v8
	s_wait_dscnt 0x2
	v_pk_add_f32 v[0:1], v[0:1], v[4:5]
	s_wait_dscnt 0x0
	v_pk_add_f32 v[4:5], v[2:3], v[6:7]
	ds_bpermute_b32 v2, v8, v0
	ds_bpermute_b32 v3, v8, v1
	;; [unrolled: 1-line block ×4, first 2 shown]
	s_wait_dscnt 0x2
	v_pk_add_f32 v[2:3], v[0:1], v[2:3]
	s_wait_dscnt 0x0
	v_pk_add_f32 v[0:1], v[4:5], v[6:7]
	s_cbranch_vccnz .LBB59_127
; %bb.126:
	v_dual_mov_b32 v4, s33 :: v_dual_max_num_f32 v6, v22, v22
	v_dual_max_num_f32 v9, v23, v23 :: v_dual_max_num_f32 v5, v21, v21
	global_load_b32 v8, v4, s[16:17] scale_offset
	s_wait_xcnt 0x0
	v_max_num_f32_e32 v4, v20, v20
	s_wait_loadcnt 0x0
	v_max_num_f32_e32 v7, v8, v8
	s_delay_alu instid0(VALU_DEP_1) | instskip(SKIP_1) | instid1(VALU_DEP_2)
	v_dual_max_num_f32 v4, v4, v7 :: v_dual_max_num_f32 v5, v5, v7
	v_dual_max_num_f32 v6, v6, v7 :: v_dual_max_num_f32 v7, v9, v7
	v_dual_sub_f32 v9, v20, v4 :: v_dual_sub_f32 v11, v21, v5
	v_dual_sub_f32 v10, v8, v4 :: v_dual_sub_f32 v12, v8, v5
	s_delay_alu instid0(VALU_DEP_3) | instskip(NEXT) | instid1(VALU_DEP_4)
	v_dual_sub_f32 v13, v22, v6 :: v_dual_sub_f32 v14, v8, v6
	v_dual_sub_f32 v15, v23, v7 :: v_dual_sub_f32 v16, v8, v7
	s_delay_alu instid0(VALU_DEP_3) | instskip(NEXT) | instid1(VALU_DEP_4)
	v_dual_mul_f32 v8, 0x3fb8aa3b, v9 :: v_dual_mul_f32 v17, 0x3fb8aa3b, v10
	v_dual_mul_f32 v18, 0x3fb8aa3b, v11 :: v_dual_mul_f32 v19, 0x3fb8aa3b, v12
	s_delay_alu instid0(VALU_DEP_3) | instskip(NEXT) | instid1(VALU_DEP_3)
	v_dual_mul_f32 v22, 0x3fb8aa3b, v15 :: v_dual_mul_f32 v23, 0x3fb8aa3b, v16
	v_fma_f32 v24, 0x3fb8aa3b, v9, -v8
	v_rndne_f32_e32 v25, v8
	v_dual_mul_f32 v20, 0x3fb8aa3b, v13 :: v_dual_mul_f32 v21, 0x3fb8aa3b, v14
	v_fma_f32 v26, 0x3fb8aa3b, v10, -v17
	v_rndne_f32_e32 v27, v17
	v_rndne_f32_e32 v31, v19
	;; [unrolled: 1-line block ×3, first 2 shown]
	v_fmac_f32_e32 v24, 0x32a5705f, v9
	v_sub_f32_e32 v8, v8, v25
	v_fma_f32 v28, 0x3fb8aa3b, v11, -v18
	v_fma_f32 v30, 0x3fb8aa3b, v12, -v19
	v_rndne_f32_e32 v35, v21
	v_fma_f32 v36, 0x3fb8aa3b, v15, -v22
	v_dual_fmac_f32 v26, 0x32a5705f, v10 :: v_dual_sub_f32 v17, v17, v27
	v_dual_sub_f32 v19, v19, v31 :: v_dual_sub_f32 v22, v22, v37
	v_add_f32_e32 v8, v8, v24
	v_fma_f32 v34, 0x3fb8aa3b, v14, -v21
	v_sub_f32_e32 v21, v21, v35
	v_dual_fmac_f32 v28, 0x32a5705f, v11 :: v_dual_add_f32 v17, v17, v26
	s_delay_alu instid0(VALU_DEP_4)
	v_exp_f32_e32 v8, v8
	v_cvt_i32_f32_e32 v25, v25
	v_rndne_f32_e32 v29, v18
	v_cvt_i32_f32_e32 v27, v27
	v_exp_f32_e32 v17, v17
	v_cmp_ngt_f32_e32 vcc_lo, 0xc2ce8ed0, v9
	v_rndne_f32_e32 v33, v20
	v_ldexp_f32 v8, v8, v25
	v_rndne_f32_e32 v39, v23
	v_sub_f32_e32 v18, v18, v29
	v_fma_f32 v32, 0x3fb8aa3b, v13, -v20
	v_ldexp_f32 v17, v17, v27
	v_cndmask_b32_e32 v8, 0, v8, vcc_lo
	v_cmp_ngt_f32_e32 vcc_lo, 0xc2ce8ed0, v10
	v_fma_f32 v38, 0x3fb8aa3b, v16, -v23
	v_dual_fmac_f32 v34, 0x32a5705f, v14 :: v_dual_sub_f32 v23, v23, v39
	v_dual_sub_f32 v20, v20, v33 :: v_dual_add_f32 v18, v18, v28
	v_dual_cndmask_b32 v17, 0, v17 :: v_dual_fmac_f32 v30, 0x32a5705f, v12
	s_delay_alu instid0(VALU_DEP_3) | instskip(NEXT) | instid1(VALU_DEP_3)
	v_dual_add_f32 v21, v21, v34 :: v_dual_fmac_f32 v32, 0x32a5705f, v13
	v_exp_f32_e32 v18, v18
	v_cvt_i32_f32_e32 v29, v29
	s_delay_alu instid0(VALU_DEP_3)
	v_add_f32_e32 v19, v19, v30
	v_cvt_i32_f32_e32 v31, v31
	v_cmp_ngt_f32_e32 vcc_lo, 0xc2ce8ed0, v11
	v_cvt_i32_f32_e32 v33, v33
	v_exp_f32_e32 v21, v21
	v_exp_f32_e32 v19, v19
	v_ldexp_f32 v18, v18, v29
	v_add_f32_e32 v20, v20, v32
	v_cvt_i32_f32_e32 v35, v35
	v_cvt_i32_f32_e32 v39, v39
	;; [unrolled: 1-line block ×3, first 2 shown]
	v_cndmask_b32_e32 v18, 0, v18, vcc_lo
	v_ldexp_f32 v19, v19, v31
	v_cmp_ngt_f32_e32 vcc_lo, 0xc2ce8ed0, v12
	v_fmac_f32_e32 v38, 0x32a5705f, v16
	v_exp_f32_e32 v20, v20
	v_ldexp_f32 v21, v21, v35
	v_cndmask_b32_e32 v19, 0, v19, vcc_lo
	s_delay_alu instid0(VALU_DEP_3) | instskip(SKIP_1) | instid1(TRANS32_DEP_1)
	v_dual_fmac_f32 v36, 0x32a5705f, v15 :: v_dual_add_f32 v23, v23, v38
	v_cmp_ngt_f32_e32 vcc_lo, 0xc2ce8ed0, v13
	v_ldexp_f32 v20, v20, v33
	s_delay_alu instid0(VALU_DEP_3) | instskip(SKIP_1) | instid1(TRANS32_DEP_1)
	v_exp_f32_e32 v23, v23
	v_nop
	v_ldexp_f32 v23, v23, v39
	s_delay_alu instid0(VALU_DEP_3) | instskip(SKIP_2) | instid1(VALU_DEP_1)
	v_cndmask_b32_e32 v20, 0, v20, vcc_lo
	v_cmp_ngt_f32_e32 vcc_lo, 0xc2ce8ed0, v14
	v_dual_add_f32 v22, v22, v36 :: v_dual_cndmask_b32 v21, 0, v21
	v_exp_f32_e32 v22, v22
	v_cmp_ngt_f32_e32 vcc_lo, 0xc2ce8ed0, v15
	s_delay_alu instid0(TRANS32_DEP_1) | instskip(NEXT) | instid1(VALU_DEP_1)
	v_ldexp_f32 v22, v22, v37
	v_cndmask_b32_e32 v22, 0, v22, vcc_lo
	v_cmp_ngt_f32_e32 vcc_lo, 0xc2ce8ed0, v16
	v_cndmask_b32_e32 v23, 0, v23, vcc_lo
	v_cmp_nlt_f32_e32 vcc_lo, 0x42b17218, v9
	v_cndmask_b32_e32 v8, 0x7f800000, v8, vcc_lo
	v_cmp_nlt_f32_e32 vcc_lo, 0x42b17218, v10
	;; [unrolled: 2-line block ×3, first 2 shown]
	s_delay_alu instid0(VALU_DEP_4) | instskip(SKIP_2) | instid1(VALU_DEP_2)
	v_cvt_f16_f32_e32 v17, v8
	v_cndmask_b32_e32 v9, 0x7f800000, v18, vcc_lo
	v_cmp_nlt_f32_e32 vcc_lo, 0x42b17218, v12
	v_cvt_f16_f32_e32 v18, v9
	v_cndmask_b32_e32 v11, 0x7f800000, v19, vcc_lo
	v_cmp_nlt_f32_e32 vcc_lo, 0x42b17218, v13
	s_delay_alu instid0(VALU_DEP_2) | instskip(SKIP_2) | instid1(VALU_DEP_2)
	v_pk_fma_f32 v[2:3], v[2:3], v[8:9], v[10:11]
	v_cndmask_b32_e32 v12, 0x7f800000, v20, vcc_lo
	v_cmp_nlt_f32_e32 vcc_lo, 0x42b17218, v15
	v_cvt_f16_f32_e32 v19, v12
	v_cndmask_b32_e32 v13, 0x7f800000, v22, vcc_lo
	v_cmp_nlt_f32_e32 vcc_lo, 0x42b17218, v14
	s_delay_alu instid0(VALU_DEP_2)
	v_cvt_f16_f32_e32 v20, v13
	v_cndmask_b32_e32 v14, 0x7f800000, v21, vcc_lo
	v_cmp_nlt_f32_e32 vcc_lo, 0x42b17218, v16
	v_and_b32_e32 v16, 0xffff, v17
	v_and_b32_e32 v17, 0xffff, v18
	;; [unrolled: 1-line block ×4, first 2 shown]
	v_cndmask_b32_e32 v15, 0x7f800000, v23, vcc_lo
	v_mul_u32_u24_e32 v8, 0x10001, v16
	v_mul_u32_u24_e32 v9, 0x10001, v17
	;; [unrolled: 1-line block ×4, first 2 shown]
	v_mov_b64_e32 v[22:23], v[6:7]
	v_mov_b64_e32 v[20:21], v[4:5]
	v_pk_fma_f32 v[0:1], v[0:1], v[12:13], v[14:15]
	v_pk_mul_f16 v82, v82, v8
	v_pk_mul_f16 v81, v81, v9
	;; [unrolled: 1-line block ×4, first 2 shown]
.LBB59_127:
	s_mov_b32 s2, exec_lo
	v_cmpx_gt_i32_e64 s26, v75
	s_cbranch_execz .LBB59_147
; %bb.128:
	s_load_b32 s0, s[0:1], 0xd4
	v_mov_b32_e32 v4, 1.0
	s_wait_kmcnt 0x0
	s_cmp_lg_u32 s0, 1
	s_cselect_b32 s2, -1, 0
	s_cmp_eq_u32 s0, 1
	s_cselect_b32 s3, -1, 0
	s_and_b32 vcc_lo, exec_lo, s2
	s_cbranch_vccnz .LBB59_130
; %bb.129:
	v_div_scale_f32 v4, null, v2, v2, 1.0
	s_delay_alu instid0(VALU_DEP_1) | instskip(SKIP_1) | instid1(TRANS32_DEP_1)
	v_rcp_f32_e32 v5, v4
	v_nop
	v_fma_f32 v6, -v4, v5, 1.0
	s_delay_alu instid0(VALU_DEP_1) | instskip(SKIP_1) | instid1(VALU_DEP_1)
	v_fmac_f32_e32 v5, v6, v5
	v_div_scale_f32 v6, vcc_lo, 1.0, v2, 1.0
	v_mul_f32_e32 v7, v6, v5
	s_delay_alu instid0(VALU_DEP_1) | instskip(NEXT) | instid1(VALU_DEP_1)
	v_fma_f32 v8, -v4, v7, v6
	v_fmac_f32_e32 v7, v8, v5
	s_delay_alu instid0(VALU_DEP_1) | instskip(NEXT) | instid1(VALU_DEP_1)
	v_fma_f32 v4, -v4, v7, v6
	v_div_fmas_f32 v4, v4, v5, v7
	s_delay_alu instid0(VALU_DEP_1)
	v_div_fixup_f32 v4, v4, v2, 1.0
.LBB59_130:
	s_mul_i32 s1, s34, s26
	v_mov_b32_e32 v7, 0
	s_add_co_i32 s1, s1, s38
	v_cvt_f32_f16_e32 v8, v82
	v_dual_add_nc_u32 v5, s1, v73 :: v_dual_lshrrev_b32 v9, 16, v82
	v_cmp_eq_u32_e32 vcc_lo, 0, v44
	s_delay_alu instid0(VALU_DEP_2) | instskip(NEXT) | instid1(VALU_DEP_3)
	v_mad_u32 v5, v5, s27, s33
	v_cvt_f32_f16_e32 v9, v9
	s_and_b32 s2, vcc_lo, s2
	s_delay_alu instid0(VALU_DEP_2) | instskip(NEXT) | instid1(VALU_DEP_1)
	v_mad_u32 v5, s0, v5, s24
	v_lshl_add_u32 v6, v5, 6, v56
	s_delay_alu instid0(VALU_DEP_3) | instskip(NEXT) | instid1(VALU_DEP_2)
	v_pk_mul_f32 v[8:9], v[4:5], v[8:9] op_sel_hi:[0,1]
	v_lshl_add_u64 v[6:7], v[6:7], 2, s[20:21]
	global_store_b64 v[6:7], v[8:9], off
	s_wait_xcnt 0x0
	s_and_saveexec_b32 s4, s2
	s_cbranch_execz .LBB59_132
; %bb.131:
	v_dual_mov_b32 v6, v20 :: v_dual_mov_b32 v7, v2
	global_store_b64 v5, v[6:7], s[22:23] scale_offset
.LBB59_132:
	s_wait_xcnt 0x0
	s_or_b32 exec_lo, exec_lo, s4
	v_cmp_gt_i32_e32 vcc_lo, s26, v74
	s_and_b32 exec_lo, exec_lo, vcc_lo
	s_cbranch_execz .LBB59_147
; %bb.133:
	v_cndmask_b32_e64 v4, 0, 1, s3
	v_mov_b32_e32 v2, 1.0
	s_and_not1_b32 vcc_lo, exec_lo, s3
	s_cbranch_vccnz .LBB59_135
; %bb.134:
	v_div_scale_f32 v2, null, v3, v3, 1.0
	s_delay_alu instid0(VALU_DEP_1) | instskip(SKIP_1) | instid1(TRANS32_DEP_1)
	v_rcp_f32_e32 v5, v2
	v_nop
	v_fma_f32 v6, -v2, v5, 1.0
	s_delay_alu instid0(VALU_DEP_1) | instskip(SKIP_1) | instid1(VALU_DEP_1)
	v_fmac_f32_e32 v5, v6, v5
	v_div_scale_f32 v6, vcc_lo, 1.0, v3, 1.0
	v_mul_f32_e32 v7, v6, v5
	s_delay_alu instid0(VALU_DEP_1) | instskip(NEXT) | instid1(VALU_DEP_1)
	v_fma_f32 v8, -v2, v7, v6
	v_fmac_f32_e32 v7, v8, v5
	s_delay_alu instid0(VALU_DEP_1) | instskip(NEXT) | instid1(VALU_DEP_1)
	v_fma_f32 v2, -v2, v7, v6
	v_div_fmas_f32 v2, v2, v5, v7
	s_delay_alu instid0(VALU_DEP_1)
	v_div_fixup_f32 v2, v2, v3, 1.0
.LBB59_135:
	v_dual_add_nc_u32 v5, s1, v71 :: v_dual_lshrrev_b32 v9, 16, v81
	v_mov_b32_e32 v7, 0
	v_cvt_f32_f16_e32 v8, v81
	s_delay_alu instid0(VALU_DEP_3) | instskip(NEXT) | instid1(VALU_DEP_4)
	v_mad_u32 v5, v5, s27, s33
	v_cvt_f32_f16_e32 v9, v9
	s_delay_alu instid0(VALU_DEP_1) | instskip(NEXT) | instid1(VALU_DEP_3)
	v_pk_mul_f32 v[8:9], v[2:3], v[8:9] op_sel_hi:[0,1]
	v_mad_u32 v5, s0, v5, s24
	s_delay_alu instid0(VALU_DEP_1) | instskip(NEXT) | instid1(VALU_DEP_1)
	v_lshl_add_u32 v6, v5, 6, v56
	v_lshl_add_u64 v[6:7], v[6:7], 2, s[20:21]
	global_store_b64 v[6:7], v[8:9], off
	s_wait_xcnt 0x0
	s_and_saveexec_b32 s3, s2
	s_cbranch_execz .LBB59_137
; %bb.136:
	v_mov_b32_e32 v2, v21
	global_store_b64 v5, v[2:3], s[22:23] scale_offset
.LBB59_137:
	s_wait_xcnt 0x0
	s_or_b32 exec_lo, exec_lo, s3
	v_cmp_gt_i32_e32 vcc_lo, s26, v72
	s_and_b32 exec_lo, exec_lo, vcc_lo
	s_cbranch_execz .LBB59_147
; %bb.138:
	v_cmp_ne_u32_e32 vcc_lo, 1, v4
	v_mov_b32_e32 v2, 1.0
	s_cbranch_vccnz .LBB59_140
; %bb.139:
	v_div_scale_f32 v2, null, v0, v0, 1.0
	s_delay_alu instid0(VALU_DEP_1) | instskip(SKIP_1) | instid1(TRANS32_DEP_1)
	v_rcp_f32_e32 v3, v2
	v_nop
	v_fma_f32 v5, -v2, v3, 1.0
	s_delay_alu instid0(VALU_DEP_1) | instskip(SKIP_1) | instid1(VALU_DEP_1)
	v_fmac_f32_e32 v3, v5, v3
	v_div_scale_f32 v5, vcc_lo, 1.0, v0, 1.0
	v_mul_f32_e32 v6, v5, v3
	s_delay_alu instid0(VALU_DEP_1) | instskip(NEXT) | instid1(VALU_DEP_1)
	v_fma_f32 v7, -v2, v6, v5
	v_fmac_f32_e32 v6, v7, v3
	s_delay_alu instid0(VALU_DEP_1) | instskip(NEXT) | instid1(VALU_DEP_1)
	v_fma_f32 v2, -v2, v6, v5
	v_div_fmas_f32 v2, v2, v3, v6
	s_delay_alu instid0(VALU_DEP_1)
	v_div_fixup_f32 v2, v2, v0, 1.0
.LBB59_140:
	v_dual_add_nc_u32 v3, s1, v70 :: v_dual_lshrrev_b32 v5, 16, v80
	v_mov_b32_e32 v7, 0
	v_cvt_f32_f16_e32 v8, v80
	s_delay_alu instid0(VALU_DEP_3) | instskip(NEXT) | instid1(VALU_DEP_4)
	v_mad_u32 v3, v3, s27, s33
	v_cvt_f32_f16_e32 v9, v5
	s_delay_alu instid0(VALU_DEP_2) | instskip(NEXT) | instid1(VALU_DEP_1)
	v_mad_u32 v3, s0, v3, s24
	v_lshl_add_u32 v6, v3, 6, v56
	s_delay_alu instid0(VALU_DEP_3) | instskip(NEXT) | instid1(VALU_DEP_2)
	v_pk_mul_f32 v[8:9], v[2:3], v[8:9] op_sel_hi:[0,1]
	v_lshl_add_u64 v[6:7], v[6:7], 2, s[20:21]
	global_store_b64 v[6:7], v[8:9], off
	s_wait_xcnt 0x0
	s_and_saveexec_b32 s3, s2
	s_cbranch_execz .LBB59_142
; %bb.141:
	v_dual_mov_b32 v6, v22 :: v_dual_mov_b32 v7, v0
	global_store_b64 v3, v[6:7], s[22:23] scale_offset
.LBB59_142:
	s_wait_xcnt 0x0
	s_or_b32 exec_lo, exec_lo, s3
	v_cmp_gt_i32_e32 vcc_lo, s26, v69
	s_and_b32 exec_lo, exec_lo, vcc_lo
	s_cbranch_execz .LBB59_147
; %bb.143:
	v_cmp_ne_u32_e32 vcc_lo, 1, v4
	v_mov_b32_e32 v0, 1.0
	s_cbranch_vccnz .LBB59_145
; %bb.144:
	v_div_scale_f32 v0, null, v1, v1, 1.0
	s_delay_alu instid0(VALU_DEP_1) | instskip(SKIP_1) | instid1(TRANS32_DEP_1)
	v_rcp_f32_e32 v2, v0
	v_nop
	v_fma_f32 v3, -v0, v2, 1.0
	s_delay_alu instid0(VALU_DEP_1) | instskip(SKIP_1) | instid1(VALU_DEP_1)
	v_fmac_f32_e32 v2, v3, v2
	v_div_scale_f32 v3, vcc_lo, 1.0, v1, 1.0
	v_mul_f32_e32 v4, v3, v2
	s_delay_alu instid0(VALU_DEP_1) | instskip(NEXT) | instid1(VALU_DEP_1)
	v_fma_f32 v5, -v0, v4, v3
	v_fmac_f32_e32 v4, v5, v2
	s_delay_alu instid0(VALU_DEP_1) | instskip(NEXT) | instid1(VALU_DEP_1)
	v_fma_f32 v0, -v0, v4, v3
	v_div_fmas_f32 v0, v0, v2, v4
	s_delay_alu instid0(VALU_DEP_1)
	v_div_fixup_f32 v0, v0, v1, 1.0
.LBB59_145:
	v_dual_add_nc_u32 v2, s1, v68 :: v_dual_lshrrev_b32 v3, 16, v91
	v_mov_b32_e32 v5, 0
	v_cvt_f32_f16_e32 v6, v91
	s_delay_alu instid0(VALU_DEP_3) | instskip(NEXT) | instid1(VALU_DEP_4)
	v_mad_u32 v2, v2, s27, s33
	v_cvt_f32_f16_e32 v7, v3
	s_delay_alu instid0(VALU_DEP_1) | instskip(NEXT) | instid1(VALU_DEP_3)
	v_pk_mul_f32 v[6:7], v[0:1], v[6:7] op_sel_hi:[0,1]
	v_mad_u32 v2, s0, v2, s24
	s_delay_alu instid0(VALU_DEP_1) | instskip(NEXT) | instid1(VALU_DEP_1)
	v_lshl_add_u32 v4, v2, 6, v56
	v_lshl_add_u64 v[4:5], v[4:5], 2, s[20:21]
	global_store_b64 v[4:5], v[6:7], off
	s_wait_xcnt 0x0
	s_and_b32 exec_lo, exec_lo, s2
	s_cbranch_execz .LBB59_147
; %bb.146:
	v_mov_b32_e32 v0, v23
	global_store_b64 v2, v[0:1], s[22:23] scale_offset
.LBB59_147:
	s_sendmsg sendmsg(MSG_DEALLOC_VGPRS)
	s_endpgm
	.section	.rodata,"a",@progbits
	.p2align	6, 0x0
	.amdhsa_kernel _ZL15flash_attn_tileILi64ELi64ELi16ELi1ELb0EEvPKcS1_S1_S1_S1_PKiPfP15HIP_vector_typeIfLj2EEffffjfiS5_IjLj3EEiiiiiiiiiiiliiliiiiil
		.amdhsa_group_segment_fixed_size 24576
		.amdhsa_private_segment_fixed_size 32
		.amdhsa_kernarg_size 464
		.amdhsa_user_sgpr_count 2
		.amdhsa_user_sgpr_dispatch_ptr 0
		.amdhsa_user_sgpr_queue_ptr 0
		.amdhsa_user_sgpr_kernarg_segment_ptr 1
		.amdhsa_user_sgpr_dispatch_id 0
		.amdhsa_user_sgpr_kernarg_preload_length 0
		.amdhsa_user_sgpr_kernarg_preload_offset 0
		.amdhsa_user_sgpr_private_segment_size 0
		.amdhsa_wavefront_size32 1
		.amdhsa_uses_dynamic_stack 0
		.amdhsa_enable_private_segment 1
		.amdhsa_system_sgpr_workgroup_id_x 1
		.amdhsa_system_sgpr_workgroup_id_y 1
		.amdhsa_system_sgpr_workgroup_id_z 1
		.amdhsa_system_sgpr_workgroup_info 0
		.amdhsa_system_vgpr_workitem_id 1
		.amdhsa_next_free_vgpr 128
		.amdhsa_next_free_sgpr 47
		.amdhsa_named_barrier_count 0
		.amdhsa_reserve_vcc 1
		.amdhsa_float_round_mode_32 0
		.amdhsa_float_round_mode_16_64 0
		.amdhsa_float_denorm_mode_32 3
		.amdhsa_float_denorm_mode_16_64 3
		.amdhsa_fp16_overflow 0
		.amdhsa_memory_ordered 1
		.amdhsa_forward_progress 1
		.amdhsa_inst_pref_size 255
		.amdhsa_round_robin_scheduling 0
		.amdhsa_exception_fp_ieee_invalid_op 0
		.amdhsa_exception_fp_denorm_src 0
		.amdhsa_exception_fp_ieee_div_zero 0
		.amdhsa_exception_fp_ieee_overflow 0
		.amdhsa_exception_fp_ieee_underflow 0
		.amdhsa_exception_fp_ieee_inexact 0
		.amdhsa_exception_int_div_zero 0
	.end_amdhsa_kernel
	.section	.text._ZL15flash_attn_tileILi64ELi64ELi16ELi1ELb0EEvPKcS1_S1_S1_S1_PKiPfP15HIP_vector_typeIfLj2EEffffjfiS5_IjLj3EEiiiiiiiiiiiliiliiiiil,"axG",@progbits,_ZL15flash_attn_tileILi64ELi64ELi16ELi1ELb0EEvPKcS1_S1_S1_S1_PKiPfP15HIP_vector_typeIfLj2EEffffjfiS5_IjLj3EEiiiiiiiiiiiliiliiiiil,comdat
.Lfunc_end59:
	.size	_ZL15flash_attn_tileILi64ELi64ELi16ELi1ELb0EEvPKcS1_S1_S1_S1_PKiPfP15HIP_vector_typeIfLj2EEffffjfiS5_IjLj3EEiiiiiiiiiiiliiliiiiil, .Lfunc_end59-_ZL15flash_attn_tileILi64ELi64ELi16ELi1ELb0EEvPKcS1_S1_S1_S1_PKiPfP15HIP_vector_typeIfLj2EEffffjfiS5_IjLj3EEiiiiiiiiiiiliiliiiiil
                                        ; -- End function
	.set _ZL15flash_attn_tileILi64ELi64ELi16ELi1ELb0EEvPKcS1_S1_S1_S1_PKiPfP15HIP_vector_typeIfLj2EEffffjfiS5_IjLj3EEiiiiiiiiiiiliiliiiiil.num_vgpr, 128
	.set _ZL15flash_attn_tileILi64ELi64ELi16ELi1ELb0EEvPKcS1_S1_S1_S1_PKiPfP15HIP_vector_typeIfLj2EEffffjfiS5_IjLj3EEiiiiiiiiiiiliiliiiiil.num_agpr, 0
	.set _ZL15flash_attn_tileILi64ELi64ELi16ELi1ELb0EEvPKcS1_S1_S1_S1_PKiPfP15HIP_vector_typeIfLj2EEffffjfiS5_IjLj3EEiiiiiiiiiiiliiliiiiil.numbered_sgpr, 47
	.set _ZL15flash_attn_tileILi64ELi64ELi16ELi1ELb0EEvPKcS1_S1_S1_S1_PKiPfP15HIP_vector_typeIfLj2EEffffjfiS5_IjLj3EEiiiiiiiiiiiliiliiiiil.num_named_barrier, 0
	.set _ZL15flash_attn_tileILi64ELi64ELi16ELi1ELb0EEvPKcS1_S1_S1_S1_PKiPfP15HIP_vector_typeIfLj2EEffffjfiS5_IjLj3EEiiiiiiiiiiiliiliiiiil.private_seg_size, 32
	.set _ZL15flash_attn_tileILi64ELi64ELi16ELi1ELb0EEvPKcS1_S1_S1_S1_PKiPfP15HIP_vector_typeIfLj2EEffffjfiS5_IjLj3EEiiiiiiiiiiiliiliiiiil.uses_vcc, 1
	.set _ZL15flash_attn_tileILi64ELi64ELi16ELi1ELb0EEvPKcS1_S1_S1_S1_PKiPfP15HIP_vector_typeIfLj2EEffffjfiS5_IjLj3EEiiiiiiiiiiiliiliiiiil.uses_flat_scratch, 1
	.set _ZL15flash_attn_tileILi64ELi64ELi16ELi1ELb0EEvPKcS1_S1_S1_S1_PKiPfP15HIP_vector_typeIfLj2EEffffjfiS5_IjLj3EEiiiiiiiiiiiliiliiiiil.has_dyn_sized_stack, 0
	.set _ZL15flash_attn_tileILi64ELi64ELi16ELi1ELb0EEvPKcS1_S1_S1_S1_PKiPfP15HIP_vector_typeIfLj2EEffffjfiS5_IjLj3EEiiiiiiiiiiiliiliiiiil.has_recursion, 0
	.set _ZL15flash_attn_tileILi64ELi64ELi16ELi1ELb0EEvPKcS1_S1_S1_S1_PKiPfP15HIP_vector_typeIfLj2EEffffjfiS5_IjLj3EEiiiiiiiiiiiliiliiiiil.has_indirect_call, 0
	.section	.AMDGPU.csdata,"",@progbits
; Kernel info:
; codeLenInByte = 49088
; TotalNumSgprs: 49
; NumVgprs: 128
; ScratchSize: 32
; MemoryBound: 0
; FloatMode: 240
; IeeeMode: 1
; LDSByteSize: 24576 bytes/workgroup (compile time only)
; SGPRBlocks: 0
; VGPRBlocks: 7
; NumSGPRsForWavesPerEU: 49
; NumVGPRsForWavesPerEU: 128
; NamedBarCnt: 0
; Occupancy: 8
; WaveLimiterHint : 0
; COMPUTE_PGM_RSRC2:SCRATCH_EN: 1
; COMPUTE_PGM_RSRC2:USER_SGPR: 2
; COMPUTE_PGM_RSRC2:TRAP_HANDLER: 0
; COMPUTE_PGM_RSRC2:TGID_X_EN: 1
; COMPUTE_PGM_RSRC2:TGID_Y_EN: 1
; COMPUTE_PGM_RSRC2:TGID_Z_EN: 1
; COMPUTE_PGM_RSRC2:TIDIG_COMP_CNT: 1
	.section	.text._ZL33flash_attn_stream_k_fixup_uniformILi64ELi16ELi1EEvPfPK15HIP_vector_typeIfLj2EEiiiiiiS1_IjLj3EES5_S5_,"axG",@progbits,_ZL33flash_attn_stream_k_fixup_uniformILi64ELi16ELi1EEvPfPK15HIP_vector_typeIfLj2EEiiiiiiS1_IjLj3EES5_S5_,comdat
	.globl	_ZL33flash_attn_stream_k_fixup_uniformILi64ELi16ELi1EEvPfPK15HIP_vector_typeIfLj2EEiiiiiiS1_IjLj3EES5_S5_ ; -- Begin function _ZL33flash_attn_stream_k_fixup_uniformILi64ELi16ELi1EEvPfPK15HIP_vector_typeIfLj2EEiiiiiiS1_IjLj3EES5_S5_
	.p2align	8
	.type	_ZL33flash_attn_stream_k_fixup_uniformILi64ELi16ELi1EEvPfPK15HIP_vector_typeIfLj2EEiiiiiiS1_IjLj3EES5_S5_,@function
_ZL33flash_attn_stream_k_fixup_uniformILi64ELi16ELi1EEvPfPK15HIP_vector_typeIfLj2EEiiiiiiS1_IjLj3EES5_S5_: ; @_ZL33flash_attn_stream_k_fixup_uniformILi64ELi16ELi1EEvPfPK15HIP_vector_typeIfLj2EEiiiiiiS1_IjLj3EES5_S5_
; %bb.0:
	s_load_b256 s[4:11], s[0:1], 0x1c
	s_bfe_u32 s2, ttmp6, 0x40014
	s_lshr_b32 s3, ttmp7, 16
	s_add_co_i32 s2, s2, 1
	s_bfe_u32 s13, ttmp6, 0x40010
	s_mul_i32 s2, s3, s2
	s_bfe_u32 s12, ttmp6, 0x40008
	s_and_b32 s14, ttmp7, 0xffff
	s_add_co_i32 s13, s13, 1
	s_bfe_u32 s15, ttmp6, 0x4000c
	s_add_co_i32 s2, s12, s2
	s_mul_i32 s12, s14, s13
	s_bfe_u32 s13, ttmp6, 0x40004
	s_add_co_i32 s15, s15, 1
	s_add_co_i32 s13, s13, s12
	s_and_b32 s12, ttmp6, 15
	s_mul_i32 s15, ttmp9, s15
	s_getreg_b32 s20, hwreg(HW_REG_IB_STS2, 6, 4)
	s_add_co_i32 s12, s12, s15
	s_load_b128 s[16:19], s[0:1], 0x3c
	s_cmp_eq_u32 s20, 0
	s_cselect_b32 s12, ttmp9, s12
	s_cselect_b32 s13, s14, s13
	s_wait_kmcnt 0x0
	s_mul_hi_u32 s7, s7, s12
	s_cselect_b32 s14, s3, s2
	s_add_co_i32 s2, s12, s7
	s_delay_alu instid0(SALU_CYCLE_1) | instskip(NEXT) | instid1(SALU_CYCLE_1)
	s_lshr_b32 s7, s2, s8
	s_mul_i32 s2, s7, s9
	s_delay_alu instid0(SALU_CYCLE_1) | instskip(NEXT) | instid1(SALU_CYCLE_1)
	s_sub_co_i32 s8, s12, s2
	s_mul_hi_u32 s2, s8, s10
	s_delay_alu instid0(SALU_CYCLE_1) | instskip(SKIP_2) | instid1(SALU_CYCLE_1)
	s_add_co_i32 s9, s8, s2
	s_load_b64 s[2:3], s[0:1], 0x10
	s_lshr_b32 s15, s9, s11
	s_mul_i32 s9, s15, s16
	s_delay_alu instid0(SALU_CYCLE_1) | instskip(NEXT) | instid1(SALU_CYCLE_1)
	s_sub_co_i32 s8, s8, s9
	s_mul_hi_u32 s9, s8, s17
	s_delay_alu instid0(SALU_CYCLE_1) | instskip(NEXT) | instid1(SALU_CYCLE_1)
	s_add_co_i32 s9, s8, s9
	s_lshr_b32 s16, s9, s18
	s_delay_alu instid0(SALU_CYCLE_1) | instskip(NEXT) | instid1(SALU_CYCLE_1)
	s_mul_i32 s9, s16, s19
	s_sub_co_i32 s17, s8, s9
	s_delay_alu instid0(SALU_CYCLE_1) | instskip(NEXT) | instid1(SALU_CYCLE_1)
	s_lshl_b32 s8, s17, 4
	s_add_co_i32 s8, s8, s13
	s_wait_kmcnt 0x0
	s_cmp_lt_i32 s8, s2
	s_cselect_b32 s8, -1, 0
	s_add_co_i32 s9, s16, s14
	s_delay_alu instid0(SALU_CYCLE_1) | instskip(SKIP_1) | instid1(SALU_CYCLE_1)
	s_cmp_lt_i32 s9, s5
	s_cselect_b32 s9, -1, 0
	s_and_b32 s8, s8, s9
	s_delay_alu instid0(SALU_CYCLE_1)
	s_and_not1_b32 vcc_lo, exec_lo, s8
	s_cbranch_vccnz .LBB60_6
; %bb.1:
	s_mul_i32 s2, s7, s2
	s_load_b128 s[8:11], s[0:1], 0x0
	s_wait_xcnt 0x0
	s_add_co_i32 s0, s2, s13
	s_mul_i32 s15, s15, s5
	s_mul_i32 s0, s0, s3
	;; [unrolled: 1-line block ×3, first 2 shown]
	s_add_co_i32 s0, s0, s14
	s_lshl_b32 s1, s1, 10
	s_add_co_i32 s0, s0, s15
	s_mul_i32 s7, s6, s12
	s_add_co_i32 s0, s0, s16
	s_add_co_i32 s5, s7, s6
	s_lshl_b32 s0, s0, 6
	s_add_co_i32 s13, s13, s14
	s_add_co_i32 s1, s1, s0
	s_lshl_b32 s0, s5, 4
	v_or_b32_e32 v4, s1, v0
	s_add_co_i32 s0, s13, s0
	s_add_co_i32 s2, s5, -2
	s_add_co_i32 s0, s0, -16
	s_delay_alu instid0(SALU_CYCLE_1)
	s_ashr_i32 s1, s0, 31
	s_wait_kmcnt 0x0
	global_load_b32 v3, v4, s[8:9] scale_offset
	s_lshl_b64 s[0:1], s[0:1], 3
	v_ashrrev_i32_e32 v5, 31, v4
	s_add_nc_u64 s[0:1], s[10:11], s[0:1]
	s_cmp_lt_i32 s2, s7
	s_load_b32 s14, s[0:1], 0x4
	s_cbranch_scc1 .LBB60_4
; %bb.2:
	s_wait_xcnt 0x0
	s_load_b32 s0, s[0:1], 0x0
	s_add_co_i32 s12, s12, 1
	s_lshl_b32 s3, s13, 6
	s_wait_xcnt 0x0
	s_mul_i32 s1, s6, s12
	s_lshl_b32 s2, s4, 6
	s_lshl_b32 s6, s1, 10
	;; [unrolled: 1-line block ×3, first 2 shown]
	s_add_co_i32 s6, s3, s6
	s_ashr_i32 s3, s2, 31
	s_wait_kmcnt 0x0
	v_dual_mov_b32 v2, s14 :: v_dual_bitop2_b32 v0, s6, v0 bitop3:0x54
	s_add_co_i32 s1, s13, s1
	s_lshl_b32 s4, s4, 4
	s_lshl_b64 s[2:3], s[2:3], 2
	s_delay_alu instid0(VALU_DEP_1)
	v_add_nc_u32_e32 v0, 0xfffff800, v0
	s_add_co_i32 s4, s1, s4
	s_add_nc_u64 s[2:3], s[10:11], s[2:3]
	s_add_co_i32 s1, s5, -1
	s_sub_co_i32 s4, s4, 32
.LBB60_3:                               ; =>This Inner Loop Header: Depth=1
	global_load_b32 v7, v0, s[2:3] scale_offset
	s_ashr_i32 s5, s4, 31
	v_max_num_f32_e64 v1, s0, s0
	s_lshl_b64 s[12:13], s[4:5], 3
	s_delay_alu instid0(SALU_CYCLE_1) | instskip(SKIP_1) | instid1(VALU_DEP_1)
	s_add_nc_u64 s[12:13], s[10:11], s[12:13]
	s_load_b64 s[12:13], s[12:13], 0x0
	v_readfirstlane_b32 s5, v1
	v_add_nc_u32_e32 v0, 0xfffffc00, v0
	s_wait_kmcnt 0x0
	v_max_num_f32_e64 v1, s12, s12
	s_delay_alu instid0(VALU_DEP_1) | instskip(SKIP_1) | instid1(SALU_CYCLE_3)
	v_readfirstlane_b32 s6, v1
	s_max_num_f32 s5, s5, s6
	s_sub_f32 s0, s0, s5
	s_sub_f32 s6, s12, s5
	s_delay_alu instid0(SALU_CYCLE_2) | instskip(NEXT) | instid1(SALU_CYCLE_2)
	s_mul_f32 s12, s0, 0x3fb8aa3b
	s_mul_f32 s14, s6, 0x3fb8aa3b
	s_delay_alu instid0(SALU_CYCLE_2)
	s_xor_b32 s15, s12, 0x80000000
	s_rndne_f32 s16, s12
	s_fmamk_f32 s15, s0, 0x3fb8aa3b, s15
	s_cmp_nlt_f32 s0, 0xc2ce8ed0
	s_rndne_f32 s17, s14
	s_sub_f32 s12, s12, s16
	s_fmamk_f32 s15, s0, 0x32a5705f, s15
	s_cselect_b32 vcc_lo, -1, 0
	s_cmp_ngt_f32 s0, 0x42b17218
	s_delay_alu instid0(SALU_CYCLE_1) | instskip(SKIP_2) | instid1(SALU_CYCLE_1)
	s_add_f32 s12, s12, s15
	s_cvt_i32_f32 s15, s16
	s_sub_f32 s16, s14, s17
	v_s_exp_f32 s12, s12
	v_nop
	s_delay_alu instid0(TRANS32_DEP_1) | instskip(SKIP_1) | instid1(VALU_DEP_1)
	v_ldexp_f32 v1, s12, s15
	s_cvt_i32_f32 s12, s17
	v_cndmask_b32_e32 v1, 0, v1, vcc_lo
	s_cselect_b32 vcc_lo, -1, 0
	s_cmp_ge_f32 s0, 0xc1a00000
	s_delay_alu instid0(VALU_DEP_1)
	v_cndmask_b32_e32 v1, 0x7f800000, v1, vcc_lo
	s_cselect_b32 vcc_lo, -1, 0
	s_xor_b32 s0, s14, 0x80000000
	s_cmp_nlt_f32 s6, 0xc2ce8ed0
	s_fmamk_f32 s0, s6, 0x3fb8aa3b, s0
	v_cndmask_b32_e32 v10, 0, v1, vcc_lo
	s_delay_alu instid0(SALU_CYCLE_2) | instskip(NEXT) | instid1(SALU_CYCLE_3)
	s_fmamk_f32 s0, s6, 0x32a5705f, s0
	s_add_f32 s0, s16, s0
	s_delay_alu instid0(SALU_CYCLE_3) | instskip(SKIP_1) | instid1(TRANS32_DEP_1)
	v_s_exp_f32 s0, s0
	v_nop
	v_ldexp_f32 v6, s0, s12
	s_cselect_b32 s0, -1, 0
	s_cmp_ngt_f32 s6, 0x42b17218
	s_delay_alu instid0(VALU_DEP_1) | instskip(SKIP_2) | instid1(VALU_DEP_1)
	v_cndmask_b32_e64 v6, 0, v6, s0
	s_cselect_b32 s0, -1, 0
	s_cmp_ge_f32 s6, 0xc1a00000
	v_cndmask_b32_e64 v8, 0x7f800000, v6, s0
	s_cselect_b32 s0, -1, 0
	v_mov_b32_e32 v6, s13
	s_add_co_i32 s1, s1, -1
	s_add_co_i32 s4, s4, -16
	v_cndmask_b32_e64 v8, 0, v8, s0
	s_cmp_le_i32 s1, s7
	s_mov_b32 s0, s5
	s_wait_loadcnt 0x0
	s_delay_alu instid0(VALU_DEP_1) | instskip(NEXT) | instid1(VALU_DEP_1)
	v_pk_mul_f32 v[6:7], v[6:7], v[8:9] op_sel_hi:[1,0]
	v_pk_fma_f32 v[2:3], v[2:3], v[10:11], v[6:7] op_sel_hi:[1,0,1]
	s_cbranch_scc0 .LBB60_3
	s_branch .LBB60_5
.LBB60_4:
	s_wait_kmcnt 0x0
	v_mov_b32_e32 v2, s14
.LBB60_5:
	v_lshl_add_u64 v[0:1], v[4:5], 2, s[8:9]
	s_wait_loadcnt 0x0
	s_delay_alu instid0(VALU_DEP_2) | instskip(NEXT) | instid1(VALU_DEP_1)
	v_div_scale_f32 v4, null, v2, v2, v3
	v_rcp_f32_e32 v5, v4
	v_nop
	s_delay_alu instid0(TRANS32_DEP_1) | instskip(NEXT) | instid1(VALU_DEP_1)
	v_fma_f32 v6, -v4, v5, 1.0
	v_fmac_f32_e32 v5, v6, v5
	v_div_scale_f32 v6, vcc_lo, v3, v2, v3
	s_delay_alu instid0(VALU_DEP_1) | instskip(NEXT) | instid1(VALU_DEP_1)
	v_mul_f32_e32 v7, v6, v5
	v_fma_f32 v8, -v4, v7, v6
	s_delay_alu instid0(VALU_DEP_1) | instskip(NEXT) | instid1(VALU_DEP_1)
	v_fmac_f32_e32 v7, v8, v5
	v_fma_f32 v4, -v4, v7, v6
	s_delay_alu instid0(VALU_DEP_1) | instskip(NEXT) | instid1(VALU_DEP_1)
	v_div_fmas_f32 v4, v4, v5, v7
	v_div_fixup_f32 v2, v4, v2, v3
	global_store_b32 v[0:1], v2, off
.LBB60_6:
	s_endpgm
	.section	.rodata,"a",@progbits
	.p2align	6, 0x0
	.amdhsa_kernel _ZL33flash_attn_stream_k_fixup_uniformILi64ELi16ELi1EEvPfPK15HIP_vector_typeIfLj2EEiiiiiiS1_IjLj3EES5_S5_
		.amdhsa_group_segment_fixed_size 0
		.amdhsa_private_segment_fixed_size 0
		.amdhsa_kernarg_size 76
		.amdhsa_user_sgpr_count 2
		.amdhsa_user_sgpr_dispatch_ptr 0
		.amdhsa_user_sgpr_queue_ptr 0
		.amdhsa_user_sgpr_kernarg_segment_ptr 1
		.amdhsa_user_sgpr_dispatch_id 0
		.amdhsa_user_sgpr_kernarg_preload_length 0
		.amdhsa_user_sgpr_kernarg_preload_offset 0
		.amdhsa_user_sgpr_private_segment_size 0
		.amdhsa_wavefront_size32 1
		.amdhsa_uses_dynamic_stack 0
		.amdhsa_enable_private_segment 0
		.amdhsa_system_sgpr_workgroup_id_x 1
		.amdhsa_system_sgpr_workgroup_id_y 1
		.amdhsa_system_sgpr_workgroup_id_z 1
		.amdhsa_system_sgpr_workgroup_info 0
		.amdhsa_system_vgpr_workitem_id 0
		.amdhsa_next_free_vgpr 12
		.amdhsa_next_free_sgpr 21
		.amdhsa_named_barrier_count 0
		.amdhsa_reserve_vcc 1
		.amdhsa_float_round_mode_32 0
		.amdhsa_float_round_mode_16_64 0
		.amdhsa_float_denorm_mode_32 3
		.amdhsa_float_denorm_mode_16_64 3
		.amdhsa_fp16_overflow 0
		.amdhsa_memory_ordered 1
		.amdhsa_forward_progress 1
		.amdhsa_inst_pref_size 9
		.amdhsa_round_robin_scheduling 0
		.amdhsa_exception_fp_ieee_invalid_op 0
		.amdhsa_exception_fp_denorm_src 0
		.amdhsa_exception_fp_ieee_div_zero 0
		.amdhsa_exception_fp_ieee_overflow 0
		.amdhsa_exception_fp_ieee_underflow 0
		.amdhsa_exception_fp_ieee_inexact 0
		.amdhsa_exception_int_div_zero 0
	.end_amdhsa_kernel
	.section	.text._ZL33flash_attn_stream_k_fixup_uniformILi64ELi16ELi1EEvPfPK15HIP_vector_typeIfLj2EEiiiiiiS1_IjLj3EES5_S5_,"axG",@progbits,_ZL33flash_attn_stream_k_fixup_uniformILi64ELi16ELi1EEvPfPK15HIP_vector_typeIfLj2EEiiiiiiS1_IjLj3EES5_S5_,comdat
.Lfunc_end60:
	.size	_ZL33flash_attn_stream_k_fixup_uniformILi64ELi16ELi1EEvPfPK15HIP_vector_typeIfLj2EEiiiiiiS1_IjLj3EES5_S5_, .Lfunc_end60-_ZL33flash_attn_stream_k_fixup_uniformILi64ELi16ELi1EEvPfPK15HIP_vector_typeIfLj2EEiiiiiiS1_IjLj3EES5_S5_
                                        ; -- End function
	.set _ZL33flash_attn_stream_k_fixup_uniformILi64ELi16ELi1EEvPfPK15HIP_vector_typeIfLj2EEiiiiiiS1_IjLj3EES5_S5_.num_vgpr, 12
	.set _ZL33flash_attn_stream_k_fixup_uniformILi64ELi16ELi1EEvPfPK15HIP_vector_typeIfLj2EEiiiiiiS1_IjLj3EES5_S5_.num_agpr, 0
	.set _ZL33flash_attn_stream_k_fixup_uniformILi64ELi16ELi1EEvPfPK15HIP_vector_typeIfLj2EEiiiiiiS1_IjLj3EES5_S5_.numbered_sgpr, 21
	.set _ZL33flash_attn_stream_k_fixup_uniformILi64ELi16ELi1EEvPfPK15HIP_vector_typeIfLj2EEiiiiiiS1_IjLj3EES5_S5_.num_named_barrier, 0
	.set _ZL33flash_attn_stream_k_fixup_uniformILi64ELi16ELi1EEvPfPK15HIP_vector_typeIfLj2EEiiiiiiS1_IjLj3EES5_S5_.private_seg_size, 0
	.set _ZL33flash_attn_stream_k_fixup_uniformILi64ELi16ELi1EEvPfPK15HIP_vector_typeIfLj2EEiiiiiiS1_IjLj3EES5_S5_.uses_vcc, 1
	.set _ZL33flash_attn_stream_k_fixup_uniformILi64ELi16ELi1EEvPfPK15HIP_vector_typeIfLj2EEiiiiiiS1_IjLj3EES5_S5_.uses_flat_scratch, 0
	.set _ZL33flash_attn_stream_k_fixup_uniformILi64ELi16ELi1EEvPfPK15HIP_vector_typeIfLj2EEiiiiiiS1_IjLj3EES5_S5_.has_dyn_sized_stack, 0
	.set _ZL33flash_attn_stream_k_fixup_uniformILi64ELi16ELi1EEvPfPK15HIP_vector_typeIfLj2EEiiiiiiS1_IjLj3EES5_S5_.has_recursion, 0
	.set _ZL33flash_attn_stream_k_fixup_uniformILi64ELi16ELi1EEvPfPK15HIP_vector_typeIfLj2EEiiiiiiS1_IjLj3EES5_S5_.has_indirect_call, 0
	.section	.AMDGPU.csdata,"",@progbits
; Kernel info:
; codeLenInByte = 1080
; TotalNumSgprs: 23
; NumVgprs: 12
; ScratchSize: 0
; MemoryBound: 0
; FloatMode: 240
; IeeeMode: 1
; LDSByteSize: 0 bytes/workgroup (compile time only)
; SGPRBlocks: 0
; VGPRBlocks: 0
; NumSGPRsForWavesPerEU: 23
; NumVGPRsForWavesPerEU: 12
; NamedBarCnt: 0
; Occupancy: 16
; WaveLimiterHint : 0
; COMPUTE_PGM_RSRC2:SCRATCH_EN: 0
; COMPUTE_PGM_RSRC2:USER_SGPR: 2
; COMPUTE_PGM_RSRC2:TRAP_HANDLER: 0
; COMPUTE_PGM_RSRC2:TGID_X_EN: 1
; COMPUTE_PGM_RSRC2:TGID_Y_EN: 1
; COMPUTE_PGM_RSRC2:TGID_Z_EN: 1
; COMPUTE_PGM_RSRC2:TIDIG_COMP_CNT: 0
	.section	.text._ZL33flash_attn_stream_k_fixup_generalILi64ELi16ELi1EEvPfPK15HIP_vector_typeIfLj2EEiiiiS1_IjLj3EES5_S5_S5_,"axG",@progbits,_ZL33flash_attn_stream_k_fixup_generalILi64ELi16ELi1EEvPfPK15HIP_vector_typeIfLj2EEiiiiS1_IjLj3EES5_S5_S5_,comdat
	.globl	_ZL33flash_attn_stream_k_fixup_generalILi64ELi16ELi1EEvPfPK15HIP_vector_typeIfLj2EEiiiiS1_IjLj3EES5_S5_S5_ ; -- Begin function _ZL33flash_attn_stream_k_fixup_generalILi64ELi16ELi1EEvPfPK15HIP_vector_typeIfLj2EEiiiiS1_IjLj3EES5_S5_S5_
	.p2align	8
	.type	_ZL33flash_attn_stream_k_fixup_generalILi64ELi16ELi1EEvPfPK15HIP_vector_typeIfLj2EEiiiiS1_IjLj3EES5_S5_S5_,@function
_ZL33flash_attn_stream_k_fixup_generalILi64ELi16ELi1EEvPfPK15HIP_vector_typeIfLj2EEiiiiS1_IjLj3EES5_S5_S5_: ; @_ZL33flash_attn_stream_k_fixup_generalILi64ELi16ELi1EEvPfPK15HIP_vector_typeIfLj2EEiiiiS1_IjLj3EES5_S5_S5_
; %bb.0:
	s_clause 0x1
	s_load_b128 s[4:7], s[0:1], 0x10
	s_load_b32 s16, s[0:1], 0x50
	s_bfe_u32 s2, ttmp6, 0x4000c
	s_and_b32 s3, ttmp6, 15
	s_add_co_i32 s2, s2, 1
	s_getreg_b32 s15, hwreg(HW_REG_IB_STS2, 6, 4)
	s_mul_i32 s2, ttmp9, s2
	s_mov_b32 s17, 0
	s_add_co_i32 s3, s3, s2
	s_cmp_eq_u32 s15, 0
	s_cselect_b32 s2, ttmp9, s3
	s_delay_alu instid0(SALU_CYCLE_1) | instskip(SKIP_3) | instid1(SALU_CYCLE_1)
	s_ashr_i32 s3, s2, 31
	s_wait_kmcnt 0x0
	s_ashr_i32 s19, s7, 31
	s_mov_b32 s18, s7
	s_mul_u64 s[8:9], s[18:19], s[2:3]
	s_delay_alu instid0(SALU_CYCLE_1) | instskip(NEXT) | instid1(SALU_CYCLE_1)
	s_and_b64 s[10:11], s[8:9], 0xffffffff00000000
	s_cmp_lg_u64 s[10:11], 0
	s_cbranch_scc0 .LBB61_21
; %bb.1:
	s_add_nc_u64 s[10:11], s[16:17], 0
	s_mov_b32 s23, s17
	s_xor_b64 s[10:11], s[10:11], 0
	s_mov_b32 s27, s17
	s_cvt_f32_u32 s3, s10
	s_cvt_f32_u32 s7, s11
	s_sub_nc_u64 s[20:21], 0, s[10:11]
	s_delay_alu instid0(SALU_CYCLE_2) | instskip(NEXT) | instid1(SALU_CYCLE_3)
	s_fmamk_f32 s3, s7, 0x4f800000, s3
	v_s_rcp_f32 s3, s3
	s_delay_alu instid0(TRANS32_DEP_1) | instskip(NEXT) | instid1(SALU_CYCLE_3)
	s_mul_f32 s3, s3, 0x5f7ffffc
	s_mul_f32 s7, s3, 0x2f800000
	s_delay_alu instid0(SALU_CYCLE_3) | instskip(NEXT) | instid1(SALU_CYCLE_3)
	s_trunc_f32 s7, s7
	s_fmamk_f32 s3, s7, 0xcf800000, s3
	s_cvt_u32_f32 s13, s7
	s_delay_alu instid0(SALU_CYCLE_2) | instskip(NEXT) | instid1(SALU_CYCLE_3)
	s_cvt_u32_f32 s12, s3
	s_mul_u64 s[24:25], s[20:21], s[12:13]
	s_delay_alu instid0(SALU_CYCLE_1)
	s_mul_hi_u32 s29, s12, s25
	s_mul_i32 s28, s12, s25
	s_mul_hi_u32 s22, s12, s24
	s_mul_i32 s7, s13, s24
	s_add_nc_u64 s[22:23], s[22:23], s[28:29]
	s_mul_hi_u32 s3, s13, s24
	s_mul_hi_u32 s14, s13, s25
	s_add_co_u32 s7, s22, s7
	s_add_co_ci_u32 s26, s23, s3
	s_mul_i32 s24, s13, s25
	s_add_co_ci_u32 s25, s14, 0
	s_delay_alu instid0(SALU_CYCLE_1) | instskip(SKIP_3) | instid1(SALU_CYCLE_1)
	s_add_nc_u64 s[22:23], s[26:27], s[24:25]
	s_mov_b32 s25, s17
	s_add_co_u32 s12, s12, s22
	s_cselect_b32 s3, -1, 0
	s_cmp_lg_u32 s3, 0
	s_add_co_ci_u32 s13, s13, s23
	s_mov_b32 s23, s17
	s_mul_u64 s[20:21], s[20:21], s[12:13]
	s_delay_alu instid0(SALU_CYCLE_1)
	s_mul_hi_u32 s27, s12, s21
	s_mul_i32 s26, s12, s21
	s_mul_hi_u32 s22, s12, s20
	s_mul_i32 s7, s13, s20
	s_add_nc_u64 s[22:23], s[22:23], s[26:27]
	s_mul_hi_u32 s3, s13, s20
	s_mul_hi_u32 s14, s13, s21
	s_add_co_u32 s7, s22, s7
	s_add_co_ci_u32 s24, s23, s3
	s_mul_i32 s20, s13, s21
	s_add_co_ci_u32 s21, s14, 0
	s_mov_b32 s23, s17
	s_add_nc_u64 s[20:21], s[24:25], s[20:21]
	s_delay_alu instid0(SALU_CYCLE_1) | instskip(SKIP_1) | instid1(SALU_CYCLE_1)
	s_add_co_u32 s3, s12, s20
	s_cselect_b32 s7, -1, 0
	s_cmp_lg_u32 s7, 0
	s_add_co_ci_u32 s7, s13, s21
	s_ashr_i32 s12, s9, 31
	s_delay_alu instid0(SALU_CYCLE_1) | instskip(NEXT) | instid1(SALU_CYCLE_1)
	s_mov_b32 s13, s12
	s_add_nc_u64 s[20:21], s[8:9], s[12:13]
	s_delay_alu instid0(SALU_CYCLE_1) | instskip(NEXT) | instid1(SALU_CYCLE_1)
	s_xor_b64 s[20:21], s[20:21], s[12:13]
	s_mul_hi_u32 s27, s20, s7
	s_mul_i32 s26, s20, s7
	s_mul_hi_u32 s22, s20, s3
	s_mul_hi_u32 s14, s21, s3
	s_mul_i32 s3, s21, s3
	s_add_nc_u64 s[22:23], s[22:23], s[26:27]
	s_mul_hi_u32 s9, s21, s7
	s_add_co_u32 s3, s22, s3
	s_add_co_ci_u32 s24, s23, s14
	s_mul_i32 s26, s21, s7
	s_add_co_ci_u32 s27, s9, 0
	s_delay_alu instid0(SALU_CYCLE_1) | instskip(NEXT) | instid1(SALU_CYCLE_1)
	s_add_nc_u64 s[22:23], s[24:25], s[26:27]
	s_and_b64 s[24:25], s[22:23], 0xffffffff00000000
	s_delay_alu instid0(SALU_CYCLE_1) | instskip(NEXT) | instid1(SALU_CYCLE_1)
	s_or_b32 s24, s24, s22
	s_mul_u64 s[22:23], s[10:11], s[24:25]
	s_add_nc_u64 s[26:27], s[24:25], 1
	s_sub_co_u32 s3, s20, s22
	s_cselect_b32 s7, -1, 0
	s_sub_co_i32 s9, s21, s23
	s_cmp_lg_u32 s7, 0
	s_add_nc_u64 s[28:29], s[24:25], 2
	s_sub_co_ci_u32 s9, s9, s11
	s_sub_co_u32 s14, s3, s10
	s_cselect_b32 s20, -1, 0
	s_delay_alu instid0(SALU_CYCLE_1) | instskip(SKIP_1) | instid1(SALU_CYCLE_1)
	s_cmp_lg_u32 s20, 0
	s_sub_co_ci_u32 s9, s9, 0
	s_cmp_ge_u32 s9, s11
	s_cselect_b32 s20, -1, 0
	s_cmp_ge_u32 s14, s10
	s_cselect_b32 s14, -1, 0
	s_cmp_eq_u32 s9, s11
	s_cselect_b32 s9, s14, s20
	s_delay_alu instid0(SALU_CYCLE_1) | instskip(SKIP_4) | instid1(SALU_CYCLE_1)
	s_cmp_lg_u32 s9, 0
	s_cselect_b32 s9, s28, s26
	s_cselect_b32 s14, s29, s27
	s_cmp_lg_u32 s7, 0
	s_sub_co_ci_u32 s7, s21, s23
	s_cmp_ge_u32 s7, s11
	s_cselect_b32 s20, -1, 0
	s_cmp_ge_u32 s3, s10
	s_cselect_b32 s3, -1, 0
	s_cmp_eq_u32 s7, s11
	s_cselect_b32 s3, s3, s20
	s_delay_alu instid0(SALU_CYCLE_1) | instskip(SKIP_4) | instid1(SALU_CYCLE_1)
	s_cmp_lg_u32 s3, 0
	s_mov_b32 s3, s17
	s_cselect_b32 s11, s14, s25
	s_cselect_b32 s10, s9, s24
	s_xor_b64 s[12:13], s[12:13], 0
	s_xor_b64 s[10:11], s[10:11], s[12:13]
	s_delay_alu instid0(SALU_CYCLE_1)
	s_sub_nc_u64 s[20:21], s[10:11], s[12:13]
	s_and_not1_b32 vcc_lo, exec_lo, s3
	s_cbranch_vccnz .LBB61_3
.LBB61_2:
	v_cvt_f32_u32_e32 v1, s16
	s_sub_co_i32 s7, 0, s16
	s_mov_b32 s21, 0
	s_delay_alu instid0(VALU_DEP_1) | instskip(SKIP_1) | instid1(TRANS32_DEP_1)
	v_rcp_iflag_f32_e32 v1, v1
	v_nop
	v_mul_f32_e32 v1, 0x4f7ffffe, v1
	s_delay_alu instid0(VALU_DEP_1) | instskip(NEXT) | instid1(VALU_DEP_1)
	v_cvt_u32_f32_e32 v1, v1
	v_readfirstlane_b32 s3, v1
	s_mul_i32 s7, s7, s3
	s_delay_alu instid0(SALU_CYCLE_1) | instskip(NEXT) | instid1(SALU_CYCLE_1)
	s_mul_hi_u32 s7, s3, s7
	s_add_co_i32 s3, s3, s7
	s_delay_alu instid0(SALU_CYCLE_1) | instskip(NEXT) | instid1(SALU_CYCLE_1)
	s_mul_hi_u32 s3, s8, s3
	s_mul_i32 s7, s3, s16
	s_delay_alu instid0(SALU_CYCLE_1)
	s_sub_co_i32 s7, s8, s7
	s_add_co_i32 s8, s3, 1
	s_sub_co_i32 s9, s7, s16
	s_cmp_ge_u32 s7, s16
	s_cselect_b32 s3, s8, s3
	s_cselect_b32 s7, s9, s7
	s_add_co_i32 s8, s3, 1
	s_cmp_ge_u32 s7, s16
	s_cselect_b32 s20, s8, s3
.LBB61_3:
	s_add_co_i32 s8, s2, 1
	s_delay_alu instid0(SALU_CYCLE_1) | instskip(NEXT) | instid1(SALU_CYCLE_1)
	s_ashr_i32 s9, s8, 31
	s_mul_u64 s[8:9], s[18:19], s[8:9]
	s_delay_alu instid0(SALU_CYCLE_1) | instskip(NEXT) | instid1(SALU_CYCLE_1)
	s_and_b64 s[10:11], s[8:9], 0xffffffff00000000
	s_cmp_lg_u64 s[10:11], 0
	s_cbranch_scc0 .LBB61_22
; %bb.4:
	s_add_nc_u64 s[10:11], s[16:17], 0
	s_delay_alu instid0(SALU_CYCLE_1) | instskip(SKIP_4) | instid1(SALU_CYCLE_2)
	s_xor_b64 s[12:13], s[10:11], 0
	s_mov_b32 s11, 0
	s_cvt_f32_u32 s3, s12
	s_cvt_f32_u32 s7, s13
	s_sub_nc_u64 s[24:25], 0, s[12:13]
	s_fmamk_f32 s3, s7, 0x4f800000, s3
	s_delay_alu instid0(SALU_CYCLE_3) | instskip(NEXT) | instid1(TRANS32_DEP_1)
	v_s_rcp_f32 s3, s3
	s_mul_f32 s3, s3, 0x5f7ffffc
	s_delay_alu instid0(SALU_CYCLE_3) | instskip(NEXT) | instid1(SALU_CYCLE_3)
	s_mul_f32 s7, s3, 0x2f800000
	s_trunc_f32 s7, s7
	s_delay_alu instid0(SALU_CYCLE_3) | instskip(SKIP_1) | instid1(SALU_CYCLE_2)
	s_fmamk_f32 s3, s7, 0xcf800000, s3
	s_cvt_u32_f32 s23, s7
	s_cvt_u32_f32 s22, s3
	s_delay_alu instid0(SALU_CYCLE_3) | instskip(NEXT) | instid1(SALU_CYCLE_1)
	s_mul_u64 s[26:27], s[24:25], s[22:23]
	s_mul_hi_u32 s29, s22, s27
	s_mul_i32 s28, s22, s27
	s_mul_hi_u32 s10, s22, s26
	s_mul_i32 s7, s23, s26
	s_add_nc_u64 s[28:29], s[10:11], s[28:29]
	s_mul_hi_u32 s3, s23, s26
	s_mul_hi_u32 s14, s23, s27
	s_add_co_u32 s7, s28, s7
	s_add_co_ci_u32 s10, s29, s3
	s_mul_i32 s26, s23, s27
	s_add_co_ci_u32 s27, s14, 0
	s_delay_alu instid0(SALU_CYCLE_1) | instskip(NEXT) | instid1(SALU_CYCLE_1)
	s_add_nc_u64 s[26:27], s[10:11], s[26:27]
	s_add_co_u32 s22, s22, s26
	s_cselect_b32 s3, -1, 0
	s_delay_alu instid0(SALU_CYCLE_1) | instskip(SKIP_1) | instid1(SALU_CYCLE_1)
	s_cmp_lg_u32 s3, 0
	s_add_co_ci_u32 s23, s23, s27
	s_mul_u64 s[24:25], s[24:25], s[22:23]
	s_delay_alu instid0(SALU_CYCLE_1)
	s_mul_hi_u32 s27, s22, s25
	s_mul_i32 s26, s22, s25
	s_mul_hi_u32 s10, s22, s24
	s_mul_i32 s7, s23, s24
	s_add_nc_u64 s[26:27], s[10:11], s[26:27]
	s_mul_hi_u32 s3, s23, s24
	s_mul_hi_u32 s14, s23, s25
	s_add_co_u32 s7, s26, s7
	s_add_co_ci_u32 s10, s27, s3
	s_mul_i32 s24, s23, s25
	s_add_co_ci_u32 s25, s14, 0
	s_delay_alu instid0(SALU_CYCLE_1) | instskip(NEXT) | instid1(SALU_CYCLE_1)
	s_add_nc_u64 s[24:25], s[10:11], s[24:25]
	s_add_co_u32 s3, s22, s24
	s_cselect_b32 s7, -1, 0
	s_delay_alu instid0(SALU_CYCLE_1) | instskip(SKIP_2) | instid1(SALU_CYCLE_1)
	s_cmp_lg_u32 s7, 0
	s_add_co_ci_u32 s7, s23, s25
	s_ashr_i32 s22, s9, 31
	s_mov_b32 s23, s22
	s_delay_alu instid0(SALU_CYCLE_1) | instskip(NEXT) | instid1(SALU_CYCLE_1)
	s_add_nc_u64 s[24:25], s[8:9], s[22:23]
	s_xor_b64 s[24:25], s[24:25], s[22:23]
	s_delay_alu instid0(SALU_CYCLE_1)
	s_mul_hi_u32 s27, s24, s7
	s_mul_i32 s26, s24, s7
	s_mul_hi_u32 s10, s24, s3
	s_mul_hi_u32 s14, s25, s3
	s_mul_i32 s3, s25, s3
	s_add_nc_u64 s[26:27], s[10:11], s[26:27]
	s_mul_hi_u32 s9, s25, s7
	s_add_co_u32 s3, s26, s3
	s_add_co_ci_u32 s10, s27, s14
	s_mul_i32 s28, s25, s7
	s_add_co_ci_u32 s29, s9, 0
	s_delay_alu instid0(SALU_CYCLE_1) | instskip(NEXT) | instid1(SALU_CYCLE_1)
	s_add_nc_u64 s[26:27], s[10:11], s[28:29]
	s_and_b64 s[28:29], s[26:27], 0xffffffff00000000
	s_delay_alu instid0(SALU_CYCLE_1) | instskip(NEXT) | instid1(SALU_CYCLE_1)
	s_or_b32 s28, s28, s26
	s_mul_u64 s[26:27], s[12:13], s[28:29]
	s_add_nc_u64 s[30:31], s[28:29], 1
	s_sub_co_u32 s3, s24, s26
	s_cselect_b32 s7, -1, 0
	s_sub_co_i32 s9, s25, s27
	s_cmp_lg_u32 s7, 0
	s_add_nc_u64 s[34:35], s[28:29], 2
	s_sub_co_ci_u32 s9, s9, s13
	s_sub_co_u32 s10, s3, s12
	s_cselect_b32 s14, -1, 0
	s_delay_alu instid0(SALU_CYCLE_1) | instskip(SKIP_1) | instid1(SALU_CYCLE_1)
	s_cmp_lg_u32 s14, 0
	s_sub_co_ci_u32 s9, s9, 0
	s_cmp_ge_u32 s9, s13
	s_cselect_b32 s14, -1, 0
	s_cmp_ge_u32 s10, s12
	s_cselect_b32 s10, -1, 0
	s_cmp_eq_u32 s9, s13
	s_cselect_b32 s9, s10, s14
	s_delay_alu instid0(SALU_CYCLE_1) | instskip(SKIP_4) | instid1(SALU_CYCLE_1)
	s_cmp_lg_u32 s9, 0
	s_cselect_b32 s9, s34, s30
	s_cselect_b32 s10, s35, s31
	s_cmp_lg_u32 s7, 0
	s_sub_co_ci_u32 s7, s25, s27
	s_cmp_ge_u32 s7, s13
	s_cselect_b32 s14, -1, 0
	s_cmp_ge_u32 s3, s12
	s_cselect_b32 s3, -1, 0
	s_cmp_eq_u32 s7, s13
	s_cselect_b32 s3, s3, s14
	s_delay_alu instid0(SALU_CYCLE_1) | instskip(SKIP_3) | instid1(SALU_CYCLE_1)
	s_cmp_lg_u32 s3, 0
	s_cselect_b32 s13, s10, s29
	s_cselect_b32 s12, s9, s28
	s_xor_b64 s[22:23], s[22:23], 0
	s_xor_b64 s[12:13], s[12:13], s[22:23]
	s_delay_alu instid0(SALU_CYCLE_1)
	s_sub_nc_u64 s[24:25], s[12:13], s[22:23]
	s_load_b96 s[12:14], s[0:1], 0x44
	s_cbranch_execnz .LBB61_6
.LBB61_5:
	v_cvt_f32_u32_e32 v1, s16
	s_sub_co_i32 s7, 0, s16
	s_delay_alu instid0(VALU_DEP_1) | instskip(SKIP_1) | instid1(TRANS32_DEP_1)
	v_rcp_iflag_f32_e32 v1, v1
	v_nop
	v_mul_f32_e32 v1, 0x4f7ffffe, v1
	s_delay_alu instid0(VALU_DEP_1) | instskip(NEXT) | instid1(VALU_DEP_1)
	v_cvt_u32_f32_e32 v1, v1
	v_readfirstlane_b32 s3, v1
	s_mul_i32 s7, s7, s3
	s_delay_alu instid0(SALU_CYCLE_1) | instskip(NEXT) | instid1(SALU_CYCLE_1)
	s_mul_hi_u32 s7, s3, s7
	s_add_co_i32 s3, s3, s7
	s_delay_alu instid0(SALU_CYCLE_1) | instskip(NEXT) | instid1(SALU_CYCLE_1)
	s_mul_hi_u32 s3, s8, s3
	s_mul_i32 s7, s3, s16
	s_delay_alu instid0(SALU_CYCLE_1)
	s_sub_co_i32 s7, s8, s7
	s_add_co_i32 s8, s3, 1
	s_sub_co_i32 s9, s7, s16
	s_cmp_ge_u32 s7, s16
	s_cselect_b32 s3, s8, s3
	s_cselect_b32 s7, s9, s7
	s_add_co_i32 s8, s3, 1
	s_cmp_ge_u32 s7, s16
	s_cselect_b32 s24, s8, s3
.LBB61_6:
	s_delay_alu instid0(SALU_CYCLE_1)
	s_cmp_eq_u32 s20, s24
	s_mov_b64 s[8:9], 0xffffffff
	s_cselect_b32 s3, -1, 0
	s_and_b64 s[8:9], s[20:21], s[8:9]
	s_mov_b32 s23, 0
	s_wait_kmcnt 0x0
	s_mov_b32 s22, s12
	s_mov_b32 s25, s23
	s_mul_u64 s[10:11], s[8:9], s[22:23]
	s_delay_alu instid0(SALU_CYCLE_1) | instskip(SKIP_2) | instid1(SALU_CYCLE_1)
	s_add_co_i32 s7, s11, s20
	s_mul_u64 s[10:11], s[24:25], s[22:23]
	s_lshr_b32 s12, s7, s13
	s_mul_i32 s7, s12, s14
	s_delay_alu instid0(SALU_CYCLE_1) | instskip(SKIP_2) | instid1(SALU_CYCLE_1)
	s_cmp_eq_u32 s7, s20
	s_cselect_b32 s7, -1, 0
	s_add_co_i32 s10, s11, s24
	s_lshr_b32 s10, s10, s13
	s_delay_alu instid0(SALU_CYCLE_1)
	s_cmp_eq_u32 s12, s10
	s_mul_i32 s10, s10, s14
	s_cselect_b32 s11, -1, 0
	s_cmp_lg_u32 s10, s24
	s_cselect_b32 s10, -1, 0
	s_or_b32 s3, s3, s7
	s_and_b32 s10, s11, s10
	s_delay_alu instid0(SALU_CYCLE_1) | instskip(NEXT) | instid1(SALU_CYCLE_1)
	s_or_b32 s3, s3, s10
	s_and_b32 vcc_lo, exec_lo, s3
	s_cbranch_vccnz .LBB61_24
; %bb.7:
	s_load_b256 s[24:31], s[0:1], 0x20
	s_bfe_u32 s7, ttmp6, 0x40014
	s_bfe_u32 s33, ttmp6, 0x40010
	s_lshr_b32 s3, ttmp7, 16
	s_add_co_i32 s7, s7, 1
	s_and_b32 s21, ttmp7, 0xffff
	s_add_co_i32 s33, s33, 1
	s_bfe_u32 s10, ttmp6, 0x40008
	s_mul_i32 s7, s3, s7
	s_bfe_u32 s34, ttmp6, 0x40004
	s_mul_i32 s33, s21, s33
	s_mov_b32 s11, s23
	s_add_co_i32 s7, s10, s7
	s_add_co_i32 s34, s34, s33
	s_cmp_eq_u32 s15, 0
	s_cselect_b32 s15, s21, s34
	s_cselect_b32 s3, s3, s7
	s_wait_kmcnt 0x0
	s_mov_b32 s10, s24
	s_delay_alu instid0(SALU_CYCLE_1) | instskip(SKIP_2) | instid1(SALU_CYCLE_1)
	s_mul_u64 s[8:9], s[8:9], s[10:11]
	s_load_b32 s8, s[0:1], 0x40
	s_add_co_i32 s7, s9, s20
	s_lshr_b32 s7, s7, s25
	s_delay_alu instid0(SALU_CYCLE_1) | instskip(NEXT) | instid1(SALU_CYCLE_1)
	s_mul_i32 s9, s7, s26
	s_sub_co_i32 s9, s20, s9
	s_delay_alu instid0(SALU_CYCLE_1) | instskip(NEXT) | instid1(SALU_CYCLE_1)
	s_mul_hi_u32 s10, s9, s27
	s_add_co_i32 s10, s9, s10
	s_delay_alu instid0(SALU_CYCLE_1) | instskip(NEXT) | instid1(SALU_CYCLE_1)
	s_lshr_b32 s21, s10, s28
	s_mul_i32 s10, s21, s29
	s_delay_alu instid0(SALU_CYCLE_1) | instskip(NEXT) | instid1(SALU_CYCLE_1)
	s_sub_co_i32 s10, s9, s10
	s_mul_hi_u32 s9, s10, s30
	s_delay_alu instid0(SALU_CYCLE_1) | instskip(NEXT) | instid1(SALU_CYCLE_1)
	s_add_co_i32 s9, s10, s9
	s_lshr_b32 s24, s9, s31
	s_mov_b32 s9, s23
	s_wait_kmcnt 0x0
	s_mul_i32 s8, s24, s8
	s_delay_alu instid0(SALU_CYCLE_1) | instskip(NEXT) | instid1(SALU_CYCLE_1)
	s_sub_co_i32 s8, s10, s8
	s_mul_u64 s[10:11], s[8:9], s[22:23]
	s_delay_alu instid0(SALU_CYCLE_1) | instskip(NEXT) | instid1(SALU_CYCLE_1)
	s_add_co_i32 s8, s8, s11
	s_lshr_b32 s25, s8, s13
	s_delay_alu instid0(SALU_CYCLE_1) | instskip(NEXT) | instid1(SALU_CYCLE_1)
	s_lshl_b32 s8, s25, 4
	s_add_co_i32 s8, s8, s15
	s_delay_alu instid0(SALU_CYCLE_1) | instskip(SKIP_2) | instid1(SALU_CYCLE_1)
	s_cmp_lt_i32 s8, s4
	s_cselect_b32 s8, -1, 0
	s_add_co_i32 s9, s24, s3
	s_cmp_lt_i32 s9, s6
	s_cselect_b32 s9, -1, 0
	s_delay_alu instid0(SALU_CYCLE_1) | instskip(NEXT) | instid1(SALU_CYCLE_1)
	s_and_b32 s8, s8, s9
	s_and_not1_b32 vcc_lo, exec_lo, s8
	s_cbranch_vccnz .LBB61_24
; %bb.8:
	s_mul_i32 s4, s7, s4
	s_load_b128 s[8:11], s[0:1], 0x0
	s_wait_xcnt 0x0
	s_add_co_i32 s0, s4, s15
	s_mul_i32 s21, s21, s6
	s_mul_i32 s0, s0, s5
	;; [unrolled: 1-line block ×3, first 2 shown]
	s_add_co_i32 s0, s0, s3
	s_lshl_b32 s1, s1, 10
	s_add_co_i32 s0, s0, s21
	s_add_co_i32 s15, s15, s3
	;; [unrolled: 1-line block ×3, first 2 shown]
	v_lshl_or_b32 v6, s15, 6, v0
	s_lshl_b32 s0, s0, 6
	v_cvt_f32_u32_e32 v4, s16
	s_add_co_i32 s1, s1, s0
	s_lshl_b32 s24, s16, 6
	v_or_b32_e32 v2, s1, v0
	s_add_nc_u64 s[0:1], s[16:17], 0
	v_rcp_iflag_f32_e32 v4, v4
	s_xor_b64 s[6:7], s[0:1], 0
	s_lshl_b32 s0, s2, 4
	s_cvt_f32_u32 s3, s6
	s_add_co_i32 s0, s0, s15
	s_cvt_f32_u32 s4, s7
	s_ashr_i32 s1, s0, 31
	s_mov_b32 s25, 0
	s_lshl_b64 s[0:1], s[0:1], 3
	s_fmamk_f32 s3, s4, 0x4f800000, s3
	s_wait_kmcnt 0x0
	s_add_nc_u64 s[0:1], s[10:11], s[0:1]
	s_add_co_i32 s36, s2, -1
	s_load_b64 s[28:29], s[0:1], 0x0
	v_s_rcp_f32 s3, s3
	s_wait_xcnt 0x0
	s_lshl_b64 s[0:1], s[24:25], 2
	s_sub_nc_u64 s[34:35], 0, s[6:7]
	s_add_nc_u64 s[26:27], s[10:11], s[0:1]
	v_mul_f32_e32 v4, 0x4f7ffffe, v4
	s_delay_alu instid0(TRANS32_DEP_1) | instskip(NEXT) | instid1(VALU_DEP_1)
	s_mul_f32 s3, s3, 0x5f7ffffc
	v_cvt_u32_f32_e32 v7, v4
	s_delay_alu instid0(SALU_CYCLE_2) | instskip(NEXT) | instid1(SALU_CYCLE_3)
	s_mul_f32 s4, s3, 0x2f800000
	s_trunc_f32 s4, s4
	s_wait_kmcnt 0x0
	v_mov_b32_e32 v0, s29
	global_load_b32 v1, v2, s[8:9] scale_offset
	v_ashrrev_i32_e32 v3, 31, v2
	s_fmamk_f32 s0, s4, 0xcf800000, s3
	s_cvt_u32_f32 s31, s4
	s_wait_xcnt 0x0
	s_delay_alu instid0(VALU_DEP_1)
	v_lshl_add_u64 v[2:3], v[2:3], 2, s[8:9]
	s_cvt_u32_f32 s30, s0
	s_mov_b64 s[8:9], 0xffffffff
.LBB61_9:                               ; =>This Inner Loop Header: Depth=1
	s_ashr_i32 s37, s36, 31
                                        ; implicit-def: $sgpr40_sgpr41
	s_delay_alu instid0(SALU_CYCLE_1) | instskip(NEXT) | instid1(SALU_CYCLE_1)
	s_mul_u64 s[0:1], s[36:37], s[18:19]
	s_and_b64 s[2:3], s[0:1], 0xffffffff00000000
	s_delay_alu instid0(SALU_CYCLE_1)
	s_cmp_lg_u64 s[2:3], 0
	s_mov_b32 s2, -1
	s_cbranch_scc0 .LBB61_11
; %bb.10:                               ;   in Loop: Header=BB61_9 Depth=1
	s_mul_u64 s[2:3], s[34:35], s[30:31]
	s_delay_alu instid0(SALU_CYCLE_1)
	s_mul_hi_u32 s5, s30, s3
	s_mul_i32 s4, s30, s3
	s_mul_hi_u32 s24, s30, s2
	s_mul_hi_u32 s17, s31, s2
	s_add_nc_u64 s[4:5], s[24:25], s[4:5]
	s_mul_i32 s2, s31, s2
	s_mul_hi_u32 s21, s31, s3
	s_add_co_u32 s2, s4, s2
	s_add_co_ci_u32 s24, s5, s17
	s_add_co_ci_u32 s5, s21, 0
	s_mul_i32 s4, s31, s3
	s_delay_alu instid0(SALU_CYCLE_1) | instskip(NEXT) | instid1(SALU_CYCLE_1)
	s_add_nc_u64 s[2:3], s[24:25], s[4:5]
	s_add_co_u32 s2, s30, s2
	s_cselect_b32 s4, -1, 0
	s_delay_alu instid0(SALU_CYCLE_1) | instskip(SKIP_1) | instid1(SALU_CYCLE_1)
	s_cmp_lg_u32 s4, 0
	s_add_co_ci_u32 s3, s31, s3
	s_mul_u64 s[4:5], s[34:35], s[2:3]
	s_delay_alu instid0(SALU_CYCLE_1)
	s_mul_hi_u32 s39, s2, s5
	s_mul_i32 s38, s2, s5
	s_mul_hi_u32 s24, s2, s4
	s_mul_hi_u32 s17, s3, s4
	s_mul_i32 s4, s3, s4
	s_add_nc_u64 s[38:39], s[24:25], s[38:39]
	s_mul_hi_u32 s21, s3, s5
	s_add_co_u32 s4, s38, s4
	s_add_co_ci_u32 s24, s39, s17
	s_mul_i32 s4, s3, s5
	s_add_co_ci_u32 s5, s21, 0
	s_delay_alu instid0(SALU_CYCLE_1) | instskip(NEXT) | instid1(SALU_CYCLE_1)
	s_add_nc_u64 s[4:5], s[24:25], s[4:5]
	s_add_co_u32 s17, s2, s4
	s_cselect_b32 s2, -1, 0
	s_delay_alu instid0(SALU_CYCLE_1) | instskip(SKIP_2) | instid1(SALU_CYCLE_1)
	s_cmp_lg_u32 s2, 0
	s_add_co_ci_u32 s21, s3, s5
	s_ashr_i32 s2, s1, 31
	s_mov_b32 s3, s2
	s_delay_alu instid0(SALU_CYCLE_1) | instskip(NEXT) | instid1(SALU_CYCLE_1)
	s_add_nc_u64 s[4:5], s[0:1], s[2:3]
	s_xor_b64 s[4:5], s[4:5], s[2:3]
	s_delay_alu instid0(SALU_CYCLE_1)
	s_mul_hi_u32 s39, s4, s21
	s_mul_i32 s38, s4, s21
	s_mul_hi_u32 s24, s4, s17
	s_mul_hi_u32 s29, s5, s17
	s_mul_i32 s17, s5, s17
	s_add_nc_u64 s[38:39], s[24:25], s[38:39]
	s_mul_hi_u32 s1, s5, s21
	s_add_co_u32 s17, s38, s17
	s_add_co_ci_u32 s24, s39, s29
	s_mul_i32 s40, s5, s21
	s_add_co_ci_u32 s41, s1, 0
	s_delay_alu instid0(SALU_CYCLE_1) | instskip(NEXT) | instid1(SALU_CYCLE_1)
	s_add_nc_u64 s[38:39], s[24:25], s[40:41]
	s_and_b64 s[40:41], s[38:39], 0xffffffff00000000
	s_delay_alu instid0(SALU_CYCLE_1) | instskip(NEXT) | instid1(SALU_CYCLE_1)
	s_or_b32 s40, s40, s38
	s_mul_u64 s[38:39], s[6:7], s[40:41]
	s_add_nc_u64 s[42:43], s[40:41], 1
	s_sub_co_u32 s1, s4, s38
	s_cselect_b32 s4, -1, 0
	s_sub_co_i32 s17, s5, s39
	s_cmp_lg_u32 s4, 0
	s_add_nc_u64 s[44:45], s[40:41], 2
	s_sub_co_ci_u32 s17, s17, s7
	s_sub_co_u32 s21, s1, s6
	s_cselect_b32 s24, -1, 0
	s_delay_alu instid0(SALU_CYCLE_1) | instskip(SKIP_1) | instid1(SALU_CYCLE_1)
	s_cmp_lg_u32 s24, 0
	s_sub_co_ci_u32 s17, s17, 0
	s_cmp_ge_u32 s17, s7
	s_cselect_b32 s24, -1, 0
	s_cmp_ge_u32 s21, s6
	s_cselect_b32 s21, -1, 0
	s_cmp_eq_u32 s17, s7
	s_cselect_b32 s17, s21, s24
	s_delay_alu instid0(SALU_CYCLE_1) | instskip(SKIP_4) | instid1(SALU_CYCLE_1)
	s_cmp_lg_u32 s17, 0
	s_cselect_b32 s17, s44, s42
	s_cselect_b32 s21, s45, s43
	s_cmp_lg_u32 s4, 0
	s_sub_co_ci_u32 s4, s5, s39
	s_cmp_ge_u32 s4, s7
	s_cselect_b32 s5, -1, 0
	s_cmp_ge_u32 s1, s6
	s_cselect_b32 s1, -1, 0
	s_cmp_eq_u32 s4, s7
	s_cselect_b32 s1, s1, s5
	s_delay_alu instid0(SALU_CYCLE_1) | instskip(SKIP_3) | instid1(SALU_CYCLE_1)
	s_cmp_lg_u32 s1, 0
	s_cselect_b32 s5, s21, s41
	s_cselect_b32 s4, s17, s40
	s_xor_b64 s[2:3], s[2:3], 0
	s_xor_b64 s[4:5], s[4:5], s[2:3]
	s_delay_alu instid0(SALU_CYCLE_1)
	s_sub_nc_u64 s[40:41], s[4:5], s[2:3]
	s_mov_b32 s2, 0
.LBB61_11:                              ;   in Loop: Header=BB61_9 Depth=1
	s_delay_alu instid0(SALU_CYCLE_1)
	s_and_not1_b32 vcc_lo, exec_lo, s2
	s_cbranch_vccnz .LBB61_13
; %bb.12:                               ;   in Loop: Header=BB61_9 Depth=1
	v_readfirstlane_b32 s1, v7
	s_sub_co_i32 s2, 0, s16
	s_delay_alu instid0(SALU_CYCLE_1) | instskip(NEXT) | instid1(SALU_CYCLE_1)
	s_mul_i32 s2, s2, s1
	s_mul_hi_u32 s2, s1, s2
	s_delay_alu instid0(SALU_CYCLE_1) | instskip(NEXT) | instid1(SALU_CYCLE_1)
	s_add_co_i32 s1, s1, s2
	s_mul_hi_u32 s1, s0, s1
	s_delay_alu instid0(SALU_CYCLE_1) | instskip(NEXT) | instid1(SALU_CYCLE_1)
	s_mul_i32 s2, s1, s16
	s_sub_co_i32 s0, s0, s2
	s_add_co_i32 s2, s1, 1
	s_sub_co_i32 s3, s0, s16
	s_cmp_ge_u32 s0, s16
	s_cselect_b32 s1, s2, s1
	s_cselect_b32 s0, s3, s0
	s_add_co_i32 s2, s1, 1
	s_cmp_ge_u32 s0, s16
	s_cselect_b32 s24, s2, s1
	s_delay_alu instid0(SALU_CYCLE_1)
	s_mov_b64 s[40:41], s[24:25]
.LBB61_13:                              ;   in Loop: Header=BB61_9 Depth=1
	s_delay_alu instid0(SALU_CYCLE_1)
	s_cmp_lg_u32 s20, s40
	s_mov_b32 s0, -1
                                        ; implicit-def: $vgpr4_vgpr5
                                        ; implicit-def: $sgpr24
                                        ; implicit-def: $sgpr17
                                        ; implicit-def: $sgpr21
                                        ; implicit-def: $sgpr29
	s_cbranch_scc0 .LBB61_18
; %bb.14:                               ;   in Loop: Header=BB61_9 Depth=1
	s_add_co_i32 s0, s36, s16
	v_max_num_f32_e64 v4, s28, s28
	s_lshl_b32 s0, s0, 4
	s_mov_b32 s29, s20
	s_add_co_i32 s0, s0, s15
	s_load_b64 s[38:39], s[10:11], s0 offset:0x0 scale_offset
	s_wait_xcnt 0x0
	v_readfirstlane_b32 s0, v4
	s_wait_kmcnt 0x0
	v_max_num_f32_e64 v5, s38, s38
	s_delay_alu instid0(VALU_DEP_1) | instskip(SKIP_1) | instid1(SALU_CYCLE_3)
	v_readfirstlane_b32 s1, v5
	s_max_num_f32 s17, s0, s1
	s_sub_f32 s33, s28, s17
	s_sub_f32 s37, s38, s17
	s_delay_alu instid0(SALU_CYCLE_2)
	s_cmp_nlt_f32 s33, 0xc2ce8ed0
	s_cselect_b32 s1, -1, 0
	s_cmp_ngt_f32 s33, 0x42b17218
	s_cselect_b32 s2, -1, 0
	s_cmp_ge_f32 s33, 0xc1a00000
	s_cselect_b32 s0, -1, 0
	s_cmp_nlt_f32 s37, 0xc2ce8ed0
	s_cselect_b32 s3, -1, 0
	s_cmp_ngt_f32 s37, 0x42b17218
	s_cselect_b32 s4, -1, 0
	s_cmp_ge_f32 s37, 0xc1a00000
	s_cselect_b32 s5, -1, 0
	s_and_b64 s[42:43], s[40:41], s[8:9]
	s_delay_alu instid0(SALU_CYCLE_1) | instskip(NEXT) | instid1(SALU_CYCLE_1)
	s_mul_u64 s[42:43], s[42:43], s[22:23]
	s_add_co_i32 s21, s43, s40
	s_delay_alu instid0(SALU_CYCLE_1) | instskip(NEXT) | instid1(SALU_CYCLE_1)
	s_lshr_b32 s21, s21, s13
	s_mul_i32 s24, s21, s14
	s_delay_alu instid0(SALU_CYCLE_1) | instskip(SKIP_3) | instid1(SALU_CYCLE_1)
	s_cmp_eq_u32 s24, s40
	s_cselect_b32 s24, -1, 0
	s_cmp_lt_u32 s21, s12
	s_cselect_b32 s21, -1, 0
	s_or_b32 s21, s21, s24
	s_mov_b32 s24, -1
	s_and_b32 vcc_lo, exec_lo, s21
	s_mov_b32 s21, s36
	s_cbranch_vccnz .LBB61_16
; %bb.15:                               ;   in Loop: Header=BB61_9 Depth=1
	s_add_co_i32 s21, s36, -1
	s_mov_b32 s24, 0
	s_mov_b32 s29, s40
.LBB61_16:                              ;   in Loop: Header=BB61_9 Depth=1
	v_lshl_add_u32 v4, s36, 10, v6
	s_mul_f32 s40, s33, 0x3fb8aa3b
	s_mul_f32 s38, s37, 0x3fb8aa3b
	s_delay_alu instid0(SALU_CYCLE_2)
	s_xor_b32 s42, s40, 0x80000000
	global_load_b32 v5, v4, s[26:27] scale_offset
	s_fmamk_f32 s42, s33, 0x3fb8aa3b, s42
	s_rndne_f32 s44, s40
	s_xor_b32 s41, s38, 0x80000000
	s_rndne_f32 s43, s38
	s_fmamk_f32 s33, s33, 0x32a5705f, s42
	s_sub_f32 s40, s40, s44
	s_fmamk_f32 s41, s37, 0x3fb8aa3b, s41
	s_sub_f32 s38, s38, s43
	s_delay_alu instid0(SALU_CYCLE_1) | instskip(NEXT) | instid1(SALU_CYCLE_1)
	s_add_f32 s33, s40, s33
	s_fmamk_f32 s37, s37, 0x32a5705f, s41
	s_cvt_i32_f32 s40, s44
	s_delay_alu instid0(SALU_CYCLE_1) | instskip(NEXT) | instid1(SALU_CYCLE_1)
	v_s_exp_f32 s33, s33
	s_add_f32 s37, s38, s37
	s_cvt_i32_f32 s38, s43
	s_delay_alu instid0(SALU_CYCLE_2) | instskip(NEXT) | instid1(TRANS32_DEP_2)
	v_s_exp_f32 s37, s37
	v_ldexp_f32 v8, s33, s40
	s_wait_xcnt 0x0
	s_delay_alu instid0(TRANS32_DEP_1) | instskip(NEXT) | instid1(VALU_DEP_2)
	v_ldexp_f32 v4, s37, s38
	v_cndmask_b32_e64 v8, 0, v8, s1
	s_delay_alu instid0(VALU_DEP_1) | instskip(NEXT) | instid1(VALU_DEP_1)
	v_cndmask_b32_e64 v9, 0x7f800000, v8, s2
	v_dual_cndmask_b32 v4, 0, v4, s3 :: v_dual_cndmask_b32 v10, 0, v9, s0
	s_delay_alu instid0(VALU_DEP_1) | instskip(NEXT) | instid1(VALU_DEP_1)
	v_cndmask_b32_e64 v4, 0x7f800000, v4, s4
	v_dual_cndmask_b32 v8, 0, v4, s5 :: v_dual_mov_b32 v4, s39
	s_wait_loadcnt 0x0
	s_delay_alu instid0(VALU_DEP_1) | instskip(NEXT) | instid1(VALU_DEP_1)
	v_pk_mul_f32 v[4:5], v[4:5], v[8:9] op_sel_hi:[1,0]
	v_pk_fma_f32 v[4:5], v[0:1], v[10:11], v[4:5] op_sel_hi:[1,0,1]
	s_cbranch_execz .LBB61_19
.LBB61_17:                              ;   in Loop: Header=BB61_9 Depth=1
	s_and_not1_b32 vcc_lo, exec_lo, s24
	s_cbranch_vccnz .LBB61_20
	s_branch .LBB61_23
.LBB61_18:                              ;   in Loop: Header=BB61_9 Depth=1
	s_and_not1_b32 vcc_lo, exec_lo, s0
	s_cbranch_vccnz .LBB61_17
.LBB61_19:                              ;   in Loop: Header=BB61_9 Depth=1
	s_wait_loadcnt 0x0
	v_mov_b64_e32 v[4:5], v[0:1]
	s_add_co_i32 s21, s36, -1
	s_mov_b32 s29, s20
	s_mov_b32 s17, s28
	s_cbranch_execz .LBB61_23
.LBB61_20:                              ;   in Loop: Header=BB61_9 Depth=1
	s_wait_loadcnt 0x0
	s_delay_alu instid0(VALU_DEP_1)
	v_mov_b64_e32 v[0:1], v[4:5]
	s_mov_b32 s20, s29
	s_mov_b32 s36, s21
	;; [unrolled: 1-line block ×3, first 2 shown]
	s_branch .LBB61_9
.LBB61_21:
                                        ; implicit-def: $sgpr20_sgpr21
	s_branch .LBB61_2
.LBB61_22:
                                        ; implicit-def: $sgpr24_sgpr25
	s_load_b96 s[12:14], s[0:1], 0x44
	s_branch .LBB61_5
.LBB61_23:
	s_delay_alu instid0(VALU_DEP_1) | instskip(SKIP_1) | instid1(VALU_DEP_1)
	v_div_scale_f32 v0, null, v4, v4, v5
	s_wait_loadcnt 0x0
	v_rcp_f32_e32 v1, v0
	v_nop
	s_delay_alu instid0(TRANS32_DEP_1) | instskip(NEXT) | instid1(VALU_DEP_1)
	v_fma_f32 v6, -v0, v1, 1.0
	v_fmac_f32_e32 v1, v6, v1
	v_div_scale_f32 v6, vcc_lo, v5, v4, v5
	s_delay_alu instid0(VALU_DEP_1) | instskip(NEXT) | instid1(VALU_DEP_1)
	v_mul_f32_e32 v7, v6, v1
	v_fma_f32 v8, -v0, v7, v6
	s_delay_alu instid0(VALU_DEP_1) | instskip(NEXT) | instid1(VALU_DEP_1)
	v_fmac_f32_e32 v7, v8, v1
	v_fma_f32 v0, -v0, v7, v6
	s_delay_alu instid0(VALU_DEP_1) | instskip(NEXT) | instid1(VALU_DEP_1)
	v_div_fmas_f32 v0, v0, v1, v7
	v_div_fixup_f32 v0, v0, v4, v5
	global_store_b32 v[2:3], v0, off
.LBB61_24:
	s_endpgm
	.section	.rodata,"a",@progbits
	.p2align	6, 0x0
	.amdhsa_kernel _ZL33flash_attn_stream_k_fixup_generalILi64ELi16ELi1EEvPfPK15HIP_vector_typeIfLj2EEiiiiS1_IjLj3EES5_S5_S5_
		.amdhsa_group_segment_fixed_size 0
		.amdhsa_private_segment_fixed_size 0
		.amdhsa_kernarg_size 336
		.amdhsa_user_sgpr_count 2
		.amdhsa_user_sgpr_dispatch_ptr 0
		.amdhsa_user_sgpr_queue_ptr 0
		.amdhsa_user_sgpr_kernarg_segment_ptr 1
		.amdhsa_user_sgpr_dispatch_id 0
		.amdhsa_user_sgpr_kernarg_preload_length 0
		.amdhsa_user_sgpr_kernarg_preload_offset 0
		.amdhsa_user_sgpr_private_segment_size 0
		.amdhsa_wavefront_size32 1
		.amdhsa_uses_dynamic_stack 0
		.amdhsa_enable_private_segment 0
		.amdhsa_system_sgpr_workgroup_id_x 1
		.amdhsa_system_sgpr_workgroup_id_y 1
		.amdhsa_system_sgpr_workgroup_id_z 1
		.amdhsa_system_sgpr_workgroup_info 0
		.amdhsa_system_vgpr_workitem_id 0
		.amdhsa_next_free_vgpr 12
		.amdhsa_next_free_sgpr 46
		.amdhsa_named_barrier_count 0
		.amdhsa_reserve_vcc 1
		.amdhsa_float_round_mode_32 0
		.amdhsa_float_round_mode_16_64 0
		.amdhsa_float_denorm_mode_32 3
		.amdhsa_float_denorm_mode_16_64 3
		.amdhsa_fp16_overflow 0
		.amdhsa_memory_ordered 1
		.amdhsa_forward_progress 1
		.amdhsa_inst_pref_size 27
		.amdhsa_round_robin_scheduling 0
		.amdhsa_exception_fp_ieee_invalid_op 0
		.amdhsa_exception_fp_denorm_src 0
		.amdhsa_exception_fp_ieee_div_zero 0
		.amdhsa_exception_fp_ieee_overflow 0
		.amdhsa_exception_fp_ieee_underflow 0
		.amdhsa_exception_fp_ieee_inexact 0
		.amdhsa_exception_int_div_zero 0
	.end_amdhsa_kernel
	.section	.text._ZL33flash_attn_stream_k_fixup_generalILi64ELi16ELi1EEvPfPK15HIP_vector_typeIfLj2EEiiiiS1_IjLj3EES5_S5_S5_,"axG",@progbits,_ZL33flash_attn_stream_k_fixup_generalILi64ELi16ELi1EEvPfPK15HIP_vector_typeIfLj2EEiiiiS1_IjLj3EES5_S5_S5_,comdat
.Lfunc_end61:
	.size	_ZL33flash_attn_stream_k_fixup_generalILi64ELi16ELi1EEvPfPK15HIP_vector_typeIfLj2EEiiiiS1_IjLj3EES5_S5_S5_, .Lfunc_end61-_ZL33flash_attn_stream_k_fixup_generalILi64ELi16ELi1EEvPfPK15HIP_vector_typeIfLj2EEiiiiS1_IjLj3EES5_S5_S5_
                                        ; -- End function
	.set _ZL33flash_attn_stream_k_fixup_generalILi64ELi16ELi1EEvPfPK15HIP_vector_typeIfLj2EEiiiiS1_IjLj3EES5_S5_S5_.num_vgpr, 12
	.set _ZL33flash_attn_stream_k_fixup_generalILi64ELi16ELi1EEvPfPK15HIP_vector_typeIfLj2EEiiiiS1_IjLj3EES5_S5_S5_.num_agpr, 0
	.set _ZL33flash_attn_stream_k_fixup_generalILi64ELi16ELi1EEvPfPK15HIP_vector_typeIfLj2EEiiiiS1_IjLj3EES5_S5_S5_.numbered_sgpr, 46
	.set _ZL33flash_attn_stream_k_fixup_generalILi64ELi16ELi1EEvPfPK15HIP_vector_typeIfLj2EEiiiiS1_IjLj3EES5_S5_S5_.num_named_barrier, 0
	.set _ZL33flash_attn_stream_k_fixup_generalILi64ELi16ELi1EEvPfPK15HIP_vector_typeIfLj2EEiiiiS1_IjLj3EES5_S5_S5_.private_seg_size, 0
	.set _ZL33flash_attn_stream_k_fixup_generalILi64ELi16ELi1EEvPfPK15HIP_vector_typeIfLj2EEiiiiS1_IjLj3EES5_S5_S5_.uses_vcc, 1
	.set _ZL33flash_attn_stream_k_fixup_generalILi64ELi16ELi1EEvPfPK15HIP_vector_typeIfLj2EEiiiiS1_IjLj3EES5_S5_S5_.uses_flat_scratch, 0
	.set _ZL33flash_attn_stream_k_fixup_generalILi64ELi16ELi1EEvPfPK15HIP_vector_typeIfLj2EEiiiiS1_IjLj3EES5_S5_S5_.has_dyn_sized_stack, 0
	.set _ZL33flash_attn_stream_k_fixup_generalILi64ELi16ELi1EEvPfPK15HIP_vector_typeIfLj2EEiiiiS1_IjLj3EES5_S5_S5_.has_recursion, 0
	.set _ZL33flash_attn_stream_k_fixup_generalILi64ELi16ELi1EEvPfPK15HIP_vector_typeIfLj2EEiiiiS1_IjLj3EES5_S5_S5_.has_indirect_call, 0
	.section	.AMDGPU.csdata,"",@progbits
; Kernel info:
; codeLenInByte = 3352
; TotalNumSgprs: 48
; NumVgprs: 12
; ScratchSize: 0
; MemoryBound: 0
; FloatMode: 240
; IeeeMode: 1
; LDSByteSize: 0 bytes/workgroup (compile time only)
; SGPRBlocks: 0
; VGPRBlocks: 0
; NumSGPRsForWavesPerEU: 48
; NumVGPRsForWavesPerEU: 12
; NamedBarCnt: 0
; Occupancy: 16
; WaveLimiterHint : 0
; COMPUTE_PGM_RSRC2:SCRATCH_EN: 0
; COMPUTE_PGM_RSRC2:USER_SGPR: 2
; COMPUTE_PGM_RSRC2:TRAP_HANDLER: 0
; COMPUTE_PGM_RSRC2:TGID_X_EN: 1
; COMPUTE_PGM_RSRC2:TGID_Y_EN: 1
; COMPUTE_PGM_RSRC2:TGID_Z_EN: 1
; COMPUTE_PGM_RSRC2:TIDIG_COMP_CNT: 0
	.section	.text._ZL15flash_attn_tileILi64ELi64ELi8ELi1ELb0EEvPKcS1_S1_S1_S1_PKiPfP15HIP_vector_typeIfLj2EEffffjfiS5_IjLj3EEiiiiiiiiiiiliiliiiiil,"axG",@progbits,_ZL15flash_attn_tileILi64ELi64ELi8ELi1ELb0EEvPKcS1_S1_S1_S1_PKiPfP15HIP_vector_typeIfLj2EEffffjfiS5_IjLj3EEiiiiiiiiiiiliiliiiiil,comdat
	.globl	_ZL15flash_attn_tileILi64ELi64ELi8ELi1ELb0EEvPKcS1_S1_S1_S1_PKiPfP15HIP_vector_typeIfLj2EEffffjfiS5_IjLj3EEiiiiiiiiiiiliiliiiiil ; -- Begin function _ZL15flash_attn_tileILi64ELi64ELi8ELi1ELb0EEvPKcS1_S1_S1_S1_PKiPfP15HIP_vector_typeIfLj2EEffffjfiS5_IjLj3EEiiiiiiiiiiiliiliiiiil
	.p2align	8
	.type	_ZL15flash_attn_tileILi64ELi64ELi8ELi1ELb0EEvPKcS1_S1_S1_S1_PKiPfP15HIP_vector_typeIfLj2EEffffjfiS5_IjLj3EEiiiiiiiiiiiliiliiiiil,@function
_ZL15flash_attn_tileILi64ELi64ELi8ELi1ELb0EEvPKcS1_S1_S1_S1_PKiPfP15HIP_vector_typeIfLj2EEffffjfiS5_IjLj3EEiiiiiiiiiiiliiliiiiil: ; @_ZL15flash_attn_tileILi64ELi64ELi8ELi1ELb0EEvPKcS1_S1_S1_S1_PKiPfP15HIP_vector_typeIfLj2EEffffjfiS5_IjLj3EEiiiiiiiiiiiliiliiiiil
; %bb.0:
	s_clause 0x1
	s_load_b128 s[36:39], s[0:1], 0x5c
	s_load_b64 s[2:3], s[0:1], 0x80
	s_bfe_u32 s6, ttmp6, 0x40014
	s_lshr_b32 s5, ttmp7, 16
	s_add_co_i32 s6, s6, 1
	s_bfe_u32 s7, ttmp6, 0x40008
	s_mul_i32 s6, s5, s6
	s_getreg_b32 s41, hwreg(HW_REG_IB_STS2, 6, 4)
	s_add_co_i32 s7, s7, s6
	s_clause 0x1
	s_load_b512 s[16:31], s[0:1], 0x0
	s_load_b64 s[10:11], s[0:1], 0xb8
	s_mov_b64 s[14:15], 0
	s_wait_kmcnt 0x0
	s_cvt_f32_u32 s4, s39
	s_sub_co_i32 s8, 0, s39
	s_delay_alu instid0(SALU_CYCLE_2) | instskip(SKIP_1) | instid1(TRANS32_DEP_1)
	v_rcp_iflag_f32_e32 v1, s4
	v_nop
	v_readfirstlane_b32 s4, v1
	s_mul_f32 s4, s4, 0x4f7ffffe
	s_delay_alu instid0(SALU_CYCLE_3) | instskip(NEXT) | instid1(SALU_CYCLE_3)
	s_cvt_u32_f32 s4, s4
	s_mul_i32 s8, s8, s4
	s_delay_alu instid0(SALU_CYCLE_1) | instskip(NEXT) | instid1(SALU_CYCLE_1)
	s_mul_hi_u32 s8, s4, s8
	s_add_co_i32 s4, s4, s8
	s_cmp_eq_u32 s41, 0
	s_cselect_b32 s5, s5, s7
	s_delay_alu instid0(SALU_CYCLE_1) | instskip(NEXT) | instid1(SALU_CYCLE_1)
	s_mul_hi_u32 s4, s5, s4
	s_mul_i32 s6, s4, s39
	s_add_co_i32 s7, s4, 1
	s_sub_co_i32 s6, s5, s6
	s_delay_alu instid0(SALU_CYCLE_1)
	s_sub_co_i32 s8, s6, s39
	s_cmp_ge_u32 s6, s39
	s_cselect_b32 s4, s7, s4
	s_cselect_b32 s6, s8, s6
	s_add_co_i32 s7, s4, 1
	s_cmp_ge_u32 s6, s39
	s_cselect_b32 s34, s7, s4
	s_abs_i32 s4, s3
	s_mul_i32 s8, s34, s39
	s_cvt_f32_u32 s6, s4
	s_sub_co_i32 s7, 0, s4
	s_abs_i32 s9, s39
	s_sub_co_i32 s33, s5, s8
	v_rcp_iflag_f32_e32 v1, s6
	s_xor_b32 s3, s39, s3
	s_delay_alu instid0(SALU_CYCLE_1) | instskip(SKIP_1) | instid1(TRANS32_DEP_1)
	s_ashr_i32 s3, s3, 31
	v_nop
	v_readfirstlane_b32 s6, v1
	s_mul_f32 s6, s6, 0x4f7ffffe
	s_delay_alu instid0(SALU_CYCLE_3) | instskip(NEXT) | instid1(SALU_CYCLE_3)
	s_cvt_u32_f32 s6, s6
	s_mul_i32 s7, s7, s6
	s_delay_alu instid0(SALU_CYCLE_1) | instskip(NEXT) | instid1(SALU_CYCLE_1)
	s_mul_hi_u32 s7, s6, s7
	s_add_co_i32 s6, s6, s7
	s_delay_alu instid0(SALU_CYCLE_1) | instskip(NEXT) | instid1(SALU_CYCLE_1)
	s_mul_hi_u32 s5, s9, s6
	s_mul_i32 s6, s5, s4
	s_add_co_i32 s7, s5, 1
	s_sub_co_i32 s6, s9, s6
	s_mov_b32 s9, 0
	s_sub_co_i32 s8, s6, s4
	s_cmp_ge_u32 s6, s4
	s_cselect_b32 s5, s7, s5
	s_cselect_b32 s6, s8, s6
	s_add_co_i32 s7, s5, 1
	s_cmp_ge_u32 s6, s4
	s_cselect_b32 s4, s7, s5
	s_abs_i32 s8, s33
	s_xor_b32 s4, s4, s3
	s_delay_alu instid0(SALU_CYCLE_1) | instskip(NEXT) | instid1(SALU_CYCLE_1)
	s_sub_co_i32 s35, s4, s3
	s_abs_i32 s3, s35
	s_delay_alu instid0(SALU_CYCLE_1) | instskip(SKIP_1) | instid1(SALU_CYCLE_2)
	s_cvt_f32_u32 s4, s3
	s_sub_co_i32 s5, 0, s3
	v_rcp_iflag_f32_e32 v1, s4
	v_nop
	s_delay_alu instid0(TRANS32_DEP_1) | instskip(SKIP_1) | instid1(SALU_CYCLE_3)
	v_readfirstlane_b32 s4, v1
	s_mul_f32 s4, s4, 0x4f7ffffe
	s_cvt_u32_f32 s4, s4
	s_delay_alu instid0(SALU_CYCLE_3) | instskip(NEXT) | instid1(SALU_CYCLE_1)
	s_mul_i32 s5, s5, s4
	s_mul_hi_u32 s5, s4, s5
	s_delay_alu instid0(SALU_CYCLE_1)
	s_add_co_i32 s12, s4, s5
	s_cmp_eq_u64 s[22:23], 0
	s_cbranch_scc1 .LBB62_2
; %bb.1:
	s_abs_i32 s6, s10
	s_abs_i32 s7, s34
	s_cvt_f32_u32 s4, s6
	s_sub_co_i32 s5, 0, s6
	s_delay_alu instid0(SALU_CYCLE_2) | instskip(SKIP_1) | instid1(TRANS32_DEP_1)
	v_rcp_iflag_f32_e32 v1, s4
	v_nop
	v_readfirstlane_b32 s4, v1
	s_mul_f32 s4, s4, 0x4f7ffffe
	s_delay_alu instid0(SALU_CYCLE_3) | instskip(NEXT) | instid1(SALU_CYCLE_3)
	s_cvt_u32_f32 s4, s4
	s_mul_i32 s5, s5, s4
	s_delay_alu instid0(SALU_CYCLE_1) | instskip(NEXT) | instid1(SALU_CYCLE_1)
	s_mul_hi_u32 s5, s4, s5
	s_add_co_i32 s4, s4, s5
	s_delay_alu instid0(SALU_CYCLE_1) | instskip(SKIP_2) | instid1(SALU_CYCLE_1)
	s_mul_hi_u32 s10, s7, s4
	s_load_b64 s[4:5], s[0:1], 0xc8
	s_mul_i32 s10, s10, s6
	s_sub_co_i32 s7, s7, s10
	s_ashr_i32 s10, s34, 31
	s_sub_co_i32 s13, s7, s6
	s_cmp_ge_u32 s7, s6
	s_cselect_b32 s7, s13, s7
	s_delay_alu instid0(SALU_CYCLE_1) | instskip(SKIP_2) | instid1(SALU_CYCLE_1)
	s_sub_co_i32 s13, s7, s6
	s_cmp_ge_u32 s7, s6
	s_cselect_b32 s6, s13, s7
	s_xor_b32 s6, s6, s10
	s_delay_alu instid0(SALU_CYCLE_1) | instskip(NEXT) | instid1(SALU_CYCLE_1)
	s_sub_co_i32 s6, s6, s10
	s_ashr_i32 s7, s6, 31
	s_wait_kmcnt 0x0
	s_mul_u64 s[4:5], s[4:5], s[6:7]
	s_delay_alu instid0(SALU_CYCLE_1)
	s_add_nc_u64 s[14:15], s[22:23], s[4:5]
.LBB62_2:
	s_clause 0x1
	s_load_b128 s[4:7], s[0:1], 0x40
	s_load_b32 s10, s[0:1], 0x50
	v_mov_b32_e32 v101, 1.0
	s_mov_b32 s13, s9
	s_wait_kmcnt 0x0
	s_cmp_le_f32 s5, 0
	s_cbranch_scc1 .LBB62_4
; %bb.3:
	v_sub_co_u32 v1, s5, s33, s10
	s_and_b32 s22, s5, exec_lo
	s_cselect_b32 s7, s6, s7
	v_readfirstlane_b32 s10, v1
	s_lshl_b32 s6, s10, 1
	s_add_co_i32 s10, s33, 1
	s_or_b32 s6, s6, 1
	s_and_b32 s5, s5, exec_lo
	s_cselect_b32 s5, s10, s6
	s_cmp_neq_f32 s7, 1.0
	s_cvt_f32_i32 s5, s5
	s_delay_alu instid0(SALU_CYCLE_3) | instskip(NEXT) | instid1(SALU_CYCLE_1)
	s_cselect_b32 s6, s5, 1.0
	s_cmp_neq_f32 s6, 0
	s_cselect_b32 s5, s7, 1.0
	s_delay_alu instid0(SALU_CYCLE_1) | instskip(NEXT) | instid1(VALU_DEP_1)
	v_cvt_f64_f32_e64 v[2:3], |s5|
	v_frexp_exp_i32_f64_e32 v1, v[2:3]
	v_frexp_mant_f32_e64 v2, |s5|
	s_delay_alu instid0(VALU_DEP_1) | instskip(SKIP_2) | instid1(SALU_CYCLE_1)
	v_readfirstlane_b32 s7, v2
	s_cmp_lt_f32 s7, 0x3f2aaaab
	s_cselect_b32 vcc_lo, -1, 0
	s_and_b32 s10, vcc_lo, exec_lo
	s_cselect_b32 s10, 2.0, 1.0
	s_delay_alu instid0(SALU_CYCLE_1) | instskip(NEXT) | instid1(SALU_CYCLE_3)
	s_mul_f32 s7, s7, s10
	s_add_f32 s10, s7, 1.0
	s_add_f32 s23, s7, -1.0
	s_delay_alu instid0(SALU_CYCLE_2) | instskip(SKIP_2) | instid1(SALU_CYCLE_2)
	v_s_rcp_f32 s22, s10
	s_add_f32 s43, s10, -1.0
	v_subrev_co_ci_u32_e64 v1, null, 0, v1, vcc_lo
	s_sub_f32 s7, s7, s43
	s_delay_alu instid0(TRANS32_DEP_1) | instskip(SKIP_1) | instid1(SALU_CYCLE_2)
	s_mul_f32 s40, s23, s22
	v_cvt_f32_i32_e32 v1, v1
	s_mul_f32 s42, s10, s40
	s_delay_alu instid0(SALU_CYCLE_3) | instskip(SKIP_1) | instid1(SALU_CYCLE_1)
	v_dual_mov_b32 v3, s23 :: v_dual_mov_b32 v4, s42
	s_xor_b32 s44, s42, 0x80000000
	s_fmac_f32 s44, s40, s10
	s_delay_alu instid0(SALU_CYCLE_3) | instskip(NEXT) | instid1(SALU_CYCLE_3)
	s_fmac_f32 s44, s40, s7
	s_add_f32 s7, s42, s44
	s_delay_alu instid0(SALU_CYCLE_3) | instskip(SKIP_1) | instid1(SALU_CYCLE_3)
	v_dual_mov_b32 v6, s44 :: v_dual_mov_b32 v7, s7
	s_sub_f32 s10, s23, s7
	v_dual_mov_b32 v2, s7 :: v_dual_mov_b32 v5, s10
	s_delay_alu instid0(VALU_DEP_1) | instskip(NEXT) | instid1(VALU_DEP_1)
	v_pk_add_f32 v[2:3], v[2:3], v[4:5] neg_lo:[0,1] neg_hi:[0,1]
	v_pk_add_f32 v[2:3], v[2:3], v[6:7] neg_lo:[0,1] neg_hi:[0,1]
	s_delay_alu instid0(VALU_DEP_1) | instskip(NEXT) | instid1(VALU_DEP_2)
	v_readfirstlane_b32 s7, v3
	v_readfirstlane_b32 s23, v2
	s_add_f32 s7, s23, s7
	s_delay_alu instid0(SALU_CYCLE_3) | instskip(NEXT) | instid1(SALU_CYCLE_3)
	s_add_f32 s7, s10, s7
	s_mul_f32 s7, s22, s7
	s_delay_alu instid0(SALU_CYCLE_3) | instskip(NEXT) | instid1(SALU_CYCLE_3)
	s_add_f32 s22, s40, s7
	s_sub_f32 s10, s22, s40
	s_mul_f32 s23, s22, s22
	s_delay_alu instid0(SALU_CYCLE_2) | instskip(NEXT) | instid1(SALU_CYCLE_2)
	s_sub_f32 s7, s7, s10
	s_xor_b32 s10, s23, 0x80000000
	s_delay_alu instid0(SALU_CYCLE_1) | instskip(NEXT) | instid1(SALU_CYCLE_1)
	s_fmac_f32 s10, s22, s22
	s_add_f32 s40, s7, s7
	s_delay_alu instid0(SALU_CYCLE_3) | instskip(SKIP_1) | instid1(SALU_CYCLE_2)
	s_fmac_f32 s10, s22, s40
	s_mov_b32 s40, 0x3e76c4e1
	s_add_f32 s42, s23, s10
	s_delay_alu instid0(SALU_CYCLE_3) | instskip(SKIP_1) | instid1(SALU_CYCLE_2)
	s_fmaak_f32 s40, s42, s40, 0x3e91f4c4
	s_sub_f32 s23, s42, s23
	s_fmaak_f32 s40, s42, s40, 0x3ecccdef
	s_delay_alu instid0(SALU_CYCLE_2) | instskip(NEXT) | instid1(SALU_CYCLE_2)
	s_sub_f32 s10, s10, s23
	s_mul_f32 s43, s42, s40
	s_delay_alu instid0(SALU_CYCLE_3) | instskip(NEXT) | instid1(SALU_CYCLE_1)
	s_xor_b32 s44, s43, 0x80000000
	s_fmac_f32 s44, s42, s40
	s_delay_alu instid0(SALU_CYCLE_3) | instskip(NEXT) | instid1(SALU_CYCLE_3)
	s_fmac_f32 s44, s10, s40
	s_add_f32 s40, s43, s44
	s_delay_alu instid0(SALU_CYCLE_3) | instskip(SKIP_1) | instid1(SALU_CYCLE_2)
	s_sub_f32 s23, s40, s43
	s_add_f32 s45, s40, 0x3f2aaaaa
	s_sub_f32 s23, s44, s23
	s_delay_alu instid0(SALU_CYCLE_2) | instskip(NEXT) | instid1(SALU_CYCLE_2)
	s_add_f32 s43, s45, 0xbf2aaaaa
	s_add_f32 s23, s23, 0x31739010
	s_delay_alu instid0(SALU_CYCLE_2) | instskip(NEXT) | instid1(SALU_CYCLE_2)
	s_sub_f32 s43, s40, s43
	v_mov_b64_e32 v[2:3], s[22:23]
	s_delay_alu instid0(SALU_CYCLE_2) | instskip(NEXT) | instid1(VALU_DEP_1)
	v_mov_b64_e32 v[4:5], s[42:43]
	v_pk_mul_f32 v[6:7], v[2:3], v[4:5]
	v_pk_add_f32 v[2:3], v[2:3], v[4:5]
	v_mov_b32_e32 v9, s45
	s_delay_alu instid0(VALU_DEP_3) | instskip(NEXT) | instid1(VALU_DEP_3)
	v_xor_b32_e32 v8, 0x80000000, v6
	v_mov_b32_e32 v7, v3
	s_delay_alu instid0(VALU_DEP_2) | instskip(NEXT) | instid1(VALU_DEP_1)
	v_fmac_f32_e64 v8, s42, s22
	v_fmac_f32_e64 v8, s42, s7
	s_delay_alu instid0(VALU_DEP_1) | instskip(NEXT) | instid1(VALU_DEP_1)
	v_fmac_f32_e64 v8, s10, s22
	v_pk_add_f32 v[4:5], v[6:7], v[8:9]
	s_delay_alu instid0(VALU_DEP_1) | instskip(SKIP_1) | instid1(VALU_DEP_2)
	v_dual_mov_b32 v2, v5 :: v_dual_sub_f32 v7, s45, v5
	v_mul_f32_e32 v12, 0x3f317218, v1
	v_pk_mul_f32 v[10:11], v[4:5], v[2:3]
	s_delay_alu instid0(VALU_DEP_3) | instskip(NEXT) | instid1(VALU_DEP_3)
	v_add_f32_e32 v3, v3, v7
	v_xor_b32_e32 v7, 0x80000000, v12
	s_delay_alu instid0(VALU_DEP_3) | instskip(NEXT) | instid1(VALU_DEP_2)
	v_xor_b32_e32 v2, 0x80000000, v10
	v_dual_sub_f32 v6, v4, v6 :: v_dual_fmac_f32 v7, 0x3f317218, v1
	s_delay_alu instid0(VALU_DEP_2) | instskip(NEXT) | instid1(VALU_DEP_2)
	v_fmac_f32_e32 v2, v4, v5
	v_sub_f32_e32 v6, v8, v6
	s_delay_alu instid0(VALU_DEP_2) | instskip(NEXT) | instid1(VALU_DEP_1)
	v_fmac_f32_e32 v2, v4, v3
	v_fmac_f32_e32 v2, v6, v5
	v_fmamk_f32 v4, v1, 0xb102e308, v7
	v_ldexp_f32 v5, s22, 1
	v_ldexp_f32 v1, s7, 1
	s_delay_alu instid0(VALU_DEP_2) | instskip(NEXT) | instid1(VALU_DEP_1)
	v_dual_add_f32 v13, v10, v2 :: v_dual_mov_b32 v11, v5
	v_pk_add_f32 v[6:7], v[12:13], v[4:5]
	v_dual_mov_b32 v8, v13 :: v_dual_mov_b32 v3, v13
	s_delay_alu instid0(VALU_DEP_2) | instskip(SKIP_1) | instid1(VALU_DEP_2)
	v_dual_mov_b32 v9, v7 :: v_dual_mov_b32 v5, v6
	v_mov_b32_e32 v14, v7
	v_pk_add_f32 v[8:9], v[8:9], v[10:11] neg_lo:[0,1] neg_hi:[0,1]
	s_delay_alu instid0(VALU_DEP_1) | instskip(NEXT) | instid1(VALU_DEP_1)
	v_pk_add_f32 v[2:3], v[2:3], v[8:9] neg_lo:[0,1] neg_hi:[0,1]
	v_add_f32_e32 v1, v1, v2
	s_delay_alu instid0(VALU_DEP_1) | instskip(NEXT) | instid1(VALU_DEP_1)
	v_add_f32_e32 v13, v1, v3
	v_pk_add_f32 v[2:3], v[6:7], v[12:13]
	v_pk_add_f32 v[8:9], v[6:7], v[12:13] neg_lo:[0,1] neg_hi:[0,1]
	s_delay_alu instid0(VALU_DEP_2) | instskip(NEXT) | instid1(VALU_DEP_1)
	v_mov_b32_e32 v9, v3
	v_pk_add_f32 v[10:11], v[4:5], v[8:9]
	v_pk_add_f32 v[4:5], v[4:5], v[8:9] neg_lo:[0,1] neg_hi:[0,1]
	v_dual_mov_b32 v16, v3 :: v_dual_mov_b32 v5, v6
	s_delay_alu instid0(VALU_DEP_3) | instskip(NEXT) | instid1(VALU_DEP_3)
	v_dual_mov_b32 v12, v11 :: v_dual_mov_b32 v17, v11
	v_readfirstlane_b32 s7, v4
	s_delay_alu instid0(VALU_DEP_2) | instskip(NEXT) | instid1(VALU_DEP_2)
	v_pk_add_f32 v[8:9], v[12:13], v[6:7] neg_lo:[0,1] neg_hi:[0,1]
	v_dual_mov_b32 v4, v13 :: v_dual_mov_b32 v10, s7
	s_delay_alu instid0(VALU_DEP_2) | instskip(NEXT) | instid1(VALU_DEP_1)
	v_dual_mov_b32 v15, v8 :: v_dual_mov_b32 v1, v8
	v_pk_add_f32 v[6:7], v[16:17], v[14:15] neg_lo:[0,1] neg_hi:[0,1]
	s_delay_alu instid0(VALU_DEP_2) | instskip(SKIP_1) | instid1(VALU_DEP_3)
	v_pk_add_f32 v[2:3], v[2:3], v[0:1] neg_lo:[0,1] neg_hi:[0,1]
	v_mov_b32_e32 v2, s7
	v_pk_add_f32 v[4:5], v[4:5], v[6:7] neg_lo:[0,1] neg_hi:[0,1]
	s_delay_alu instid0(VALU_DEP_1) | instskip(NEXT) | instid1(VALU_DEP_1)
	v_pk_add_f32 v[2:3], v[2:3], v[4:5]
	v_readfirstlane_b32 s10, v2
	s_delay_alu instid0(VALU_DEP_2) | instskip(NEXT) | instid1(VALU_DEP_1)
	v_mov_b32_e32 v6, v3
	v_pk_add_f32 v[6:7], v[2:3], v[6:7]
	s_delay_alu instid0(VALU_DEP_3) | instskip(NEXT) | instid1(VALU_DEP_2)
	v_mov_b32_e32 v2, s10
	v_pk_add_f32 v[8:9], v[12:13], v[6:7]
	v_mov_b32_e32 v5, v6
	s_delay_alu instid0(VALU_DEP_2) | instskip(NEXT) | instid1(VALU_DEP_1)
	v_readfirstlane_b32 s22, v8
	v_mov_b32_e32 v3, s22
	s_delay_alu instid0(VALU_DEP_1) | instskip(NEXT) | instid1(VALU_DEP_1)
	v_pk_add_f32 v[2:3], v[2:3], v[10:11] neg_lo:[0,1] neg_hi:[0,1]
	v_readfirstlane_b32 s23, v2
	s_delay_alu instid0(VALU_DEP_2) | instskip(SKIP_1) | instid1(VALU_DEP_1)
	v_pk_add_f32 v[2:3], v[4:5], v[2:3] neg_lo:[0,1] neg_hi:[0,1]
	s_sub_f32 s10, s10, s23
	v_readfirstlane_b32 s23, v2
	s_delay_alu instid0(SALU_CYCLE_2) | instskip(SKIP_1) | instid1(SALU_CYCLE_2)
	s_sub_f32 s7, s7, s10
	v_readfirstlane_b32 s10, v3
	s_add_f32 s7, s23, s7
	s_delay_alu instid0(SALU_CYCLE_3) | instskip(NEXT) | instid1(SALU_CYCLE_3)
	s_add_f32 s7, s7, s10
	s_add_f32 s10, s22, s7
	s_delay_alu instid0(SALU_CYCLE_3) | instskip(SKIP_1) | instid1(SALU_CYCLE_2)
	s_mul_f32 s23, s6, s10
	s_sub_f32 s22, s10, s22
	s_xor_b32 s40, s23, 0x80000000
	s_delay_alu instid0(SALU_CYCLE_2) | instskip(SKIP_1) | instid1(SALU_CYCLE_3)
	s_sub_f32 s7, s7, s22
	s_fmac_f32 s40, s6, s10
	s_fmac_f32 s40, s6, s7
	v_cmp_class_f32_e64 s7, s23, 0x204
	s_delay_alu instid0(SALU_CYCLE_2) | instskip(SKIP_1) | instid1(SALU_CYCLE_2)
	s_add_f32 s10, s23, s40
	s_and_b32 s7, s7, exec_lo
	s_sub_f32 s7, s10, s23
	s_cselect_b32 s10, s23, s10
	s_delay_alu instid0(SALU_CYCLE_1) | instskip(NEXT) | instid1(SALU_CYCLE_1)
	s_and_b32 s22, s10, 0x7fffffff
	s_sub_f32 s7, s40, s7
	s_cmp_neq_f32 s22, 0x7f800000
	s_delay_alu instid0(SALU_CYCLE_2) | instskip(SKIP_2) | instid1(SALU_CYCLE_1)
	s_cselect_b32 s7, s7, 0
	s_cmp_eq_f32 s10, 0x42b17218
	s_cselect_b32 s22, 0x37000000, 0
	s_sub_f32 s10, s10, s22
	s_add_f32 s7, s22, s7
	s_delay_alu instid0(SALU_CYCLE_2) | instskip(NEXT) | instid1(SALU_CYCLE_3)
	s_mul_f32 s23, s10, 0x3fb8aa3b
	s_xor_b32 s40, s23, 0x80000000
	s_rndne_f32 s42, s23
	s_fmamk_f32 s40, s10, 0x3fb8aa3b, s40
	s_cmp_nlt_f32 s10, 0xc2ce8ed0
	s_delay_alu instid0(SALU_CYCLE_1) | instskip(NEXT) | instid1(SALU_CYCLE_1)
	s_sub_f32 s23, s23, s42
	s_fmamk_f32 s40, s10, 0x32a5705f, s40
	s_cselect_b32 vcc_lo, -1, 0
	s_cmp_ngt_f32 s10, 0x42b17218
	s_trunc_f32 s10, s6
	s_add_f32 s23, s23, s40
	s_cvt_i32_f32 s40, s42
	s_delay_alu instid0(SALU_CYCLE_2)
	v_s_exp_f32 s23, s23
	v_nop
	s_delay_alu instid0(TRANS32_DEP_1) | instid1(SALU_CYCLE_1)
	v_ldexp_f32 v1, s23, s40
	s_mul_f32 s23, s6, 0.5
	s_delay_alu instid0(VALU_DEP_1) | instskip(SKIP_3) | instid1(VALU_DEP_1)
	v_cndmask_b32_e32 v1, 0, v1, vcc_lo
	s_cselect_b32 vcc_lo, -1, 0
	s_cmp_eq_f32 s10, s6
	s_trunc_f32 s40, s23
	v_cndmask_b32_e32 v1, 0x7f800000, v1, vcc_lo
	s_cselect_b32 s42, -1, 0
	s_delay_alu instid0(SALU_CYCLE_1) | instskip(NEXT) | instid1(VALU_DEP_1)
	s_cmp_neq_f32 s40, s23
	v_fma_f32 v2, s7, v1, v1
	v_cmp_class_f32_e64 vcc_lo, v1, 0x204
	s_cselect_b32 s22, -1, 0
	s_delay_alu instid0(SALU_CYCLE_1)
	s_and_b32 s7, s42, s22
	v_cndmask_b32_e32 v1, v2, v1, vcc_lo
	s_and_b32 s22, s7, exec_lo
	s_cselect_b32 s22, s5, 1.0
	s_cmp_eq_f32 s10, s6
	v_cmp_class_f32_e64 s10, s5, 0x204
	v_bfi_b32 v1, 0x7fffffff, v1, s22
	s_cselect_b32 vcc_lo, -1, 0
	s_cmp_lt_f32 s5, 0
	s_delay_alu instid0(VALU_DEP_1) | instskip(SKIP_2) | instid1(VALU_DEP_1)
	v_cndmask_b32_e32 v2, 0x7fc00000, v1, vcc_lo
	s_cselect_b32 vcc_lo, -1, 0
	s_cmp_eq_f32 s5, 0
	v_cndmask_b32_e32 v1, v1, v2, vcc_lo
	s_cselect_b32 s22, -1, 0
	s_delay_alu instid0(SALU_CYCLE_1) | instskip(SKIP_2) | instid1(SALU_CYCLE_1)
	s_or_b32 vcc_lo, s22, s10
	s_cmp_lt_f32 s6, 0
	s_cselect_b32 s6, -1, 0
	s_xor_b32 s6, s6, s22
	s_delay_alu instid0(SALU_CYCLE_1)
	s_and_b32 s6, s6, exec_lo
	s_cselect_b32 s6, 0, 0x7f800000
	s_and_b32 s7, s7, exec_lo
	s_cselect_b32 s7, s5, 0
	s_cmp_o_f32 s5, s5
	v_mov_b32_e32 v2, s7
	s_delay_alu instid0(VALU_DEP_1) | instskip(NEXT) | instid1(VALU_DEP_1)
	v_bfi_b32 v2, 0x7fffffff, s6, v2
	v_cndmask_b32_e32 v1, v1, v2, vcc_lo
	s_cselect_b32 vcc_lo, -1, 0
	s_delay_alu instid0(VALU_DEP_1)
	v_cndmask_b32_e32 v101, 0x7fc00000, v1, vcc_lo
.LBB62_4:
	s_bfe_u32 s5, ttmp6, 0x4000c
	s_and_b32 s6, ttmp6, 15
	s_add_co_i32 s5, s5, 1
	s_ashr_i32 s10, s33, 31
	s_mul_i32 s5, ttmp9, s5
	v_bfe_u32 v100, v0, 10, 10
	s_ashr_i32 s22, s35, 31
	s_add_co_i32 s6, s6, s5
	s_cmp_eq_u32 s41, 0
	s_load_b96 s[44:46], s[0:1], 0x70
	s_cselect_b32 s5, ttmp9, s6
	v_and_b32_e32 v32, 0x3ff, v0
	s_lshl_b32 s40, s5, 3
	v_dual_lshlrev_b32 v95, 1, v100 :: v_dual_mov_b32 v35, 0
	s_mul_u64 s[12:13], s[8:9], s[12:13]
	s_delay_alu instid0(VALU_DEP_1) | instskip(NEXT) | instid1(VALU_DEP_1)
	v_dual_lshlrev_b32 v34, 3, v32 :: v_dual_bitop2_b32 v94, 1, v95 bitop3:0x54
	v_dual_add_nc_u32 v96, s40, v94 :: v_dual_add_nc_u32 v97, s40, v95
	s_delay_alu instid0(VALU_DEP_1) | instskip(NEXT) | instid1(VALU_DEP_2)
	v_mul_hi_u32 v2, v96, s36
	v_mul_hi_u32 v1, v97, s36
	s_wait_kmcnt 0x0
	s_mul_i32 s6, s34, s46
	s_mul_i32 s42, s33, s45
	s_ashr_i32 s7, s6, 31
	s_ashr_i32 s43, s42, 31
	s_add_nc_u64 s[6:7], s[16:17], s[6:7]
	s_ashr_i32 s45, s44, 31
	s_add_nc_u64 s[6:7], s[6:7], s[42:43]
	s_mov_b32 s17, 0
	s_delay_alu instid0(VALU_DEP_1) | instskip(NEXT) | instid1(VALU_DEP_1)
	v_dual_add_nc_u32 v2, v96, v2 :: v_dual_add_nc_u32 v1, v97, v1
	v_dual_lshrrev_b32 v0, s37, v2 :: v_dual_lshrrev_b32 v1, s37, v1
	s_delay_alu instid0(VALU_DEP_1) | instskip(NEXT) | instid1(VALU_DEP_2)
	v_mul_lo_u32 v2, v0, s38
	v_mul_lo_u32 v1, v1, s38
	s_delay_alu instid0(VALU_DEP_1) | instskip(SKIP_1) | instid1(VALU_DEP_4)
	v_dual_mov_b32 v39, v35 :: v_dual_sub_nc_u32 v38, v97, v1
	v_add_nc_u64_e32 v[0:1], s[6:7], v[34:35]
	v_sub_nc_u32_e32 v34, v96, v2
	s_lshr_b64 s[6:7], s[44:45], 2
	s_cmp_eq_u64 s[26:27], 0
	v_mul_u64_e32 v[2:3], s[6:7], v[38:39]
	v_lshlrev_b32_e32 v39, 8, v100
	v_mul_u64_e32 v[4:5], s[6:7], v[34:35]
	s_delay_alu instid0(VALU_DEP_3) | instskip(NEXT) | instid1(VALU_DEP_2)
	v_lshl_add_u64 v[2:3], v[2:3], 2, v[0:1]
	v_lshl_add_u64 v[0:1], v[4:5], 2, v[0:1]
	s_clause 0x1
	global_load_b64 v[4:5], v[2:3], off
	global_load_b64 v[6:7], v[0:1], off
	s_wait_xcnt 0x0
	v_lshl_or_b32 v0, v32, 2, 0x5000
	s_wait_loadcnt 0x1
	v_fma_mixlo_f16 v1, s4, v5, 0
	v_fma_mixlo_f16 v2, s4, v4, 0
	s_wait_loadcnt 0x0
	v_fma_mixlo_f16 v3, s4, v7, 0
	v_fma_mixlo_f16 v4, s4, v6, 0
	v_lshlrev_b32_e32 v1, 16, v1
	v_and_b32_e32 v2, 0xffff, v2
	s_delay_alu instid0(VALU_DEP_4) | instskip(NEXT) | instid1(VALU_DEP_4)
	v_lshlrev_b32_e32 v3, 16, v3
	v_and_b32_e32 v4, 0xffff, v4
	v_add_nc_u32_e32 v5, v0, v39
	v_lshl_add_u32 v0, v94, 7, v0
	v_or_b32_e32 v1, v1, v2
	s_delay_alu instid0(VALU_DEP_4)
	v_or_b32_e32 v2, v3, v4
	ds_store_b32 v5, v1
	ds_store_b32 v0, v2
	s_wait_dscnt 0x0
	s_barrier_signal -1
	s_barrier_wait -1
	s_cbranch_scc1 .LBB62_6
; %bb.5:
	s_load_b32 s2, s[0:1], 0xd0
	s_wait_kmcnt 0x0
	s_mul_i32 s2, s2, s34
	s_delay_alu instid0(SALU_CYCLE_1)
	s_add_co_i32 s2, s2, s5
	s_load_b32 s2, s[26:27], s2 offset:0x0 scale_offset
.LBB62_6:
	s_wait_xcnt 0x0
	s_clause 0x2
	s_load_b64 s[26:27], s[0:1], 0x8c
	s_load_b128 s[4:7], s[0:1], 0x98
	s_load_b64 s[42:43], s[0:1], 0xa8
	s_xor_b32 s9, s10, s22
	s_mul_i32 s10, s13, s3
	s_mov_b32 s16, s36
	s_sub_co_i32 s23, s8, s10
	s_ashr_i32 s36, s11, 1
	s_ashr_i32 s35, s34, 31
	s_add_co_i32 s12, s13, 1
	s_sub_co_i32 s44, s23, s3
	v_dual_lshrrev_b32 v102, 3, v32 :: v_dual_lshlrev_b32 v99, 2, v32
	v_mul_u32_u24_e32 v33, 0x90, v32
	v_or_b32_e32 v36, 1, v97
	v_mbcnt_lo_u32_b32 v98, -1, 0
	s_wait_kmcnt 0x0
	s_ashr_i32 s8, s26, 2
	s_ashr_i32 s22, s6, 2
	s_cmp_ge_u32 s23, s3
	s_mul_u64 s[4:5], s[4:5], s[34:35]
	s_cselect_b32 s6, s12, s13
	s_cselect_b32 s12, s44, s23
	s_add_co_i32 s13, s6, 1
	s_cmp_ge_u32 s12, s3
	s_add_nc_u64 s[4:5], s[18:19], s[4:5]
	s_cselect_b32 s3, s13, s6
	s_bfe_u32 s6, ttmp6, 0x40010
	s_xor_b32 s3, s3, s9
	s_and_b32 s18, ttmp7, 0xffff
	s_add_co_i32 s6, s6, 1
	s_sub_co_i32 s3, s3, s9
	s_bfe_u32 s13, ttmp6, 0x40004
	s_mul_i32 s9, s18, s6
	s_mul_i32 s6, s3, s27
	;; [unrolled: 1-line block ×3, first 2 shown]
	s_add_co_i32 s3, s13, s9
	s_ashr_i32 s7, s6, 31
	s_ashr_i32 s13, s12, 31
	s_cmp_eq_u32 s41, 0
	s_mul_u64 s[10:11], s[42:43], s[34:35]
	s_cselect_b32 s35, s18, s3
	s_add_nc_u64 s[4:5], s[4:5], s[6:7]
	s_add_co_i32 s3, s2, 0xffffff80
	s_lshl_b32 s18, s35, 7
	s_add_nc_u64 s[6:7], s[20:21], s[10:11]
	s_cmp_ge_i32 s18, s3
	s_add_nc_u64 s[26:27], s[6:7], s[12:13]
	s_cbranch_scc1 .LBB62_27
; %bb.7:
	v_dual_mov_b32 v43, 0 :: v_dual_bitop2_b32 v0, 28, v99 bitop3:0x40
	v_lshl_add_u32 v1, v100, 2, v102
	s_ashr_i32 s9, s8, 31
	s_lshl_b32 s6, s8, 4
	s_delay_alu instid0(VALU_DEP_2)
	v_mov_b32_e32 v37, v43
	s_cmp_lg_u64 s[14:15], 0
	v_mul_lo_u32 v44, s8, v1
	v_mul_lo_u32 v46, s22, v1
	s_cselect_b32 s10, -1, 0
	v_mul_u64_e32 v[2:3], s[16:17], v[36:37]
	s_lshl_b32 s7, s22, 4
	v_dual_lshlrev_b32 v2, 2, v0 :: v_dual_lshlrev_b32 v42, 2, v0
	v_mov_b32_e32 v35, v43
	v_mul_lo_u32 v104, v38, s36
	v_lshl_add_u32 v105, v100, 9, 0x4800
	s_delay_alu instid0(VALU_DEP_4) | instskip(SKIP_3) | instid1(VALU_DEP_3)
	v_mad_u32_u24 v37, 0x90, v1, v2
	v_dual_add_nc_u32 v48, s6, v44 :: v_dual_add_nc_u32 v50, s7, v46
	v_lshl_or_b32 v106, v1, 7, v2
	v_dual_mov_b32 v34, v43 :: v_dual_add_nc_u32 v103, 0x5000, v39
	v_dual_add_nc_u32 v52, s6, v48 :: v_dual_add_nc_u32 v54, s7, v50
	v_dual_mov_b32 v86, v43 :: v_dual_add_nc_u32 v107, 0x900, v37
	v_dual_mov_b32 v87, v43 :: v_dual_add_nc_u32 v108, 0x1200, v37
	s_delay_alu instid0(VALU_DEP_3) | instskip(SKIP_3) | instid1(VALU_DEP_4)
	v_dual_add_nc_u32 v56, s6, v52 :: v_dual_add_nc_u32 v58, s7, v54
	v_ashrrev_i32_e32 v51, 31, v50
	v_add_nc_u32_e32 v109, 0x1b00, v37
	v_add_nc_u32_e32 v110, 0x2400, v37
	;; [unrolled: 1-line block ×10, first 2 shown]
	v_dual_add_nc_u32 v0, v36, v3 :: v_dual_ashrrev_i32 v49, 31, v48
	v_add_nc_u32_e32 v62, s7, v58
	v_add_nc_u32_e32 v118, 0x2800, v106
	;; [unrolled: 1-line block ×3, first 2 shown]
	s_delay_alu instid0(VALU_DEP_4) | instskip(NEXT) | instid1(VALU_DEP_4)
	v_lshrrev_b32_e32 v0, s37, v0
	v_dual_add_nc_u32 v64, s6, v60 :: v_dual_add_nc_u32 v66, s7, v62
	v_ashrrev_i32_e32 v61, 31, v60
	v_dual_ashrrev_i32 v45, 31, v44 :: v_dual_ashrrev_i32 v47, 31, v46
	s_delay_alu instid0(VALU_DEP_4) | instskip(NEXT) | instid1(VALU_DEP_4)
	v_mul_lo_u32 v0, v0, s38
	v_dual_add_nc_u32 v70, s7, v66 :: v_dual_add_nc_u32 v68, s6, v64
	v_dual_ashrrev_i32 v63, 31, v62 :: v_dual_ashrrev_i32 v53, 31, v52
	v_ashrrev_i32_e32 v55, 31, v54
	s_delay_alu instid0(VALU_DEP_3) | instskip(SKIP_3) | instid1(VALU_DEP_4)
	v_dual_add_nc_u32 v74, s7, v70 :: v_dual_add_nc_u32 v72, s6, v68
	v_dual_ashrrev_i32 v57, 31, v56 :: v_dual_ashrrev_i32 v59, 31, v58
	v_dual_ashrrev_i32 v71, 31, v70 :: v_dual_sub_nc_u32 v0, v36, v0
	v_dual_ashrrev_i32 v65, 31, v64 :: v_dual_ashrrev_i32 v67, 31, v66
	v_dual_ashrrev_i32 v69, 31, v68 :: v_dual_ashrrev_i32 v75, 31, v74
	s_delay_alu instid0(VALU_DEP_3)
	v_mul_lo_u32 v120, v0, s36
	v_dual_mov_b32 v76, 0xfeffffff :: v_dual_ashrrev_i32 v73, 31, v72
	v_add_nc_u32_e32 v121, 0x3800, v106
	v_dual_mov_b32 v77, 0xfeffffff :: v_dual_add_nc_u32 v122, v105, v99
	v_mbcnt_lo_u32_b32 v123, -1, 0
	s_add_nc_u64 s[6:7], s[0:1], 0xd0
	s_ashr_i32 s23, s22, 31
.LBB62_8:                               ; =>This Inner Loop Header: Depth=1
	s_ashr_i32 s19, s18, 31
	s_and_not1_b32 vcc_lo, exec_lo, s10
	s_mul_u64 s[12:13], s[18:19], s[8:9]
	v_mov_b32_e32 v93, 0
	s_lshl_b64 s[12:13], s[12:13], 2
	v_mov_b32_e32 v124, 0
	s_add_nc_u64 s[12:13], s[4:5], s[12:13]
	v_mov_b32_e32 v125, 0
	v_lshl_add_u64 v[0:1], v[44:45], 2, s[12:13]
	v_lshl_add_u64 v[2:3], v[48:49], 2, s[12:13]
	;; [unrolled: 1-line block ×6, first 2 shown]
	v_add_nc_u64_e32 v[0:1], v[0:1], v[42:43]
	v_lshl_add_u64 v[12:13], v[68:69], 2, s[12:13]
	v_lshl_add_u64 v[14:15], v[72:73], 2, s[12:13]
	v_add_nc_u64_e32 v[16:17], v[2:3], v[42:43]
	v_add_nc_u64_e32 v[18:19], v[4:5], v[42:43]
	;; [unrolled: 1-line block ×7, first 2 shown]
	s_clause 0x7
	global_load_b128 v[0:3], v[0:1], off
	global_load_b128 v[4:7], v[16:17], off
	;; [unrolled: 1-line block ×8, first 2 shown]
	s_wait_loadcnt 0x7
	ds_store_b128 v37, v[0:3]
	s_wait_loadcnt 0x6
	ds_store_b128 v107, v[4:7]
	;; [unrolled: 2-line block ×8, first 2 shown]
	s_wait_dscnt 0x0
	s_barrier_signal -1
	s_barrier_wait -1
	ds_load_b128 v[0:3], v33
	ds_load_b128 v[10:13], v103
	ds_load_b128 v[14:17], v103 offset:128
	ds_load_b128 v[18:21], v33 offset:4608
	v_mov_b32_e32 v5, 0
	ds_load_b128 v[22:25], v33 offset:9216
	ds_load_b128 v[26:29], v33 offset:13824
	v_dual_mov_b32 v6, 0 :: v_dual_mov_b32 v7, 0
	v_dual_mov_b32 v8, 0 :: v_dual_mov_b32 v126, 0
	s_wait_dscnt 0x4
	;;#ASMSTART
	v_dot2_f32_f16 v5, v0, v10, v5
	;;#ASMEND
	;;#ASMSTART
	v_dot2_f32_f16 v5, v1, v11, v5
	;;#ASMEND
	;;#ASMSTART
	v_dot2_f32_f16 v5, v2, v12, v5
	;;#ASMEND
	;;#ASMSTART
	v_dot2_f32_f16 v5, v3, v13, v5
	;;#ASMEND
	s_wait_dscnt 0x3
	;;#ASMSTART
	v_dot2_f32_f16 v93, v0, v14, v93
	;;#ASMEND
	;;#ASMSTART
	v_dot2_f32_f16 v93, v1, v15, v93
	;;#ASMEND
	;;#ASMSTART
	v_dot2_f32_f16 v93, v2, v16, v93
	;;#ASMEND
	;;#ASMSTART
	v_dot2_f32_f16 v93, v3, v17, v93
	;;#ASMEND
	;; [unrolled: 13-line block ×3, first 2 shown]
	;;#ASMSTART
	v_dot2_f32_f16 v124, v18, v14, v124
	;;#ASMEND
	;;#ASMSTART
	v_dot2_f32_f16 v124, v19, v15, v124
	;;#ASMEND
	;; [unrolled: 3-line block ×4, first 2 shown]
	s_wait_dscnt 0x1
	;;#ASMSTART
	v_dot2_f32_f16 v7, v22, v10, v7
	;;#ASMEND
	;;#ASMSTART
	v_dot2_f32_f16 v7, v23, v11, v7
	;;#ASMEND
	;; [unrolled: 3-line block ×8, first 2 shown]
	s_wait_dscnt 0x0
	;;#ASMSTART
	v_dot2_f32_f16 v8, v26, v10, v8
	;;#ASMEND
	;;#ASMSTART
	v_dot2_f32_f16 v8, v27, v11, v8
	;;#ASMEND
	;; [unrolled: 3-line block ×8, first 2 shown]
	ds_load_b128 v[0:3], v33 offset:16
	ds_load_b128 v[10:13], v103 offset:16
	;; [unrolled: 1-line block ×6, first 2 shown]
	s_wait_dscnt 0x4
	;;#ASMSTART
	v_dot2_f32_f16 v5, v0, v10, v5
	;;#ASMEND
	;;#ASMSTART
	v_dot2_f32_f16 v5, v1, v11, v5
	;;#ASMEND
	;;#ASMSTART
	v_dot2_f32_f16 v5, v2, v12, v5
	;;#ASMEND
	;;#ASMSTART
	v_dot2_f32_f16 v5, v3, v13, v5
	;;#ASMEND
	s_wait_dscnt 0x3
	;;#ASMSTART
	v_dot2_f32_f16 v93, v0, v14, v93
	;;#ASMEND
	;;#ASMSTART
	v_dot2_f32_f16 v93, v1, v15, v93
	;;#ASMEND
	;;#ASMSTART
	v_dot2_f32_f16 v93, v2, v16, v93
	;;#ASMEND
	;;#ASMSTART
	v_dot2_f32_f16 v93, v3, v17, v93
	;;#ASMEND
	;; [unrolled: 13-line block ×3, first 2 shown]
	;;#ASMSTART
	v_dot2_f32_f16 v124, v18, v14, v124
	;;#ASMEND
	;;#ASMSTART
	v_dot2_f32_f16 v124, v19, v15, v124
	;;#ASMEND
	;; [unrolled: 3-line block ×4, first 2 shown]
	s_wait_dscnt 0x1
	;;#ASMSTART
	v_dot2_f32_f16 v7, v22, v10, v7
	;;#ASMEND
	;;#ASMSTART
	v_dot2_f32_f16 v7, v23, v11, v7
	;;#ASMEND
	;;#ASMSTART
	v_dot2_f32_f16 v7, v24, v12, v7
	;;#ASMEND
	;;#ASMSTART
	v_dot2_f32_f16 v7, v25, v13, v7
	;;#ASMEND
	;;#ASMSTART
	v_dot2_f32_f16 v125, v22, v14, v125
	;;#ASMEND
	;;#ASMSTART
	v_dot2_f32_f16 v125, v23, v15, v125
	;;#ASMEND
	;;#ASMSTART
	v_dot2_f32_f16 v125, v24, v16, v125
	;;#ASMEND
	;;#ASMSTART
	v_dot2_f32_f16 v125, v25, v17, v125
	;;#ASMEND
	s_wait_dscnt 0x0
	;;#ASMSTART
	v_dot2_f32_f16 v8, v26, v10, v8
	;;#ASMEND
	;;#ASMSTART
	v_dot2_f32_f16 v8, v27, v11, v8
	;;#ASMEND
	;; [unrolled: 3-line block ×8, first 2 shown]
	ds_load_b128 v[0:3], v33 offset:32
	ds_load_b128 v[10:13], v103 offset:32
	;; [unrolled: 1-line block ×6, first 2 shown]
	s_wait_dscnt 0x4
	;;#ASMSTART
	v_dot2_f32_f16 v5, v0, v10, v5
	;;#ASMEND
	;;#ASMSTART
	v_dot2_f32_f16 v5, v1, v11, v5
	;;#ASMEND
	;;#ASMSTART
	v_dot2_f32_f16 v5, v2, v12, v5
	;;#ASMEND
	;;#ASMSTART
	v_dot2_f32_f16 v5, v3, v13, v5
	;;#ASMEND
	s_wait_dscnt 0x3
	;;#ASMSTART
	v_dot2_f32_f16 v93, v0, v14, v93
	;;#ASMEND
	;;#ASMSTART
	v_dot2_f32_f16 v93, v1, v15, v93
	;;#ASMEND
	;;#ASMSTART
	v_dot2_f32_f16 v93, v2, v16, v93
	;;#ASMEND
	;;#ASMSTART
	v_dot2_f32_f16 v93, v3, v17, v93
	;;#ASMEND
	;; [unrolled: 13-line block ×3, first 2 shown]
	;;#ASMSTART
	v_dot2_f32_f16 v124, v18, v14, v124
	;;#ASMEND
	;;#ASMSTART
	v_dot2_f32_f16 v124, v19, v15, v124
	;;#ASMEND
	;; [unrolled: 3-line block ×4, first 2 shown]
	s_wait_dscnt 0x1
	;;#ASMSTART
	v_dot2_f32_f16 v7, v22, v10, v7
	;;#ASMEND
	;;#ASMSTART
	v_dot2_f32_f16 v7, v23, v11, v7
	;;#ASMEND
	;; [unrolled: 3-line block ×8, first 2 shown]
	s_wait_dscnt 0x0
	;;#ASMSTART
	v_dot2_f32_f16 v8, v26, v10, v8
	;;#ASMEND
	;;#ASMSTART
	v_dot2_f32_f16 v8, v27, v11, v8
	;;#ASMEND
	;; [unrolled: 3-line block ×8, first 2 shown]
	ds_load_b128 v[0:3], v33 offset:48
	ds_load_b128 v[10:13], v103 offset:48
	;; [unrolled: 1-line block ×6, first 2 shown]
	s_wait_dscnt 0x4
	;;#ASMSTART
	v_dot2_f32_f16 v5, v0, v10, v5
	;;#ASMEND
	;;#ASMSTART
	v_dot2_f32_f16 v5, v1, v11, v5
	;;#ASMEND
	;;#ASMSTART
	v_dot2_f32_f16 v5, v2, v12, v5
	;;#ASMEND
	;;#ASMSTART
	v_dot2_f32_f16 v5, v3, v13, v5
	;;#ASMEND
	s_wait_dscnt 0x3
	;;#ASMSTART
	v_dot2_f32_f16 v93, v0, v14, v93
	;;#ASMEND
	;;#ASMSTART
	v_dot2_f32_f16 v93, v1, v15, v93
	;;#ASMEND
	;;#ASMSTART
	v_dot2_f32_f16 v93, v2, v16, v93
	;;#ASMEND
	;;#ASMSTART
	v_dot2_f32_f16 v93, v3, v17, v93
	;;#ASMEND
	;; [unrolled: 13-line block ×3, first 2 shown]
	;;#ASMSTART
	v_dot2_f32_f16 v124, v18, v14, v124
	;;#ASMEND
	;;#ASMSTART
	v_dot2_f32_f16 v124, v19, v15, v124
	;;#ASMEND
	;; [unrolled: 3-line block ×4, first 2 shown]
	s_wait_dscnt 0x1
	;;#ASMSTART
	v_dot2_f32_f16 v7, v22, v10, v7
	;;#ASMEND
	;;#ASMSTART
	v_dot2_f32_f16 v7, v23, v11, v7
	;;#ASMEND
	;; [unrolled: 3-line block ×8, first 2 shown]
	s_wait_dscnt 0x0
	;;#ASMSTART
	v_dot2_f32_f16 v8, v26, v10, v8
	;;#ASMEND
	;;#ASMSTART
	v_dot2_f32_f16 v8, v27, v11, v8
	;;#ASMEND
	;; [unrolled: 3-line block ×8, first 2 shown]
	ds_load_b128 v[0:3], v33 offset:64
	ds_load_b128 v[10:13], v103 offset:64
	ds_load_b128 v[14:17], v103 offset:192
	ds_load_b128 v[18:21], v33 offset:4672
	ds_load_b128 v[22:25], v33 offset:9280
	ds_load_b128 v[26:29], v33 offset:13888
	s_wait_dscnt 0x4
	;;#ASMSTART
	v_dot2_f32_f16 v5, v0, v10, v5
	;;#ASMEND
	;;#ASMSTART
	v_dot2_f32_f16 v5, v1, v11, v5
	;;#ASMEND
	;;#ASMSTART
	v_dot2_f32_f16 v5, v2, v12, v5
	;;#ASMEND
	;;#ASMSTART
	v_dot2_f32_f16 v5, v3, v13, v5
	;;#ASMEND
	s_wait_dscnt 0x3
	;;#ASMSTART
	v_dot2_f32_f16 v93, v0, v14, v93
	;;#ASMEND
	;;#ASMSTART
	v_dot2_f32_f16 v93, v1, v15, v93
	;;#ASMEND
	;;#ASMSTART
	v_dot2_f32_f16 v93, v2, v16, v93
	;;#ASMEND
	;;#ASMSTART
	v_dot2_f32_f16 v93, v3, v17, v93
	;;#ASMEND
	;; [unrolled: 13-line block ×3, first 2 shown]
	;;#ASMSTART
	v_dot2_f32_f16 v124, v18, v14, v124
	;;#ASMEND
	;;#ASMSTART
	v_dot2_f32_f16 v124, v19, v15, v124
	;;#ASMEND
	;; [unrolled: 3-line block ×4, first 2 shown]
	s_wait_dscnt 0x1
	;;#ASMSTART
	v_dot2_f32_f16 v7, v22, v10, v7
	;;#ASMEND
	;;#ASMSTART
	v_dot2_f32_f16 v7, v23, v11, v7
	;;#ASMEND
	;; [unrolled: 3-line block ×8, first 2 shown]
	s_wait_dscnt 0x0
	;;#ASMSTART
	v_dot2_f32_f16 v8, v26, v10, v8
	;;#ASMEND
	;;#ASMSTART
	v_dot2_f32_f16 v8, v27, v11, v8
	;;#ASMEND
	;; [unrolled: 3-line block ×8, first 2 shown]
	ds_load_b128 v[0:3], v33 offset:80
	ds_load_b128 v[10:13], v103 offset:80
	;; [unrolled: 1-line block ×6, first 2 shown]
	s_wait_dscnt 0x4
	;;#ASMSTART
	v_dot2_f32_f16 v5, v0, v10, v5
	;;#ASMEND
	;;#ASMSTART
	v_dot2_f32_f16 v5, v1, v11, v5
	;;#ASMEND
	;;#ASMSTART
	v_dot2_f32_f16 v5, v2, v12, v5
	;;#ASMEND
	;;#ASMSTART
	v_dot2_f32_f16 v5, v3, v13, v5
	;;#ASMEND
	s_wait_dscnt 0x3
	;;#ASMSTART
	v_dot2_f32_f16 v93, v0, v14, v93
	;;#ASMEND
	;;#ASMSTART
	v_dot2_f32_f16 v93, v1, v15, v93
	;;#ASMEND
	;;#ASMSTART
	v_dot2_f32_f16 v93, v2, v16, v93
	;;#ASMEND
	;;#ASMSTART
	v_dot2_f32_f16 v93, v3, v17, v93
	;;#ASMEND
	;; [unrolled: 13-line block ×3, first 2 shown]
	;;#ASMSTART
	v_dot2_f32_f16 v124, v18, v14, v124
	;;#ASMEND
	;;#ASMSTART
	v_dot2_f32_f16 v124, v19, v15, v124
	;;#ASMEND
	;; [unrolled: 3-line block ×4, first 2 shown]
	s_wait_dscnt 0x1
	;;#ASMSTART
	v_dot2_f32_f16 v7, v22, v10, v7
	;;#ASMEND
	;;#ASMSTART
	v_dot2_f32_f16 v7, v23, v11, v7
	;;#ASMEND
	;; [unrolled: 3-line block ×8, first 2 shown]
	s_wait_dscnt 0x0
	;;#ASMSTART
	v_dot2_f32_f16 v8, v26, v10, v8
	;;#ASMEND
	;;#ASMSTART
	v_dot2_f32_f16 v8, v27, v11, v8
	;;#ASMEND
	;; [unrolled: 3-line block ×8, first 2 shown]
	ds_load_b128 v[0:3], v33 offset:96
	ds_load_b128 v[10:13], v103 offset:96
	;; [unrolled: 1-line block ×6, first 2 shown]
	s_wait_dscnt 0x4
	;;#ASMSTART
	v_dot2_f32_f16 v5, v0, v10, v5
	;;#ASMEND
	;;#ASMSTART
	v_dot2_f32_f16 v5, v1, v11, v5
	;;#ASMEND
	;;#ASMSTART
	v_dot2_f32_f16 v5, v2, v12, v5
	;;#ASMEND
	;;#ASMSTART
	v_dot2_f32_f16 v5, v3, v13, v5
	;;#ASMEND
	s_wait_dscnt 0x3
	;;#ASMSTART
	v_dot2_f32_f16 v93, v0, v14, v93
	;;#ASMEND
	;;#ASMSTART
	v_dot2_f32_f16 v93, v1, v15, v93
	;;#ASMEND
	;;#ASMSTART
	v_dot2_f32_f16 v93, v2, v16, v93
	;;#ASMEND
	;;#ASMSTART
	v_dot2_f32_f16 v93, v3, v17, v93
	;;#ASMEND
	;; [unrolled: 13-line block ×3, first 2 shown]
	;;#ASMSTART
	v_dot2_f32_f16 v124, v18, v14, v124
	;;#ASMEND
	;;#ASMSTART
	v_dot2_f32_f16 v124, v19, v15, v124
	;;#ASMEND
	;;#ASMSTART
	v_dot2_f32_f16 v124, v20, v16, v124
	;;#ASMEND
	;;#ASMSTART
	v_dot2_f32_f16 v124, v21, v17, v124
	;;#ASMEND
	s_wait_dscnt 0x1
	;;#ASMSTART
	v_dot2_f32_f16 v7, v22, v10, v7
	;;#ASMEND
	;;#ASMSTART
	v_dot2_f32_f16 v7, v23, v11, v7
	;;#ASMEND
	;; [unrolled: 3-line block ×8, first 2 shown]
	s_wait_dscnt 0x0
	;;#ASMSTART
	v_dot2_f32_f16 v8, v26, v10, v8
	;;#ASMEND
	;;#ASMSTART
	v_dot2_f32_f16 v8, v27, v11, v8
	;;#ASMEND
	;; [unrolled: 3-line block ×8, first 2 shown]
	ds_load_b128 v[10:13], v33 offset:112
	ds_load_b128 v[14:17], v103 offset:112
	;; [unrolled: 1-line block ×6, first 2 shown]
	s_wait_dscnt 0x4
	;;#ASMSTART
	v_dot2_f32_f16 v5, v10, v14, v5
	;;#ASMEND
	;;#ASMSTART
	v_dot2_f32_f16 v5, v11, v15, v5
	;;#ASMEND
	;;#ASMSTART
	v_dot2_f32_f16 v5, v12, v16, v5
	;;#ASMEND
	;;#ASMSTART
	v_dot2_f32_f16 v5, v13, v17, v5
	;;#ASMEND
	s_wait_dscnt 0x3
	;;#ASMSTART
	v_dot2_f32_f16 v93, v10, v18, v93
	;;#ASMEND
	;;#ASMSTART
	v_dot2_f32_f16 v93, v11, v19, v93
	;;#ASMEND
	;;#ASMSTART
	v_dot2_f32_f16 v93, v12, v20, v93
	;;#ASMEND
	;;#ASMSTART
	v_dot2_f32_f16 v93, v13, v21, v93
	;;#ASMEND
	;; [unrolled: 13-line block ×3, first 2 shown]
	;;#ASMSTART
	v_dot2_f32_f16 v124, v22, v18, v124
	;;#ASMEND
	;;#ASMSTART
	v_dot2_f32_f16 v124, v23, v19, v124
	;;#ASMEND
	;; [unrolled: 3-line block ×4, first 2 shown]
	s_wait_dscnt 0x1
	;;#ASMSTART
	v_dot2_f32_f16 v7, v26, v14, v7
	;;#ASMEND
	;;#ASMSTART
	v_dot2_f32_f16 v7, v27, v15, v7
	;;#ASMEND
	v_dual_mov_b32 v9, 0 :: v_dual_add_nc_u32 v0, s18, v32
	;;#ASMSTART
	v_dot2_f32_f16 v7, v28, v16, v7
	;;#ASMEND
	;;#ASMSTART
	v_dot2_f32_f16 v7, v29, v17, v7
	;;#ASMEND
	;; [unrolled: 3-line block ×6, first 2 shown]
	s_wait_dscnt 0x0
	;;#ASMSTART
	v_dot2_f32_f16 v8, v78, v14, v8
	;;#ASMEND
	v_add_nc_u32_e32 v1, v0, v104
	;;#ASMSTART
	v_dot2_f32_f16 v8, v79, v15, v8
	;;#ASMEND
	;;#ASMSTART
	v_dot2_f32_f16 v8, v80, v16, v8
	;;#ASMEND
	;; [unrolled: 3-line block ×7, first 2 shown]
	s_cbranch_vccnz .LBB62_10
; %bb.9:                                ;   in Loop: Header=BB62_8 Depth=1
	global_load_u16 v2, v1, s[14:15] scale_offset
	s_wait_loadcnt 0x0
	v_cvt_f32_f16_e32 v2, v2
	s_delay_alu instid0(VALU_DEP_1)
	v_mul_f32_e32 v9, v101, v2
.LBB62_10:                              ;   in Loop: Header=BB62_8 Depth=1
	v_dual_mov_b32 v2, 0 :: v_dual_mov_b32 v4, 0
	s_and_not1_b32 vcc_lo, exec_lo, s10
	s_cbranch_vccnz .LBB62_12
; %bb.11:                               ;   in Loop: Header=BB62_8 Depth=1
	global_load_u16 v3, v1, s[14:15] offset:64 scale_offset
	s_wait_loadcnt 0x0
	v_cvt_f32_f16_e32 v3, v3
	s_delay_alu instid0(VALU_DEP_1)
	v_mul_f32_e32 v4, v101, v3
.LBB62_12:                              ;   in Loop: Header=BB62_8 Depth=1
	s_and_not1_b32 vcc_lo, exec_lo, s10
	s_cbranch_vccnz .LBB62_14
; %bb.13:                               ;   in Loop: Header=BB62_8 Depth=1
	global_load_u16 v2, v1, s[14:15] offset:128 scale_offset
	s_wait_loadcnt 0x0
	v_cvt_f32_f16_e32 v2, v2
	s_delay_alu instid0(VALU_DEP_1)
	v_mul_f32_e32 v2, v101, v2
.LBB62_14:                              ;   in Loop: Header=BB62_8 Depth=1
	v_dual_mov_b32 v40, 0 :: v_dual_mov_b32 v3, 0
	s_and_not1_b32 vcc_lo, exec_lo, s10
	s_cbranch_vccnz .LBB62_16
; %bb.15:                               ;   in Loop: Header=BB62_8 Depth=1
	global_load_u16 v1, v1, s[14:15] offset:192 scale_offset
	s_wait_loadcnt 0x0
	v_cvt_f32_f16_e32 v1, v1
	s_delay_alu instid0(VALU_DEP_1)
	v_mul_f32_e32 v3, v101, v1
.LBB62_16:                              ;   in Loop: Header=BB62_8 Depth=1
	v_dual_add_f32 v41, v5, v9 :: v_dual_add_f32 v78, v6, v4
	v_dual_add_f32 v79, v7, v2 :: v_dual_bitop2_b32 v1, 16, v123 bitop3:0x14
	s_delay_alu instid0(VALU_DEP_2) | instskip(NEXT) | instid1(VALU_DEP_2)
	v_dual_add_f32 v81, v8, v3 :: v_dual_add_f32 v2, 0x40051340, v41
	v_dual_add_f32 v4, 0x40051340, v78 :: v_dual_add_f32 v3, 0x40051340, v79
	s_delay_alu instid0(VALU_DEP_3) | instskip(SKIP_1) | instid1(VALU_DEP_3)
	v_cmp_gt_i32_e32 vcc_lo, 32, v1
	v_add_nc_u32_e32 v0, v0, v120
	v_max3_num_f32 v2, v76, v2, v4
	v_add_f32_e32 v4, 0x40051340, v81
	v_cndmask_b32_e32 v1, v123, v1, vcc_lo
	s_delay_alu instid0(VALU_DEP_1) | instskip(NEXT) | instid1(VALU_DEP_3)
	v_lshlrev_b32_e32 v83, 2, v1
	v_max3_num_f32 v1, v2, v3, v4
	v_xor_b32_e32 v3, 8, v123
	ds_bpermute_b32 v2, v83, v1
	v_cmp_gt_i32_e32 vcc_lo, 32, v3
	s_wait_dscnt 0x0
	v_dual_cndmask_b32 v3, v123, v3 :: v_dual_max_num_f32 v2, v2, v2
	s_delay_alu instid0(VALU_DEP_1) | instskip(SKIP_3) | instid1(VALU_DEP_1)
	v_dual_max_num_f32 v1, v1, v2 :: v_dual_lshlrev_b32 v84, 2, v3
	ds_bpermute_b32 v2, v84, v1
	s_wait_dscnt 0x0
	v_dual_max_num_f32 v2, v2, v2 :: v_dual_bitop2_b32 v3, 4, v123 bitop3:0x14
	v_cmp_gt_i32_e32 vcc_lo, 32, v3
	s_delay_alu instid0(VALU_DEP_2) | instskip(NEXT) | instid1(VALU_DEP_1)
	v_dual_max_num_f32 v1, v1, v2 :: v_dual_cndmask_b32 v3, v123, v3, vcc_lo
	v_lshlrev_b32_e32 v85, 2, v3
	v_xor_b32_e32 v3, 2, v123
	s_delay_alu instid0(VALU_DEP_1) | instskip(SKIP_4) | instid1(VALU_DEP_1)
	v_cmp_gt_i32_e32 vcc_lo, 32, v3
	v_cndmask_b32_e32 v3, v123, v3, vcc_lo
	ds_bpermute_b32 v2, v85, v1
	s_wait_dscnt 0x0
	v_dual_max_num_f32 v2, v2, v2 :: v_dual_lshlrev_b32 v82, 2, v3
	v_max_num_f32_e32 v1, v1, v2
	ds_bpermute_b32 v2, v82, v1
	s_wait_dscnt 0x0
	v_dual_max_num_f32 v2, v2, v2 :: v_dual_bitop2_b32 v3, 1, v123 bitop3:0x14
	s_delay_alu instid0(VALU_DEP_1) | instskip(NEXT) | instid1(VALU_DEP_2)
	v_cmp_gt_i32_e32 vcc_lo, 32, v3
	v_dual_max_num_f32 v88, v1, v2 :: v_dual_cndmask_b32 v3, v123, v3
	s_and_not1_b32 vcc_lo, exec_lo, s10
	s_delay_alu instid0(VALU_DEP_1)
	v_lshlrev_b32_e32 v80, 2, v3
	ds_bpermute_b32 v89, v80, v88
	s_cbranch_vccnz .LBB62_18
; %bb.17:                               ;   in Loop: Header=BB62_8 Depth=1
	global_load_u16 v1, v0, s[14:15] scale_offset
	s_wait_loadcnt 0x0
	v_cvt_f32_f16_e32 v1, v1
	s_delay_alu instid0(VALU_DEP_1)
	v_mul_f32_e32 v40, v101, v1
.LBB62_18:                              ;   in Loop: Header=BB62_8 Depth=1
	v_dual_mov_b32 v90, 0 :: v_dual_mov_b32 v91, 0
	s_and_not1_b32 vcc_lo, exec_lo, s10
	s_cbranch_vccnz .LBB62_20
; %bb.19:                               ;   in Loop: Header=BB62_8 Depth=1
	global_load_u16 v1, v0, s[14:15] offset:64 scale_offset
	s_wait_loadcnt 0x0
	v_cvt_f32_f16_e32 v1, v1
	s_delay_alu instid0(VALU_DEP_1)
	v_mul_f32_e32 v91, v101, v1
.LBB62_20:                              ;   in Loop: Header=BB62_8 Depth=1
	s_and_not1_b32 vcc_lo, exec_lo, s10
	s_cbranch_vccnz .LBB62_22
; %bb.21:                               ;   in Loop: Header=BB62_8 Depth=1
	global_load_u16 v1, v0, s[14:15] offset:128 scale_offset
	s_wait_loadcnt 0x0
	v_cvt_f32_f16_e32 v1, v1
	s_delay_alu instid0(VALU_DEP_1)
	v_mul_f32_e32 v90, v101, v1
.LBB62_22:                              ;   in Loop: Header=BB62_8 Depth=1
	s_and_not1_b32 vcc_lo, exec_lo, s10
	s_cbranch_vccnz .LBB62_24
; %bb.23:                               ;   in Loop: Header=BB62_8 Depth=1
	global_load_u16 v0, v0, s[14:15] offset:192 scale_offset
	s_wait_loadcnt 0x0
	v_cvt_f32_f16_e32 v0, v0
	s_delay_alu instid0(VALU_DEP_1)
	v_mul_f32_e32 v92, v101, v0
	s_branch .LBB62_25
.LBB62_24:                              ;   in Loop: Header=BB62_8 Depth=1
	v_mov_b32_e32 v92, 0
.LBB62_25:                              ;   in Loop: Header=BB62_8 Depth=1
	s_mul_u64 s[12:13], s[18:19], s[22:23]
	s_wait_dscnt 0x0
	s_lshl_b64 s[12:13], s[12:13], 2
	s_barrier_signal -1
	s_add_nc_u64 s[12:13], s[26:27], s[12:13]
	s_barrier_wait -1
	v_lshl_add_u64 v[2:3], v[50:51], 2, s[12:13]
	v_lshl_add_u64 v[4:5], v[54:55], 2, s[12:13]
	;; [unrolled: 1-line block ×5, first 2 shown]
	v_add_nc_u64_e32 v[6:7], v[2:3], v[42:43]
	v_lshl_add_u64 v[2:3], v[58:59], 2, s[12:13]
	v_add_nc_u64_e32 v[8:9], v[4:5], v[42:43]
	v_lshl_add_u64 v[4:5], v[62:63], 2, s[12:13]
	;; [unrolled: 2-line block ×3, first 2 shown]
	v_add_nc_u64_e32 v[16:17], v[2:3], v[42:43]
	v_add_nc_u64_e32 v[20:21], v[10:11], v[42:43]
	;; [unrolled: 1-line block ×5, first 2 shown]
	s_clause 0x7
	global_load_b128 v[0:3], v[0:1], off
	global_load_b128 v[4:7], v[6:7], off
	;; [unrolled: 1-line block ×8, first 2 shown]
	v_dual_add_f32 v93, v93, v40 :: v_dual_add_f32 v91, v124, v91
	v_dual_add_f32 v90, v125, v90 :: v_dual_add_f32 v92, v126, v92
	s_delay_alu instid0(VALU_DEP_2) | instskip(NEXT) | instid1(VALU_DEP_2)
	v_add_f32_e32 v40, 0x40051340, v93
	v_dual_add_f32 v124, 0x40051340, v91 :: v_dual_add_f32 v125, 0x40051340, v90
	s_delay_alu instid0(VALU_DEP_3) | instskip(NEXT) | instid1(VALU_DEP_2)
	v_add_f32_e32 v126, 0x40051340, v92
	v_max3_num_f32 v40, v77, v40, v124
	s_delay_alu instid0(VALU_DEP_1) | instskip(SKIP_3) | instid1(VALU_DEP_1)
	v_max3_num_f32 v40, v40, v125, v126
	ds_bpermute_b32 v83, v83, v40
	s_wait_dscnt 0x0
	v_max_num_f32_e32 v83, v83, v83
	v_max_num_f32_e32 v40, v40, v83
	ds_bpermute_b32 v83, v84, v40
	s_wait_dscnt 0x0
	v_max_num_f32_e32 v83, v83, v83
	s_delay_alu instid0(VALU_DEP_1) | instskip(SKIP_2) | instid1(VALU_DEP_1)
	v_dual_max_num_f32 v83, v40, v83 :: v_dual_max_num_f32 v40, v89, v89
	ds_bpermute_b32 v84, v85, v83
	v_max_num_f32_e32 v85, v88, v88
	v_max_num_f32_e32 v40, v85, v40
	s_delay_alu instid0(VALU_DEP_1) | instskip(SKIP_2) | instid1(VALU_DEP_3)
	v_dual_sub_f32 v41, v41, v40 :: v_dual_add_nc_u32 v88, 0x400, v99
	v_dual_sub_f32 v85, v76, v40 :: v_dual_sub_f32 v76, v78, v40
	v_dual_sub_f32 v78, v79, v40 :: v_dual_sub_f32 v79, v81, v40
	v_mul_f32_e32 v81, 0x3fb8aa3b, v41
	v_cmp_ngt_f32_e32 vcc_lo, 0xc2ce8ed0, v41
	s_delay_alu instid0(VALU_DEP_3)
	v_dual_mul_f32 v89, 0x3fb8aa3b, v76 :: v_dual_mul_f32 v124, 0x3fb8aa3b, v78
	s_wait_dscnt 0x0
	v_dual_max_num_f32 v84, v84, v84 :: v_dual_mul_f32 v125, 0x3fb8aa3b, v79
	v_mul_f32_e32 v126, 0x3fb8aa3b, v85
	v_rndne_f32_e32 v127, v81
	v_fma_f32 v128, 0x3fb8aa3b, v76, -v89
	s_delay_alu instid0(VALU_DEP_4)
	v_max_num_f32_e32 v83, v83, v84
	v_fma_f32 v84, 0x3fb8aa3b, v41, -v81
	v_rndne_f32_e32 v129, v89
	v_fma_f32 v132, 0x3fb8aa3b, v79, -v125
	v_sub_f32_e32 v81, v81, v127
	ds_bpermute_b32 v82, v82, v83
	v_fmac_f32_e32 v84, 0x32a5705f, v41
	v_fma_f32 v130, 0x3fb8aa3b, v78, -v124
	v_rndne_f32_e32 v131, v124
	v_rndne_f32_e32 v135, v126
	v_dual_fmac_f32 v128, 0x32a5705f, v76 :: v_dual_sub_f32 v89, v89, v129
	v_dual_fmac_f32 v132, 0x32a5705f, v79 :: v_dual_add_f32 v81, v81, v84
	v_rndne_f32_e32 v133, v125
	v_fma_f32 v134, 0x3fb8aa3b, v85, -v126
	v_fmac_f32_e32 v130, 0x32a5705f, v78
	v_sub_f32_e32 v124, v124, v131
	v_dual_sub_f32 v126, v126, v135 :: v_dual_add_f32 v84, v89, v128
	v_exp_f32_e32 v81, v81
	v_cvt_i32_f32_e32 v127, v127
	v_sub_f32_e32 v125, v125, v133
	v_cvt_i32_f32_e32 v129, v129
	v_exp_f32_e32 v84, v84
	s_wait_dscnt 0x0
	v_max_num_f32_e32 v82, v82, v82
	v_dual_fmac_f32 v134, 0x32a5705f, v85 :: v_dual_add_f32 v89, v124, v130
	v_ldexp_f32 v81, v81, v127
	s_delay_alu instid0(VALU_DEP_3) | instskip(SKIP_1) | instid1(VALU_DEP_4)
	v_dual_add_f32 v124, v125, v132 :: v_dual_max_num_f32 v83, v83, v82
	v_cvt_i32_f32_e32 v131, v131
	v_exp_f32_e32 v89, v89
	s_delay_alu instid0(VALU_DEP_3)
	v_dual_add_f32 v82, v126, v134 :: v_dual_cndmask_b32 v81, 0, v81
	v_ldexp_f32 v84, v84, v129
	v_cmp_ngt_f32_e32 vcc_lo, 0xc2ce8ed0, v76
	v_exp_f32_e32 v124, v124
	ds_bpermute_b32 v80, v80, v83
	v_cvt_i32_f32_e32 v125, v133
	v_ldexp_f32 v89, v89, v131
	v_cndmask_b32_e32 v84, 0, v84, vcc_lo
	v_cmp_ngt_f32_e32 vcc_lo, 0xc2ce8ed0, v78
	v_exp_f32_e32 v82, v82
	v_cvt_i32_f32_e32 v126, v135
	v_ldexp_f32 v124, v124, v125
	v_cndmask_b32_e32 v89, 0, v89, vcc_lo
	v_cmp_ngt_f32_e32 vcc_lo, 0xc2ce8ed0, v79
	s_delay_alu instid0(TRANS32_DEP_1) | instid1(VALU_DEP_4)
	v_ldexp_f32 v82, v82, v126
	s_delay_alu instid0(VALU_DEP_4) | instskip(SKIP_2) | instid1(VALU_DEP_3)
	v_cndmask_b32_e32 v124, 0, v124, vcc_lo
	v_cmp_ngt_f32_e32 vcc_lo, 0xc2ce8ed0, v85
	s_wait_dscnt 0x0
	v_dual_max_num_f32 v126, v80, v80 :: v_dual_cndmask_b32 v125, 0, v82
	v_cmp_nlt_f32_e32 vcc_lo, 0x42b17218, v41
	s_delay_alu instid0(VALU_DEP_2) | instskip(SKIP_1) | instid1(VALU_DEP_2)
	v_dual_max_num_f32 v41, v83, v126 :: v_dual_cndmask_b32 v80, 0x7f800000, v81
	v_cmp_nlt_f32_e32 vcc_lo, 0x42b17218, v76
	v_dual_sub_f32 v83, v91, v41 :: v_dual_cndmask_b32 v82, 0x7f800000, v84
	v_cmp_nlt_f32_e32 vcc_lo, 0x42b17218, v78
	v_dual_sub_f32 v84, v90, v41 :: v_dual_sub_f32 v90, v77, v41
	v_cndmask_b32_e32 v78, 0x7f800000, v89, vcc_lo
	v_cmp_nlt_f32_e32 vcc_lo, 0x42b17218, v79
	v_dual_sub_f32 v79, v93, v41 :: v_dual_sub_f32 v89, v92, v41
	v_cndmask_b32_e32 v76, 0x7f800000, v124, vcc_lo
	s_delay_alu instid0(VALU_DEP_2) | instskip(SKIP_1) | instid1(VALU_DEP_2)
	v_dual_mul_f32 v77, 0x3fb8aa3b, v79 :: v_dual_mul_f32 v92, 0x3fb8aa3b, v89
	v_cmp_ngt_f32_e32 vcc_lo, 0xc2ce8ed0, v79
	v_fma_f32 v124, 0x3fb8aa3b, v79, -v77
	s_delay_alu instid0(VALU_DEP_3) | instskip(SKIP_3) | instid1(VALU_DEP_3)
	v_fma_f32 v131, 0x3fb8aa3b, v89, -v92
	v_rndne_f32_e32 v132, v92
	v_mul_f32_e32 v81, 0x3fb8aa3b, v83
	v_rndne_f32_e32 v126, v77
	v_dual_fmac_f32 v131, 0x32a5705f, v89 :: v_dual_sub_f32 v92, v92, v132
	v_mul_f32_e32 v91, 0x3fb8aa3b, v84
	s_delay_alu instid0(VALU_DEP_4) | instskip(NEXT) | instid1(VALU_DEP_4)
	v_rndne_f32_e32 v128, v81
	v_dual_fmac_f32 v124, 0x32a5705f, v79 :: v_dual_sub_f32 v77, v77, v126
	s_delay_alu instid0(VALU_DEP_4) | instskip(NEXT) | instid1(VALU_DEP_4)
	v_add_f32_e32 v92, v92, v131
	v_rndne_f32_e32 v130, v91
	v_fma_f32 v127, 0x3fb8aa3b, v83, -v81
	v_fma_f32 v129, 0x3fb8aa3b, v84, -v91
	v_sub_f32_e32 v81, v81, v128
	s_delay_alu instid0(VALU_DEP_4) | instskip(SKIP_3) | instid1(VALU_DEP_3)
	v_dual_add_f32 v77, v77, v124 :: v_dual_sub_f32 v91, v91, v130
	v_exp_f32_e32 v92, v92
	v_cvt_i32_f32_e32 v124, v132
	v_cvt_i32_f32_e32 v126, v126
	v_exp_f32_e32 v77, v77
	v_cvt_i32_f32_e32 v128, v128
	v_fmac_f32_e32 v129, 0x32a5705f, v84
	v_cvt_i32_f32_e32 v130, v130
	v_ldexp_f32 v92, v92, v124
	v_fmac_f32_e32 v127, 0x32a5705f, v83
	s_delay_alu instid0(TRANS32_DEP_1) | instskip(NEXT) | instid1(VALU_DEP_2)
	v_ldexp_f32 v77, v77, v126
	v_dual_add_f32 v91, v91, v129 :: v_dual_add_f32 v81, v81, v127
	s_delay_alu instid0(VALU_DEP_2) | instskip(SKIP_1) | instid1(VALU_DEP_3)
	v_cndmask_b32_e32 v77, 0, v77, vcc_lo
	v_cmp_ngt_f32_e32 vcc_lo, 0xc2ce8ed0, v83
	v_exp_f32_e32 v91, v91
	s_delay_alu instid0(VALU_DEP_3) | instskip(NEXT) | instid1(TRANS32_DEP_2)
	v_exp_f32_e32 v81, v81
	v_ldexp_f32 v91, v91, v130
	s_delay_alu instid0(TRANS32_DEP_1) | instskip(NEXT) | instid1(VALU_DEP_1)
	v_ldexp_f32 v81, v81, v128
	v_dual_mul_f32 v93, 0x3fb8aa3b, v90 :: v_dual_cndmask_b32 v124, 0, v81
	s_delay_alu instid0(VALU_DEP_1) | instskip(SKIP_2) | instid1(VALU_DEP_3)
	v_rndne_f32_e32 v134, v93
	v_fma_f32 v133, 0x3fb8aa3b, v90, -v93
	v_cmp_ngt_f32_e32 vcc_lo, 0xc2ce8ed0, v84
	v_sub_f32_e32 v93, v93, v134
	s_delay_alu instid0(VALU_DEP_3) | instskip(SKIP_3) | instid1(VALU_DEP_4)
	v_fmac_f32_e32 v133, 0x32a5705f, v90
	v_cndmask_b32_e32 v91, 0, v91, vcc_lo
	v_cmp_ngt_f32_e32 vcc_lo, 0xc2ce8ed0, v89
	v_cvt_i32_f32_e32 v127, v134
	v_dual_add_f32 v93, v93, v133 :: v_dual_cndmask_b32 v92, 0, v92
	v_cmp_nlt_f32_e32 vcc_lo, 0x42b17218, v79
	s_delay_alu instid0(VALU_DEP_2)
	v_exp_f32_e32 v93, v93
	v_cndmask_b32_e32 v81, 0x7f800000, v77, vcc_lo
	v_cmp_nlt_f32_e32 vcc_lo, 0x42b17218, v83
	v_cndmask_b32_e32 v83, 0x7f800000, v124, vcc_lo
	v_cmp_nlt_f32_e32 vcc_lo, 0x42b17218, v84
	;; [unrolled: 2-line block ×3, first 2 shown]
	v_ldexp_f32 v89, v93, v127
	v_cvt_pk_f16_f32 v91, v80, v81
	s_delay_alu instid0(VALU_DEP_4) | instskip(SKIP_3) | instid1(VALU_DEP_3)
	v_cvt_pk_f16_f32 v93, v78, v79
	v_cndmask_b32_e32 v77, 0x7f800000, v92, vcc_lo
	v_cmp_nlt_f32_e32 vcc_lo, 0x42b17218, v85
	v_cvt_pk_f16_f32 v92, v82, v83
	v_cvt_pk_f16_f32 v124, v76, v77
	v_cndmask_b32_e32 v84, 0x7f800000, v125, vcc_lo
	v_cmp_ngt_f32_e32 vcc_lo, 0xc2ce8ed0, v90
	ds_store_2addr_b32 v122, v91, v92 offset1:32
	ds_store_2addr_b32 v122, v93, v124 offset0:64 offset1:96
	s_wait_loadcnt 0x7
	ds_store_b128 v106, v[0:3]
	s_wait_loadcnt 0x6
	ds_store_b128 v114, v[4:7]
	s_wait_loadcnt 0x5
	ds_store_b128 v115, v[8:11]
	s_wait_loadcnt 0x4
	ds_store_b128 v116, v[12:15]
	s_wait_loadcnt 0x3
	ds_store_b128 v117, v[16:19]
	s_wait_loadcnt 0x2
	ds_store_b128 v118, v[20:23]
	s_wait_loadcnt 0x1
	ds_store_b128 v119, v[24:27]
	s_wait_loadcnt 0x0
	ds_store_b128 v121, v[28:31]
	v_dual_cndmask_b32 v85, 0, v89 :: v_dual_add_nc_u32 v10, 0x800, v99
	v_cmp_nlt_f32_e32 vcc_lo, 0x42b17218, v90
	v_cvt_f16_f32_e32 v4, v84
	s_wait_dscnt 0x0
	s_barrier_signal -1
	s_barrier_wait -1
	v_cndmask_b32_e32 v85, 0x7f800000, v85, vcc_lo
	ds_load_b128 v[0:3], v105
	v_and_b32_e32 v8, 0xffff, v4
	ds_load_b128 v[4:7], v105 offset:16
	v_cvt_f16_f32_e32 v9, v85
	v_add_nc_u32_e32 v11, 0xc00, v99
	v_add_nc_u32_e32 v24, 0x1000, v99
	v_mul_u32_u24_e32 v146, 0x10001, v8
	v_add_nc_u32_e32 v21, 0x1400, v99
	v_and_b32_e32 v147, 0xffff, v9
	ds_load_2addr_b32 v[8:9], v99 offset1:32
	ds_load_b128 v[28:31], v105 offset:32
	ds_load_b128 v[90:93], v105 offset:48
	;; [unrolled: 1-line block ×4, first 2 shown]
	v_add_nc_u32_e32 v26, 0x1c00, v99
	v_add_nc_u32_e32 v20, 0x1800, v99
	s_wait_dscnt 0x6
	v_lshrrev_b32_e32 v124, 16, v0
	v_and_b32_e32 v0, 0xffff, v0
	v_lshrrev_b32_e32 v144, 16, v1
	v_and_b32_e32 v145, 0xffff, v1
	s_wait_dscnt 0x5
	v_lshrrev_b32_e32 v16, 16, v7
	v_and_b32_e32 v17, 0xffff, v7
	v_mul_u32_u24_e32 v7, 0x10001, v0
	s_wait_dscnt 0x1
	v_dual_lshrrev_b32 v129, 16, v93 :: v_dual_lshrrev_b32 v127, 16, v148
	v_and_b32_e32 v128, 0xffff, v148
	ds_load_2addr_b32 v[0:1], v99 offset0:64 offset1:96
	v_mul_u32_u24_e32 v148, 0x10001, v124
	v_dual_lshrrev_b32 v22, 16, v149 :: v_dual_lshrrev_b32 v125, 16, v150
	v_and_b32_e32 v23, 0xffff, v149
	v_pk_mul_f16 v7, v8, v7
	v_mul_u32_u24_e32 v149, 0x10001, v147
	v_pk_mul_f16 v8, v8, v148
	v_lshrrev_b32_e32 v142, 16, v2
	v_and_b32_e32 v143, 0xffff, v2
	v_pk_fma_f16 v7, v87, v146, v7
	ds_load_2addr_b32 v[146:147], v99 offset0:128 offset1:160
	v_mul_u32_u24_e32 v145, 0x10001, v145
	v_mul_u32_u24_e32 v144, 0x10001, v144
	v_pk_fma_f16 v8, v86, v149, v8
	v_lshrrev_b32_e32 v18, 16, v3
	v_and_b32_e32 v141, 0xffff, v3
	v_mul_u32_u24_e32 v143, 0x10001, v143
	v_mul_u32_u24_e32 v142, 0x10001, v142
	v_pk_fma_f16 v7, v9, v145, v7
	v_pk_fma_f16 v8, v9, v144, v8
	v_lshrrev_b32_e32 v14, 16, v4
	v_and_b32_e32 v19, 0xffff, v4
	ds_load_2addr_b32 v[86:87], v99 offset0:192 offset1:224
	v_mul_u32_u24_e32 v9, 0x10001, v141
	s_wait_dscnt 0x2
	v_pk_fma_f16 v7, v0, v143, v7
	v_pk_fma_f16 v0, v0, v142, v8
	v_mul_u32_u24_e32 v8, 0x10001, v18
	v_lshrrev_b32_e32 v140, 16, v5
	v_and_b32_e32 v15, 0xffff, v5
	v_mul_u32_u24_e32 v18, 0x10001, v19
	v_pk_fma_f16 v7, v1, v9, v7
	v_mul_u32_u24_e32 v9, 0x10001, v14
	v_pk_fma_f16 v0, v1, v8, v0
	v_lshrrev_b32_e32 v139, 16, v6
	v_and_b32_e32 v6, 0xffff, v6
	v_dual_lshrrev_b32 v135, 16, v31 :: v_dual_lshrrev_b32 v133, 16, v90
	v_and_b32_e32 v137, 0xffff, v31
	v_dual_lshrrev_b32 v2, 16, v91 :: v_dual_lshrrev_b32 v130, 16, v92
	v_and_b32_e32 v3, 0xffff, v91
	v_and_b32_e32 v132, 0xffff, v92
	;; [unrolled: 1-line block ×4, first 2 shown]
	v_dual_lshrrev_b32 v93, 16, v151 :: v_dual_lshrrev_b32 v91, 16, v152
	v_and_b32_e32 v126, 0xffff, v151
	v_and_b32_e32 v92, 0xffff, v152
	v_lshrrev_b32_e32 v31, 16, v153
	v_and_b32_e32 v89, 0xffff, v153
	ds_load_2addr_b32 v[144:145], v88 offset1:32
	ds_load_2addr_b32 v[148:149], v88 offset0:64 offset1:96
	ds_load_2addr_b32 v[150:151], v88 offset0:128 offset1:160
	;; [unrolled: 1-line block ×3, first 2 shown]
	v_mul_u32_u24_e32 v88, 0x10001, v15
	s_wait_dscnt 0x5
	v_pk_fma_f16 v1, v146, v18, v7
	v_mul_u32_u24_e32 v7, 0x10001, v140
	v_pk_fma_f16 v0, v146, v9, v0
	v_mul_u32_u24_e32 v139, 0x10001, v139
	v_lshrrev_b32_e32 v4, 16, v28
	v_pk_fma_f16 v1, v147, v88, v1
	v_mul_u32_u24_e32 v88, 0x10001, v6
	v_pk_fma_f16 v0, v147, v7, v0
	v_and_b32_e32 v5, 0xffff, v28
	ds_load_2addr_b32 v[18:19], v10 offset1:32
	ds_load_2addr_b32 v[14:15], v10 offset0:64 offset1:96
	ds_load_2addr_b32 v[8:9], v10 offset0:128 offset1:160
	;; [unrolled: 1-line block ×3, first 2 shown]
	v_mul_u32_u24_e32 v10, 0x10001, v17
	v_mul_u32_u24_e32 v16, 0x10001, v16
	s_wait_dscnt 0x8
	v_pk_fma_f16 v1, v86, v88, v1
	v_pk_fma_f16 v0, v86, v139, v0
	v_dual_lshrrev_b32 v12, 16, v29 :: v_dual_lshrrev_b32 v136, 16, v30
	v_and_b32_e32 v13, 0xffff, v29
	v_mul_u32_u24_e32 v17, 0x10001, v5
	v_mul_u32_u24_e32 v86, 0x10001, v4
	v_pk_fma_f16 v1, v87, v10, v1
	v_pk_fma_f16 v0, v87, v16, v0
	v_and_b32_e32 v138, 0xffff, v30
	v_mul_u32_u24_e32 v10, 0x10001, v13
	v_mul_u32_u24_e32 v87, 0x10001, v12
	s_wait_dscnt 0x7
	v_pk_fma_f16 v1, v144, v17, v1
	v_pk_fma_f16 v0, v144, v86, v0
	ds_load_b128 v[140:143], v105 offset:96
	v_mul_u32_u24_e32 v86, 0x10001, v138
	v_and_b32_e32 v134, 0xffff, v90
	v_pk_fma_f16 v1, v145, v10, v1
	v_pk_fma_f16 v0, v145, v87, v0
	v_mul_u32_u24_e32 v87, 0x10001, v136
	v_mul_u32_u24_e32 v88, 0x10001, v137
	v_mul_u32_u24_e32 v134, 0x10001, v134
	s_wait_dscnt 0x7
	v_pk_fma_f16 v1, v148, v86, v1
	v_mul_u32_u24_e32 v86, 0x10001, v135
	v_pk_fma_f16 v0, v148, v87, v0
	v_mul_u32_u24_e32 v133, 0x10001, v133
	v_mul_u32_u24_e32 v130, 0x10001, v130
	v_pk_fma_f16 v1, v149, v88, v1
	v_mul_u32_u24_e32 v131, 0x10001, v131
	v_pk_fma_f16 v0, v149, v86, v0
	v_mul_u32_u24_e32 v129, 0x10001, v129
	v_mul_u32_u24_e32 v128, 0x10001, v128
	s_wait_dscnt 0x6
	v_pk_fma_f16 v1, v150, v134, v1
	v_mul_u32_u24_e32 v134, 0x10001, v2
	v_pk_fma_f16 v0, v150, v133, v0
	v_mul_u32_u24_e32 v133, 0x10001, v3
	s_wait_dscnt 0x0
	v_dual_lshrrev_b32 v86, 16, v141 :: v_dual_lshrrev_b32 v137, 16, v142
	v_and_b32_e32 v136, 0xffff, v141
	v_and_b32_e32 v138, 0xffff, v142
	v_mul_u32_u24_e32 v141, 0x10001, v132
	v_pk_fma_f16 v1, v151, v133, v1
	v_pk_fma_f16 v142, v151, v134, v0
	v_mul_u32_u24_e32 v127, 0x10001, v127
	v_mul_u32_u24_e32 v149, 0x10001, v25
	;; [unrolled: 1-line block ×3, first 2 shown]
	v_pk_fma_f16 v141, v152, v141, v1
	v_pk_fma_f16 v130, v152, v130, v142
	v_mul_u32_u24_e32 v92, 0x10001, v92
	v_lshrrev_b32_e32 v28, 16, v154
	v_and_b32_e32 v30, 0xffff, v154
	v_pk_fma_f16 v131, v153, v131, v141
	v_pk_fma_f16 v129, v153, v129, v130
	ds_load_2addr_b32 v[4:5], v11 offset1:32
	v_mul_u32_u24_e32 v89, 0x10001, v89
	v_mul_u32_u24_e32 v31, 0x10001, v31
	v_pk_fma_f16 v128, v18, v128, v131
	v_pk_fma_f16 v18, v18, v127, v129
	v_mul_u32_u24_e32 v127, 0x10001, v23
	v_mul_u32_u24_e32 v129, 0x10001, v22
	v_dual_lshrrev_b32 v27, 16, v155 :: v_dual_lshrrev_b32 v87, 16, v140
	v_and_b32_e32 v29, 0xffff, v155
	s_delay_alu instid0(VALU_DEP_4) | instskip(NEXT) | instid1(VALU_DEP_4)
	v_pk_fma_f16 v127, v19, v127, v128
	v_pk_fma_f16 v18, v19, v129, v18
	v_mul_u32_u24_e32 v19, 0x10001, v125
	v_mul_u32_u24_e32 v125, 0x10001, v126
	ds_load_2addr_b32 v[16:17], v11 offset0:64 offset1:96
	ds_load_2addr_b32 v[12:13], v11 offset0:128 offset1:160
	v_pk_fma_f16 v126, v14, v149, v127
	ds_load_b128 v[144:147], v105 offset:112
	ds_load_b128 v[132:135], v105 offset:128
	v_pk_fma_f16 v14, v14, v19, v18
	v_mul_u32_u24_e32 v30, 0x10001, v30
	v_pk_fma_f16 v19, v15, v125, v126
	v_mul_u32_u24_e32 v28, 0x10001, v28
	v_and_b32_e32 v88, 0xffff, v140
	v_pk_fma_f16 v14, v15, v93, v14
	v_mul_u32_u24_e32 v15, 0x10001, v91
	v_pk_fma_f16 v19, v8, v92, v19
	v_mul_u32_u24_e32 v29, 0x10001, v29
	v_mul_u32_u24_e32 v27, 0x10001, v27
	ds_load_2addr_b32 v[10:11], v11 offset0:192 offset1:224
	v_pk_fma_f16 v8, v8, v15, v14
	v_pk_fma_f16 v19, v9, v89, v19
	ds_load_2addr_b32 v[2:3], v24 offset1:32
	ds_load_2addr_b32 v[0:1], v24 offset0:64 offset1:96
	ds_load_2addr_b32 v[22:23], v24 offset0:128 offset1:160
	v_pk_fma_f16 v31, v9, v31, v8
	v_pk_fma_f16 v19, v6, v30, v19
	ds_load_b128 v[128:131], v105 offset:144
	ds_load_2addr_b32 v[24:25], v24 offset0:192 offset1:224
	s_wait_dscnt 0x7
	v_dual_lshrrev_b32 v139, 16, v143 :: v_dual_lshrrev_b32 v142, 16, v144
	v_pk_fma_f16 v6, v6, v28, v31
	v_pk_fma_f16 v19, v7, v29, v19
	v_mul_u32_u24_e32 v28, 0x10001, v88
	v_mul_u32_u24_e32 v29, 0x10001, v86
	v_and_b32_e32 v140, 0xffff, v143
	v_pk_fma_f16 v6, v7, v27, v6
	v_mul_u32_u24_e32 v7, 0x10001, v87
	v_pk_fma_f16 v19, v4, v28, v19
	v_mul_u32_u24_e32 v28, 0x10001, v136
	s_wait_dscnt 0x6
	v_dual_lshrrev_b32 v148, 16, v147 :: v_dual_lshrrev_b32 v149, 16, v132
	v_pk_fma_f16 v4, v4, v7, v6
	v_and_b32_e32 v18, 0xffff, v132
	v_dual_lshrrev_b32 v125, 16, v133 :: v_dual_lshrrev_b32 v150, 16, v134
	v_and_b32_e32 v93, 0xffff, v133
	v_and_b32_e32 v151, 0xffff, v134
	s_wait_dscnt 0x1
	v_dual_lshrrev_b32 v91, 16, v135 :: v_dual_lshrrev_b32 v152, 16, v128
	v_and_b32_e32 v92, 0xffff, v135
	ds_load_2addr_b32 v[14:15], v21 offset1:32
	ds_load_b128 v[132:135], v105 offset:160
	ds_load_2addr_b32 v[8:9], v21 offset0:64 offset1:96
	ds_load_2addr_b32 v[88:89], v21 offset0:128 offset1:160
	v_mul_u32_u24_e32 v126, 0x10001, v138
	v_pk_fma_f16 v19, v5, v28, v19
	v_pk_fma_f16 v127, v5, v29, v4
	ds_load_b128 v[28:31], v105 offset:176
	ds_load_2addr_b32 v[6:7], v21 offset0:192 offset1:224
	v_mul_u32_u24_e32 v21, 0x10001, v137
	v_and_b32_e32 v141, 0xffff, v144
	v_and_b32_e32 v153, 0xffff, v128
	v_mul_u32_u24_e32 v128, 0x10001, v140
	v_pk_fma_f16 v19, v16, v126, v19
	v_mul_u32_u24_e32 v126, 0x10001, v139
	v_pk_fma_f16 v16, v16, v21, v127
	v_lshrrev_b32_e32 v143, 16, v145
	v_and_b32_e32 v144, 0xffff, v145
	v_pk_fma_f16 v19, v17, v128, v19
	v_mul_u32_u24_e32 v21, 0x10001, v141
	v_pk_fma_f16 v16, v17, v126, v16
	v_mul_u32_u24_e32 v17, 0x10001, v142
	v_lshrrev_b32_e32 v145, 16, v146
	v_and_b32_e32 v146, 0xffff, v146
	v_pk_fma_f16 v19, v12, v21, v19
	v_mul_u32_u24_e32 v21, 0x10001, v144
	v_pk_fma_f16 v12, v12, v17, v16
	v_mul_u32_u24_e32 v16, 0x10001, v143
	v_and_b32_e32 v147, 0xffff, v147
	v_mul_u32_u24_e32 v139, 0x10001, v145
	v_pk_fma_f16 v17, v13, v21, v19
	v_mul_u32_u24_e32 v19, 0x10001, v146
	v_pk_fma_f16 v21, v13, v16, v12
	v_mul_u32_u24_e32 v140, 0x10001, v147
	v_mul_u32_u24_e32 v141, 0x10001, v148
	;; [unrolled: 1-line block ×3, first 2 shown]
	v_pk_fma_f16 v19, v10, v19, v17
	v_pk_fma_f16 v10, v10, v139, v21
	v_mul_u32_u24_e32 v21, 0x10001, v149
	v_dual_lshrrev_b32 v154, 16, v129 :: v_dual_lshrrev_b32 v155, 16, v130
	s_delay_alu instid0(VALU_DEP_4) | instskip(NEXT) | instid1(VALU_DEP_4)
	v_pk_fma_f16 v19, v11, v140, v19
	v_pk_fma_f16 v10, v11, v141, v10
	v_and_b32_e32 v27, 0xffff, v129
	ds_load_b128 v[126:129], v105 offset:192
	v_mul_u32_u24_e32 v144, 0x10001, v151
	v_pk_fma_f16 v18, v2, v18, v19
	v_mul_u32_u24_e32 v19, 0x10001, v93
	v_pk_fma_f16 v2, v2, v21, v10
	v_mul_u32_u24_e32 v21, 0x10001, v125
	s_wait_dscnt 0x2
	v_dual_lshrrev_b32 v138, 16, v135 :: v_dual_lshrrev_b32 v139, 16, v28
	v_pk_fma_f16 v125, v3, v19, v18
	v_and_b32_e32 v140, 0xffff, v28
	v_pk_fma_f16 v2, v3, v21, v2
	v_mul_u32_u24_e32 v3, 0x10001, v150
	v_dual_lshrrev_b32 v11, 16, v29 :: v_dual_lshrrev_b32 v142, 16, v30
	v_and_b32_e32 v141, 0xffff, v29
	v_and_b32_e32 v143, 0xffff, v30
	v_lshrrev_b32_e32 v10, 16, v31
	v_and_b32_e32 v93, 0xffff, v31
	ds_load_b128 v[28:31], v105 offset:208
	v_mul_u32_u24_e32 v92, 0x10001, v92
	v_pk_fma_f16 v125, v0, v144, v125
	v_mul_u32_u24_e32 v91, 0x10001, v91
	v_pk_fma_f16 v0, v0, v3, v2
	v_mul_u32_u24_e32 v3, 0x10001, v152
	v_and_b32_e32 v130, 0xffff, v130
	v_pk_fma_f16 v2, v1, v92, v125
	s_wait_dscnt 0x1
	v_lshrrev_b32_e32 v144, 16, v126
	v_pk_fma_f16 v0, v1, v91, v0
	v_mul_u32_u24_e32 v1, 0x10001, v153
	v_and_b32_e32 v145, 0xffff, v126
	v_mul_u32_u24_e32 v27, 0x10001, v27
	v_mul_u32_u24_e32 v125, 0x10001, v154
	v_lshrrev_b32_e32 v87, 16, v131
	v_pk_fma_f16 v126, v22, v1, v2
	v_pk_fma_f16 v22, v22, v3, v0
	v_and_b32_e32 v86, 0xffff, v131
	v_dual_lshrrev_b32 v92, 16, v127 :: v_dual_lshrrev_b32 v146, 16, v128
	v_and_b32_e32 v91, 0xffff, v127
	v_pk_fma_f16 v27, v23, v27, v126
	v_pk_fma_f16 v125, v23, v125, v22
	v_mul_u32_u24_e32 v126, 0x10001, v130
	v_mul_u32_u24_e32 v127, 0x10001, v155
	v_lshrrev_b32_e32 v131, 16, v132
	v_and_b32_e32 v132, 0xffff, v132
	s_wait_dscnt 0x0
	v_dual_lshrrev_b32 v148, 16, v129 :: v_dual_lshrrev_b32 v149, 16, v28
	v_and_b32_e32 v150, 0xffff, v28
	v_mul_u32_u24_e32 v28, 0x10001, v86
	v_pk_fma_f16 v27, v24, v126, v27
	v_mul_u32_u24_e32 v86, 0x10001, v87
	v_pk_fma_f16 v24, v24, v127, v125
	v_dual_lshrrev_b32 v136, 16, v133 :: v_dual_lshrrev_b32 v137, 16, v134
	v_and_b32_e32 v133, 0xffff, v133
	v_and_b32_e32 v147, 0xffff, v128
	ds_load_b128 v[0:3], v105 offset:224
	v_dual_lshrrev_b32 v151, 16, v29 :: v_dual_lshrrev_b32 v126, 16, v30
	v_and_b32_e32 v152, 0xffff, v29
	v_pk_fma_f16 v27, v25, v28, v27
	v_pk_fma_f16 v28, v25, v86, v24
	v_and_b32_e32 v128, 0xffff, v30
	v_mul_u32_u24_e32 v29, 0x10001, v132
	v_mul_u32_u24_e32 v30, 0x10001, v131
	v_and_b32_e32 v134, 0xffff, v134
	v_lshrrev_b32_e32 v125, 16, v31
	v_and_b32_e32 v127, 0xffff, v31
	v_mul_u32_u24_e32 v31, 0x10001, v133
	v_pk_fma_f16 v27, v14, v29, v27
	v_pk_fma_f16 v14, v14, v30, v28
	v_mul_u32_u24_e32 v28, 0x10001, v136
	v_and_b32_e32 v135, 0xffff, v135
	ds_load_2addr_b32 v[18:19], v26 offset1:32
	ds_load_2addr_b32 v[22:23], v26 offset0:64 offset1:96
	ds_load_2addr_b32 v[24:25], v26 offset0:128 offset1:160
	v_mul_u32_u24_e32 v29, 0x10001, v134
	v_pk_fma_f16 v27, v15, v31, v27
	ds_load_2addr_b32 v[30:31], v26 offset0:192 offset1:224
	v_mul_u32_u24_e32 v26, 0x10001, v137
	v_pk_fma_f16 v14, v15, v28, v14
	v_mul_u32_u24_e32 v15, 0x10001, v135
	v_pk_fma_f16 v27, v8, v29, v27
	v_mul_u32_u24_e32 v134, 0x10001, v138
	ds_load_b128 v[130:133], v105 offset:240
	v_pk_fma_f16 v8, v8, v26, v14
	s_wait_dscnt 0x5
	v_and_b32_e32 v135, 0xffff, v0
	v_pk_fma_f16 v14, v9, v15, v27
	v_mul_u32_u24_e32 v15, 0x10001, v140
	ds_load_2addr_b32 v[4:5], v20 offset1:32
	v_pk_fma_f16 v8, v9, v134, v8
	v_lshrrev_b32_e32 v134, 16, v0
	v_mul_u32_u24_e32 v0, 0x10001, v139
	v_dual_lshrrev_b32 v136, 16, v1 :: v_dual_lshrrev_b32 v138, 16, v2
	v_pk_fma_f16 v9, v88, v15, v14
	v_and_b32_e32 v137, 0xffff, v1
	v_mul_u32_u24_e32 v1, 0x10001, v141
	v_pk_fma_f16 v0, v88, v0, v8
	v_mul_u32_u24_e32 v8, 0x10001, v11
	v_mul_u32_u24_e32 v11, 0x10001, v143
	v_and_b32_e32 v139, 0xffff, v2
	v_pk_fma_f16 v1, v89, v1, v9
	v_mul_u32_u24_e32 v2, 0x10001, v142
	v_pk_fma_f16 v0, v89, v8, v0
	ds_load_2addr_b32 v[12:13], v20 offset0:64 offset1:96
	v_mul_u32_u24_e32 v9, 0x10001, v93
	v_pk_fma_f16 v1, v6, v11, v1
	v_mul_u32_u24_e32 v14, 0x10001, v10
	v_pk_fma_f16 v6, v6, v2, v0
	v_mul_u32_u24_e32 v93, 0x10001, v145
	v_mul_u32_u24_e32 v142, 0x10001, v144
	v_pk_fma_f16 v15, v7, v9, v1
	ds_load_2addr_b32 v[16:17], v20 offset0:128 offset1:160
	v_pk_fma_f16 v6, v7, v14, v6
	v_mul_u32_u24_e32 v7, 0x10001, v91
	v_and_b32_e32 v129, 0xffff, v129
	s_wait_dscnt 0x2
	v_pk_fma_f16 v14, v4, v93, v15
	v_mul_u32_u24_e32 v15, 0x10001, v92
	v_pk_fma_f16 v4, v4, v142, v6
	ds_load_2addr_b32 v[20:21], v20 offset0:192 offset1:224
	v_mul_u32_u24_e32 v145, 0x10001, v152
	v_pk_fma_f16 v6, v5, v7, v14
	v_mul_u32_u24_e32 v7, 0x10001, v146
	v_pk_fma_f16 v4, v5, v15, v4
	v_mul_u32_u24_e32 v5, 0x10001, v147
	v_mul_u32_u24_e32 v14, 0x10001, v129
	;; [unrolled: 1-line block ×4, first 2 shown]
	s_wait_dscnt 0x2
	v_pk_fma_f16 v4, v12, v7, v4
	v_pk_fma_f16 v5, v12, v5, v6
	v_mul_u32_u24_e32 v6, 0x10001, v148
	v_mul_u32_u24_e32 v7, 0x10001, v150
	;; [unrolled: 1-line block ×4, first 2 shown]
	v_pk_fma_f16 v5, v13, v14, v5
	v_pk_fma_f16 v4, v13, v6, v4
	v_mul_u32_u24_e32 v125, 0x10001, v125
	v_dual_lshrrev_b32 v140, 16, v3 :: v_dual_lshrrev_b32 v142, 16, v130
	s_wait_dscnt 0x1
	v_pk_fma_f16 v146, v16, v7, v5
	v_pk_fma_f16 v16, v16, v12, v4
	v_and_b32_e32 v141, 0xffff, v3
	v_add_nc_u32_e32 v90, 0x2000, v99
	v_and_b32_e32 v130, 0xffff, v130
	v_pk_fma_f16 v145, v17, v145, v146
	v_pk_fma_f16 v16, v17, v147, v16
	v_mul_u32_u24_e32 v17, 0x10001, v128
	ds_load_2addr_b32 v[86:87], v90 offset1:32
	ds_load_2addr_b32 v[28:29], v90 offset0:64 offset1:96
	ds_load_2addr_b32 v[26:27], v90 offset0:128 offset1:160
	s_wait_dscnt 0x3
	v_pk_fma_f16 v16, v20, v126, v16
	v_pk_fma_f16 v17, v20, v17, v145
	v_mul_u32_u24_e32 v20, 0x10001, v135
	v_mul_u32_u24_e32 v126, 0x10001, v134
	ds_load_b128 v[8:11], v105 offset:256
	ds_load_b128 v[0:3], v105 offset:272
	v_pk_fma_f16 v16, v21, v125, v16
	v_pk_fma_f16 v17, v21, v127, v17
	v_mul_u32_u24_e32 v125, 0x10001, v137
	v_mul_u32_u24_e32 v127, 0x10001, v136
	v_dual_lshrrev_b32 v143, 16, v131 :: v_dual_lshrrev_b32 v129, 16, v132
	s_delay_alu instid0(VALU_DEP_4)
	v_pk_fma_f16 v17, v18, v20, v17
	v_pk_fma_f16 v16, v18, v126, v16
	v_mul_u32_u24_e32 v18, 0x10001, v139
	v_mul_u32_u24_e32 v20, 0x10001, v138
	;; [unrolled: 1-line block ×3, first 2 shown]
	v_pk_fma_f16 v17, v19, v125, v17
	v_pk_fma_f16 v16, v19, v127, v16
	v_mul_u32_u24_e32 v125, 0x10001, v141
	v_and_b32_e32 v131, 0xffff, v131
	v_and_b32_e32 v132, 0xffff, v132
	v_pk_fma_f16 v17, v22, v18, v17
	v_pk_fma_f16 v16, v22, v20, v16
	v_mul_u32_u24_e32 v18, 0x10001, v130
	v_mul_u32_u24_e32 v20, 0x10001, v142
	s_wait_dscnt 0x1
	v_dual_lshrrev_b32 v144, 16, v133 :: v_dual_lshrrev_b32 v146, 16, v8
	v_pk_fma_f16 v17, v23, v125, v17
	v_pk_fma_f16 v16, v23, v126, v16
	v_mul_u32_u24_e32 v23, 0x10001, v131
	v_mul_u32_u24_e32 v125, 0x10001, v143
	v_and_b32_e32 v133, 0xffff, v133
	v_pk_fma_f16 v17, v24, v18, v17
	v_pk_fma_f16 v16, v24, v20, v16
	v_mul_u32_u24_e32 v18, 0x10001, v132
	v_mul_u32_u24_e32 v20, 0x10001, v129
	v_and_b32_e32 v8, 0xffff, v8
	v_pk_fma_f16 v17, v25, v23, v17
	v_pk_fma_f16 v16, v25, v125, v16
	v_mul_u32_u24_e32 v24, 0x10001, v133
	v_mul_u32_u24_e32 v25, 0x10001, v144
	v_dual_lshrrev_b32 v128, 16, v9 :: v_dual_lshrrev_b32 v21, 16, v10
	v_pk_fma_f16 v17, v30, v18, v17
	v_pk_fma_f16 v16, v30, v20, v16
	v_and_b32_e32 v9, 0xffff, v9
	v_mul_u32_u24_e32 v8, 0x10001, v8
	v_mul_u32_u24_e32 v18, 0x10001, v146
	v_pk_fma_f16 v17, v31, v24, v17
	v_pk_fma_f16 v16, v31, v25, v16
	v_and_b32_e32 v10, 0xffff, v10
	v_mul_u32_u24_e32 v9, 0x10001, v9
	v_mul_u32_u24_e32 v24, 0x10001, v128
	v_pk_fma_f16 v8, v86, v8, v17
	v_pk_fma_f16 v16, v86, v18, v16
	s_wait_dscnt 0x0
	v_dual_lshrrev_b32 v19, 16, v11 :: v_dual_lshrrev_b32 v22, 16, v0
	v_and_b32_e32 v11, 0xffff, v11
	v_mul_u32_u24_e32 v10, 0x10001, v10
	v_mul_u32_u24_e32 v17, 0x10001, v21
	v_pk_fma_f16 v8, v87, v9, v8
	v_pk_fma_f16 v9, v87, v24, v16
	v_add_nc_u32_e32 v124, 0x2400, v99
	ds_load_2addr_b32 v[88:89], v90 offset0:192 offset1:224
	v_and_b32_e32 v0, 0xffff, v0
	v_mul_u32_u24_e32 v11, 0x10001, v11
	v_mul_u32_u24_e32 v18, 0x10001, v19
	v_pk_fma_f16 v8, v28, v10, v8
	v_pk_fma_f16 v9, v28, v17, v9
	ds_load_2addr_b32 v[90:91], v124 offset1:32
	ds_load_2addr_b32 v[92:93], v124 offset0:64 offset1:96
	ds_load_b128 v[12:15], v105 offset:288
	ds_load_b128 v[4:7], v105 offset:304
	v_dual_lshrrev_b32 v23, 16, v1 :: v_dual_lshrrev_b32 v20, 16, v2
	v_and_b32_e32 v1, 0xffff, v1
	v_mul_u32_u24_e32 v0, 0x10001, v0
	v_mul_u32_u24_e32 v10, 0x10001, v22
	v_pk_fma_f16 v8, v29, v11, v8
	v_pk_fma_f16 v9, v29, v18, v9
	v_and_b32_e32 v2, 0xffff, v2
	v_mul_u32_u24_e32 v1, 0x10001, v1
	v_mul_u32_u24_e32 v17, 0x10001, v23
	v_pk_fma_f16 v0, v26, v0, v8
	v_pk_fma_f16 v8, v26, v10, v9
	v_lshrrev_b32_e32 v16, 16, v3
	v_and_b32_e32 v3, 0xffff, v3
	v_mul_u32_u24_e32 v2, 0x10001, v2
	v_mul_u32_u24_e32 v10, 0x10001, v20
	v_pk_fma_f16 v0, v27, v1, v0
	v_pk_fma_f16 v1, v27, v17, v8
	s_wait_dscnt 0x1
	v_lshrrev_b32_e32 v11, 16, v12
	v_and_b32_e32 v9, 0xffff, v12
	v_mul_u32_u24_e32 v3, 0x10001, v3
	v_mul_u32_u24_e32 v12, 0x10001, v16
	v_pk_fma_f16 v0, v88, v2, v0
	v_pk_fma_f16 v1, v88, v10, v1
	v_lshrrev_b32_e32 v8, 16, v13
	v_and_b32_e32 v2, 0xffff, v13
	v_mul_u32_u24_e32 v9, 0x10001, v9
	v_mul_u32_u24_e32 v10, 0x10001, v11
	v_pk_fma_f16 v0, v89, v3, v0
	v_pk_fma_f16 v1, v89, v12, v1
	v_mul_u32_u24_e32 v2, 0x10001, v2
	v_lshrrev_b32_e32 v11, 16, v14
	v_mul_u32_u24_e32 v3, 0x10001, v8
	v_pk_fma_f16 v0, v90, v9, v0
	v_pk_fma_f16 v1, v90, v10, v1
	v_and_b32_e32 v10, 0xffff, v14
	ds_load_2addr_b32 v[8:9], v124 offset0:128 offset1:160
	s_wait_dscnt 0x1
	v_and_b32_e32 v13, 0xffff, v5
	v_pk_fma_f16 v0, v91, v2, v0
	v_pk_fma_f16 v1, v91, v3, v1
	v_mul_u32_u24_e32 v2, 0x10001, v10
	v_mul_u32_u24_e32 v3, 0x10001, v11
	v_and_b32_e32 v10, 0xffff, v15
	v_dual_lshrrev_b32 v11, 16, v15 :: v_dual_lshrrev_b32 v5, 16, v5
	s_delay_alu instid0(VALU_DEP_4) | instskip(NEXT) | instid1(VALU_DEP_4)
	v_pk_fma_f16 v0, v92, v2, v0
	v_pk_fma_f16 v1, v92, v3, v1
	s_delay_alu instid0(VALU_DEP_4) | instskip(SKIP_3) | instid1(VALU_DEP_4)
	v_mul_u32_u24_e32 v2, 0x10001, v10
	v_and_b32_e32 v10, 0xffff, v4
	v_lshrrev_b32_e32 v4, 16, v4
	v_mul_u32_u24_e32 v3, 0x10001, v11
	v_pk_fma_f16 v0, v93, v2, v0
	s_delay_alu instid0(VALU_DEP_3) | instskip(NEXT) | instid1(VALU_DEP_3)
	v_mul_u32_u24_e32 v4, 0x10001, v4
	v_pk_fma_f16 v12, v93, v3, v1
	v_mul_u32_u24_e32 v1, 0x10001, v10
	ds_load_2addr_b32 v[10:11], v124 offset0:192 offset1:224
	s_wait_dscnt 0x1
	v_pk_fma_f16 v4, v8, v4, v12
	v_pk_fma_f16 v14, v8, v1, v0
	ds_load_b128 v[0:3], v105 offset:320
	v_mul_u32_u24_e32 v8, 0x10001, v13
	v_and_b32_e32 v12, 0xffff, v6
	v_lshrrev_b32_e32 v6, 16, v6
	v_mul_u32_u24_e32 v5, 0x10001, v5
	v_add_nc_u32_e32 v13, 0x2800, v99
	v_pk_fma_f16 v14, v9, v8, v14
	s_delay_alu instid0(VALU_DEP_4) | instskip(NEXT) | instid1(VALU_DEP_4)
	v_mul_u32_u24_e32 v6, 0x10001, v6
	v_pk_fma_f16 v4, v9, v5, v4
	ds_load_2addr_b32 v[8:9], v13 offset1:32
	v_mul_u32_u24_e32 v5, 0x10001, v12
	v_and_b32_e32 v12, 0xffff, v7
	v_lshrrev_b32_e32 v7, 16, v7
	s_wait_dscnt 0x2
	s_delay_alu instid0(VALU_DEP_3)
	v_pk_fma_f16 v14, v10, v5, v14
	v_pk_fma_f16 v10, v10, v6, v4
	v_mul_u32_u24_e32 v12, 0x10001, v12
	v_mul_u32_u24_e32 v15, 0x10001, v7
	ds_load_b128 v[4:7], v105 offset:336
	s_wait_dscnt 0x2
	v_and_b32_e32 v16, 0xffff, v0
	v_lshrrev_b32_e32 v0, 16, v0
	v_pk_fma_f16 v12, v11, v12, v14
	v_pk_fma_f16 v14, v11, v15, v10
	ds_load_2addr_b32 v[10:11], v13 offset0:64 offset1:96
	v_mul_u32_u24_e32 v15, 0x10001, v16
	v_mul_u32_u24_e32 v0, 0x10001, v0
	v_and_b32_e32 v16, 0xffff, v1
	v_lshrrev_b32_e32 v1, 16, v1
	s_wait_dscnt 0x2
	v_pk_fma_f16 v12, v8, v15, v12
	v_pk_fma_f16 v0, v8, v0, v14
	v_mul_u32_u24_e32 v8, 0x10001, v16
	v_and_b32_e32 v14, 0xffff, v2
	v_lshrrev_b32_e32 v2, 16, v2
	v_mul_u32_u24_e32 v1, 0x10001, v1
	s_delay_alu instid0(VALU_DEP_4) | instskip(NEXT) | instid1(VALU_DEP_3)
	v_pk_fma_f16 v12, v9, v8, v12
	v_mul_u32_u24_e32 v2, 0x10001, v2
	s_delay_alu instid0(VALU_DEP_3)
	v_pk_fma_f16 v0, v9, v1, v0
	ds_load_2addr_b32 v[8:9], v13 offset0:128 offset1:160
	v_mul_u32_u24_e32 v1, 0x10001, v14
	v_and_b32_e32 v14, 0xffff, v3
	v_lshrrev_b32_e32 v3, 16, v3
	s_wait_dscnt 0x1
	v_pk_fma_f16 v0, v10, v2, v0
	v_pk_fma_f16 v1, v10, v1, v12
	v_mul_u32_u24_e32 v2, 0x10001, v14
	v_and_b32_e32 v10, 0xffff, v4
	v_lshrrev_b32_e32 v4, 16, v4
	v_mul_u32_u24_e32 v3, 0x10001, v3
	s_delay_alu instid0(VALU_DEP_4) | instskip(NEXT) | instid1(VALU_DEP_3)
	v_pk_fma_f16 v1, v11, v2, v1
	v_mul_u32_u24_e32 v4, 0x10001, v4
	s_delay_alu instid0(VALU_DEP_3)
	v_pk_fma_f16 v12, v11, v3, v0
	v_mul_u32_u24_e32 v0, 0x10001, v10
	ds_load_2addr_b32 v[10:11], v13 offset0:192 offset1:224
	v_and_b32_e32 v13, 0xffff, v5
	v_lshrrev_b32_e32 v5, 16, v5
	s_wait_dscnt 0x1
	v_pk_fma_f16 v4, v8, v4, v12
	v_pk_fma_f16 v14, v8, v0, v1
	ds_load_b128 v[0:3], v105 offset:352
	v_mul_u32_u24_e32 v8, 0x10001, v13
	v_and_b32_e32 v12, 0xffff, v6
	v_lshrrev_b32_e32 v6, 16, v6
	v_mul_u32_u24_e32 v5, 0x10001, v5
	v_add_nc_u32_e32 v13, 0x2c00, v99
	v_pk_fma_f16 v14, v9, v8, v14
	s_delay_alu instid0(VALU_DEP_4) | instskip(NEXT) | instid1(VALU_DEP_4)
	v_mul_u32_u24_e32 v6, 0x10001, v6
	v_pk_fma_f16 v4, v9, v5, v4
	ds_load_2addr_b32 v[8:9], v13 offset1:32
	v_mul_u32_u24_e32 v5, 0x10001, v12
	v_and_b32_e32 v12, 0xffff, v7
	v_lshrrev_b32_e32 v7, 16, v7
	s_wait_dscnt 0x2
	s_delay_alu instid0(VALU_DEP_3)
	v_pk_fma_f16 v14, v10, v5, v14
	v_pk_fma_f16 v10, v10, v6, v4
	v_mul_u32_u24_e32 v12, 0x10001, v12
	v_mul_u32_u24_e32 v15, 0x10001, v7
	ds_load_b128 v[4:7], v105 offset:368
	s_wait_dscnt 0x2
	v_and_b32_e32 v16, 0xffff, v0
	v_lshrrev_b32_e32 v0, 16, v0
	v_pk_fma_f16 v12, v11, v12, v14
	v_pk_fma_f16 v14, v11, v15, v10
	ds_load_2addr_b32 v[10:11], v13 offset0:64 offset1:96
	v_mul_u32_u24_e32 v15, 0x10001, v16
	v_mul_u32_u24_e32 v0, 0x10001, v0
	v_and_b32_e32 v16, 0xffff, v1
	v_lshrrev_b32_e32 v1, 16, v1
	s_wait_dscnt 0x2
	v_pk_fma_f16 v12, v8, v15, v12
	v_pk_fma_f16 v0, v8, v0, v14
	v_mul_u32_u24_e32 v8, 0x10001, v16
	v_and_b32_e32 v14, 0xffff, v2
	v_lshrrev_b32_e32 v2, 16, v2
	v_mul_u32_u24_e32 v1, 0x10001, v1
	s_delay_alu instid0(VALU_DEP_4) | instskip(NEXT) | instid1(VALU_DEP_3)
	v_pk_fma_f16 v12, v9, v8, v12
	v_mul_u32_u24_e32 v2, 0x10001, v2
	s_delay_alu instid0(VALU_DEP_3)
	v_pk_fma_f16 v0, v9, v1, v0
	ds_load_2addr_b32 v[8:9], v13 offset0:128 offset1:160
	v_mul_u32_u24_e32 v1, 0x10001, v14
	v_and_b32_e32 v14, 0xffff, v3
	v_lshrrev_b32_e32 v3, 16, v3
	s_wait_dscnt 0x1
	v_pk_fma_f16 v0, v10, v2, v0
	v_pk_fma_f16 v1, v10, v1, v12
	v_mul_u32_u24_e32 v2, 0x10001, v14
	v_and_b32_e32 v10, 0xffff, v4
	v_lshrrev_b32_e32 v4, 16, v4
	v_mul_u32_u24_e32 v3, 0x10001, v3
	s_delay_alu instid0(VALU_DEP_4) | instskip(NEXT) | instid1(VALU_DEP_3)
	v_pk_fma_f16 v1, v11, v2, v1
	v_mul_u32_u24_e32 v4, 0x10001, v4
	s_delay_alu instid0(VALU_DEP_3)
	v_pk_fma_f16 v12, v11, v3, v0
	v_mul_u32_u24_e32 v0, 0x10001, v10
	ds_load_2addr_b32 v[10:11], v13 offset0:192 offset1:224
	v_and_b32_e32 v13, 0xffff, v5
	v_lshrrev_b32_e32 v5, 16, v5
	s_wait_dscnt 0x1
	v_pk_fma_f16 v4, v8, v4, v12
	v_pk_fma_f16 v14, v8, v0, v1
	ds_load_b128 v[0:3], v105 offset:384
	v_mul_u32_u24_e32 v8, 0x10001, v13
	v_and_b32_e32 v12, 0xffff, v6
	v_lshrrev_b32_e32 v6, 16, v6
	v_mul_u32_u24_e32 v5, 0x10001, v5
	v_add_nc_u32_e32 v13, 0x3000, v99
	v_pk_fma_f16 v14, v9, v8, v14
	s_delay_alu instid0(VALU_DEP_4) | instskip(NEXT) | instid1(VALU_DEP_4)
	v_mul_u32_u24_e32 v6, 0x10001, v6
	v_pk_fma_f16 v4, v9, v5, v4
	ds_load_2addr_b32 v[8:9], v13 offset1:32
	v_mul_u32_u24_e32 v5, 0x10001, v12
	v_and_b32_e32 v12, 0xffff, v7
	v_lshrrev_b32_e32 v7, 16, v7
	s_wait_dscnt 0x2
	s_delay_alu instid0(VALU_DEP_3)
	v_pk_fma_f16 v14, v10, v5, v14
	v_pk_fma_f16 v10, v10, v6, v4
	v_mul_u32_u24_e32 v12, 0x10001, v12
	v_mul_u32_u24_e32 v15, 0x10001, v7
	ds_load_b128 v[4:7], v105 offset:400
	s_wait_dscnt 0x2
	v_and_b32_e32 v16, 0xffff, v0
	v_lshrrev_b32_e32 v0, 16, v0
	v_pk_fma_f16 v12, v11, v12, v14
	v_pk_fma_f16 v14, v11, v15, v10
	ds_load_2addr_b32 v[10:11], v13 offset0:64 offset1:96
	v_mul_u32_u24_e32 v15, 0x10001, v16
	v_mul_u32_u24_e32 v0, 0x10001, v0
	v_and_b32_e32 v16, 0xffff, v1
	v_lshrrev_b32_e32 v1, 16, v1
	s_wait_dscnt 0x2
	v_pk_fma_f16 v12, v8, v15, v12
	v_pk_fma_f16 v0, v8, v0, v14
	v_mul_u32_u24_e32 v8, 0x10001, v16
	v_and_b32_e32 v14, 0xffff, v2
	v_lshrrev_b32_e32 v2, 16, v2
	v_mul_u32_u24_e32 v1, 0x10001, v1
	s_delay_alu instid0(VALU_DEP_4) | instskip(NEXT) | instid1(VALU_DEP_3)
	v_pk_fma_f16 v12, v9, v8, v12
	v_mul_u32_u24_e32 v2, 0x10001, v2
	s_delay_alu instid0(VALU_DEP_3)
	v_pk_fma_f16 v0, v9, v1, v0
	ds_load_2addr_b32 v[8:9], v13 offset0:128 offset1:160
	v_mul_u32_u24_e32 v1, 0x10001, v14
	v_and_b32_e32 v14, 0xffff, v3
	v_lshrrev_b32_e32 v3, 16, v3
	s_wait_dscnt 0x1
	v_pk_fma_f16 v0, v10, v2, v0
	v_pk_fma_f16 v1, v10, v1, v12
	v_mul_u32_u24_e32 v2, 0x10001, v14
	v_and_b32_e32 v10, 0xffff, v4
	v_lshrrev_b32_e32 v4, 16, v4
	v_mul_u32_u24_e32 v3, 0x10001, v3
	s_delay_alu instid0(VALU_DEP_4) | instskip(NEXT) | instid1(VALU_DEP_3)
	v_pk_fma_f16 v1, v11, v2, v1
	v_mul_u32_u24_e32 v4, 0x10001, v4
	s_delay_alu instid0(VALU_DEP_3)
	v_pk_fma_f16 v12, v11, v3, v0
	v_mul_u32_u24_e32 v0, 0x10001, v10
	ds_load_2addr_b32 v[10:11], v13 offset0:192 offset1:224
	v_and_b32_e32 v13, 0xffff, v5
	v_lshrrev_b32_e32 v5, 16, v5
	s_wait_dscnt 0x1
	v_pk_fma_f16 v4, v8, v4, v12
	v_pk_fma_f16 v14, v8, v0, v1
	ds_load_b128 v[0:3], v105 offset:416
	v_mul_u32_u24_e32 v8, 0x10001, v13
	v_and_b32_e32 v12, 0xffff, v6
	v_lshrrev_b32_e32 v6, 16, v6
	v_mul_u32_u24_e32 v5, 0x10001, v5
	v_add_nc_u32_e32 v13, 0x3400, v99
	v_pk_fma_f16 v14, v9, v8, v14
	s_delay_alu instid0(VALU_DEP_4) | instskip(NEXT) | instid1(VALU_DEP_4)
	v_mul_u32_u24_e32 v6, 0x10001, v6
	v_pk_fma_f16 v4, v9, v5, v4
	ds_load_2addr_b32 v[8:9], v13 offset1:32
	v_mul_u32_u24_e32 v5, 0x10001, v12
	v_and_b32_e32 v12, 0xffff, v7
	v_lshrrev_b32_e32 v7, 16, v7
	s_wait_dscnt 0x2
	s_delay_alu instid0(VALU_DEP_3)
	v_pk_fma_f16 v14, v10, v5, v14
	v_pk_fma_f16 v10, v10, v6, v4
	v_mul_u32_u24_e32 v12, 0x10001, v12
	v_mul_u32_u24_e32 v15, 0x10001, v7
	ds_load_b128 v[4:7], v105 offset:432
	s_wait_dscnt 0x2
	v_and_b32_e32 v16, 0xffff, v0
	v_lshrrev_b32_e32 v0, 16, v0
	v_pk_fma_f16 v12, v11, v12, v14
	v_pk_fma_f16 v14, v11, v15, v10
	ds_load_2addr_b32 v[10:11], v13 offset0:64 offset1:96
	v_mul_u32_u24_e32 v15, 0x10001, v16
	v_mul_u32_u24_e32 v0, 0x10001, v0
	v_and_b32_e32 v16, 0xffff, v1
	v_lshrrev_b32_e32 v1, 16, v1
	s_wait_dscnt 0x2
	v_pk_fma_f16 v12, v8, v15, v12
	v_pk_fma_f16 v0, v8, v0, v14
	v_mul_u32_u24_e32 v8, 0x10001, v16
	v_and_b32_e32 v14, 0xffff, v2
	v_lshrrev_b32_e32 v2, 16, v2
	v_mul_u32_u24_e32 v1, 0x10001, v1
	s_delay_alu instid0(VALU_DEP_4) | instskip(NEXT) | instid1(VALU_DEP_3)
	v_pk_fma_f16 v12, v9, v8, v12
	v_mul_u32_u24_e32 v2, 0x10001, v2
	s_delay_alu instid0(VALU_DEP_3)
	v_pk_fma_f16 v0, v9, v1, v0
	ds_load_2addr_b32 v[8:9], v13 offset0:128 offset1:160
	v_mul_u32_u24_e32 v1, 0x10001, v14
	v_and_b32_e32 v14, 0xffff, v3
	v_lshrrev_b32_e32 v3, 16, v3
	s_wait_dscnt 0x1
	v_pk_fma_f16 v0, v10, v2, v0
	v_pk_fma_f16 v1, v10, v1, v12
	v_mul_u32_u24_e32 v2, 0x10001, v14
	v_and_b32_e32 v10, 0xffff, v4
	v_lshrrev_b32_e32 v4, 16, v4
	v_mul_u32_u24_e32 v3, 0x10001, v3
	s_delay_alu instid0(VALU_DEP_4) | instskip(NEXT) | instid1(VALU_DEP_3)
	v_pk_fma_f16 v1, v11, v2, v1
	v_mul_u32_u24_e32 v4, 0x10001, v4
	s_delay_alu instid0(VALU_DEP_3)
	v_pk_fma_f16 v12, v11, v3, v0
	v_mul_u32_u24_e32 v0, 0x10001, v10
	ds_load_2addr_b32 v[10:11], v13 offset0:192 offset1:224
	v_and_b32_e32 v13, 0xffff, v5
	v_lshrrev_b32_e32 v5, 16, v5
	s_wait_dscnt 0x1
	v_pk_fma_f16 v4, v8, v4, v12
	v_pk_fma_f16 v14, v8, v0, v1
	ds_load_b128 v[0:3], v105 offset:448
	v_mul_u32_u24_e32 v8, 0x10001, v13
	v_and_b32_e32 v12, 0xffff, v6
	v_lshrrev_b32_e32 v6, 16, v6
	v_mul_u32_u24_e32 v5, 0x10001, v5
	v_add_nc_u32_e32 v13, 0x3800, v99
	v_pk_fma_f16 v14, v9, v8, v14
	s_delay_alu instid0(VALU_DEP_4) | instskip(NEXT) | instid1(VALU_DEP_4)
	v_mul_u32_u24_e32 v6, 0x10001, v6
	v_pk_fma_f16 v4, v9, v5, v4
	ds_load_2addr_b32 v[8:9], v13 offset1:32
	v_mul_u32_u24_e32 v5, 0x10001, v12
	v_and_b32_e32 v12, 0xffff, v7
	v_lshrrev_b32_e32 v7, 16, v7
	s_wait_dscnt 0x2
	s_delay_alu instid0(VALU_DEP_3)
	v_pk_fma_f16 v14, v10, v5, v14
	v_pk_fma_f16 v10, v10, v6, v4
	v_mul_u32_u24_e32 v12, 0x10001, v12
	v_mul_u32_u24_e32 v15, 0x10001, v7
	ds_load_b128 v[4:7], v105 offset:464
	s_wait_dscnt 0x2
	v_and_b32_e32 v16, 0xffff, v0
	v_lshrrev_b32_e32 v0, 16, v0
	v_pk_fma_f16 v12, v11, v12, v14
	v_pk_fma_f16 v14, v11, v15, v10
	ds_load_2addr_b32 v[10:11], v13 offset0:64 offset1:96
	v_mul_u32_u24_e32 v15, 0x10001, v16
	v_mul_u32_u24_e32 v0, 0x10001, v0
	v_and_b32_e32 v16, 0xffff, v1
	v_lshrrev_b32_e32 v1, 16, v1
	s_wait_dscnt 0x2
	v_pk_fma_f16 v12, v8, v15, v12
	v_pk_fma_f16 v0, v8, v0, v14
	v_mul_u32_u24_e32 v8, 0x10001, v16
	v_and_b32_e32 v14, 0xffff, v2
	v_lshrrev_b32_e32 v2, 16, v2
	v_mul_u32_u24_e32 v1, 0x10001, v1
	s_delay_alu instid0(VALU_DEP_4) | instskip(NEXT) | instid1(VALU_DEP_3)
	v_pk_fma_f16 v12, v9, v8, v12
	v_mul_u32_u24_e32 v2, 0x10001, v2
	s_delay_alu instid0(VALU_DEP_3)
	v_pk_fma_f16 v0, v9, v1, v0
	ds_load_2addr_b32 v[8:9], v13 offset0:128 offset1:160
	v_mul_u32_u24_e32 v1, 0x10001, v14
	v_and_b32_e32 v14, 0xffff, v3
	v_lshrrev_b32_e32 v3, 16, v3
	s_wait_dscnt 0x1
	v_pk_fma_f16 v0, v10, v2, v0
	v_pk_fma_f16 v1, v10, v1, v12
	v_mul_u32_u24_e32 v2, 0x10001, v14
	v_and_b32_e32 v10, 0xffff, v4
	v_lshrrev_b32_e32 v4, 16, v4
	v_mul_u32_u24_e32 v3, 0x10001, v3
	s_delay_alu instid0(VALU_DEP_4) | instskip(NEXT) | instid1(VALU_DEP_3)
	v_pk_fma_f16 v1, v11, v2, v1
	v_mul_u32_u24_e32 v4, 0x10001, v4
	s_delay_alu instid0(VALU_DEP_3)
	v_pk_fma_f16 v12, v11, v3, v0
	v_mul_u32_u24_e32 v0, 0x10001, v10
	ds_load_2addr_b32 v[10:11], v13 offset0:192 offset1:224
	v_and_b32_e32 v13, 0xffff, v5
	v_lshrrev_b32_e32 v5, 16, v5
	s_wait_dscnt 0x1
	v_pk_fma_f16 v4, v8, v4, v12
	v_pk_fma_f16 v14, v8, v0, v1
	ds_load_b128 v[0:3], v105 offset:480
	v_mul_u32_u24_e32 v8, 0x10001, v13
	v_and_b32_e32 v12, 0xffff, v6
	v_lshrrev_b32_e32 v6, 16, v6
	v_mul_u32_u24_e32 v5, 0x10001, v5
	v_add_nc_u32_e32 v13, 0x3c00, v99
	v_pk_fma_f16 v14, v9, v8, v14
	s_delay_alu instid0(VALU_DEP_4) | instskip(NEXT) | instid1(VALU_DEP_4)
	v_mul_u32_u24_e32 v6, 0x10001, v6
	v_pk_fma_f16 v4, v9, v5, v4
	ds_load_2addr_b32 v[8:9], v13 offset1:32
	v_mul_u32_u24_e32 v5, 0x10001, v12
	v_and_b32_e32 v12, 0xffff, v7
	v_lshrrev_b32_e32 v7, 16, v7
	s_wait_dscnt 0x2
	s_delay_alu instid0(VALU_DEP_3)
	v_pk_fma_f16 v14, v10, v5, v14
	v_pk_fma_f16 v10, v10, v6, v4
	v_mul_u32_u24_e32 v12, 0x10001, v12
	v_mul_u32_u24_e32 v15, 0x10001, v7
	ds_load_b128 v[4:7], v105 offset:496
	s_wait_dscnt 0x2
	v_and_b32_e32 v16, 0xffff, v0
	v_lshrrev_b32_e32 v0, 16, v0
	v_pk_fma_f16 v12, v11, v12, v14
	v_pk_fma_f16 v14, v11, v15, v10
	ds_load_2addr_b32 v[10:11], v13 offset0:64 offset1:96
	v_mul_u32_u24_e32 v15, 0x10001, v16
	v_mul_u32_u24_e32 v0, 0x10001, v0
	v_and_b32_e32 v16, 0xffff, v1
	v_lshrrev_b32_e32 v1, 16, v1
	s_wait_dscnt 0x2
	v_pk_fma_f16 v12, v8, v15, v12
	v_pk_fma_f16 v0, v8, v0, v14
	v_mul_u32_u24_e32 v8, 0x10001, v16
	v_and_b32_e32 v14, 0xffff, v2
	v_lshrrev_b32_e32 v2, 16, v2
	v_mul_u32_u24_e32 v1, 0x10001, v1
	s_delay_alu instid0(VALU_DEP_4) | instskip(NEXT) | instid1(VALU_DEP_4)
	v_pk_fma_f16 v8, v9, v8, v12
	v_mul_u32_u24_e32 v12, 0x10001, v14
	s_delay_alu instid0(VALU_DEP_4) | instskip(NEXT) | instid1(VALU_DEP_4)
	v_mul_u32_u24_e32 v2, 0x10001, v2
	v_pk_fma_f16 v9, v9, v1, v0
	ds_load_2addr_b32 v[0:1], v13 offset0:128 offset1:160
	v_and_b32_e32 v14, 0xffff, v3
	v_lshrrev_b32_e32 v3, 16, v3
	s_wait_dscnt 0x1
	v_pk_fma_f16 v8, v10, v12, v8
	v_pk_fma_f16 v2, v10, v2, v9
	v_and_b32_e32 v10, 0xffff, v4
	v_mul_u32_u24_e32 v9, 0x10001, v14
	v_lshrrev_b32_e32 v4, 16, v4
	v_mul_u32_u24_e32 v3, 0x10001, v3
	s_delay_alu instid0(VALU_DEP_4) | instskip(NEXT) | instid1(VALU_DEP_4)
	v_mul_u32_u24_e32 v10, 0x10001, v10
	v_pk_fma_f16 v8, v11, v9, v8
	s_delay_alu instid0(VALU_DEP_4) | instskip(NEXT) | instid1(VALU_DEP_4)
	v_mul_u32_u24_e32 v4, 0x10001, v4
	v_pk_fma_f16 v9, v11, v3, v2
	v_pk_add_f32 v[2:3], v[80:81], v[82:83]
	v_and_b32_e32 v11, 0xffff, v6
	v_lshrrev_b32_e32 v6, 16, v6
	s_delay_alu instid0(VALU_DEP_3)
	v_pk_add_f32 v[2:3], v[78:79], v[2:3]
	s_wait_dscnt 0x0
	v_pk_fma_f16 v10, v0, v10, v8
	v_pk_fma_f16 v0, v0, v4, v9
	ds_load_2addr_b32 v[8:9], v13 offset0:192 offset1:224
	s_wait_dscnt 0x0
	s_barrier_signal -1
	s_barrier_wait -1
	s_load_b32 s11, s[6:7], 0x4
	v_lshrrev_b32_e32 v4, 16, v5
	v_and_b32_e32 v5, 0xffff, v5
	v_mul_u32_u24_e32 v6, 0x10001, v6
	s_delay_alu instid0(VALU_DEP_3) | instskip(NEXT) | instid1(VALU_DEP_3)
	v_mul_u32_u24_e32 v4, 0x10001, v4
	v_mul_u32_u24_e32 v5, 0x10001, v5
	s_delay_alu instid0(VALU_DEP_2) | instskip(NEXT) | instid1(VALU_DEP_2)
	v_pk_fma_f16 v4, v1, v4, v0
	v_pk_fma_f16 v5, v1, v5, v10
	v_mul_u32_u24_e32 v10, 0x10001, v11
	v_and_b32_e32 v11, 0xffff, v7
	v_lshrrev_b32_e32 v7, 16, v7
	v_pk_add_f32 v[0:1], v[76:77], v[2:3]
	v_pk_fma_f16 v4, v8, v6, v4
	v_pk_fma_f16 v2, v8, v10, v5
	v_mul_u32_u24_e32 v3, 0x10001, v11
	v_mul_u32_u24_e32 v5, 0x10001, v7
	s_wait_kmcnt 0x0
	s_lshl_b32 s11, s11, 7
	v_pk_fma_f32 v[34:35], v[34:35], v[84:85], v[0:1]
	s_add_co_i32 s18, s11, s18
	v_pk_fma_f16 v87, v9, v3, v2
	v_pk_fma_f16 v86, v9, v5, v4
	s_cmp_lt_i32 s18, s3
	s_cbranch_scc0 .LBB62_28
; %bb.26:                               ;   in Loop: Header=BB62_8 Depth=1
	v_dual_mov_b32 v76, v40 :: v_dual_mov_b32 v77, v41
	s_branch .LBB62_8
.LBB62_27:
	v_mov_b64_e32 v[40:41], 0xfefffffffeffffff
	v_dual_mov_b32 v87, 0 :: v_dual_mov_b32 v34, 0
	v_mov_b32_e32 v86, 0
.LBB62_28:
	v_lshlrev_b32_e32 v92, 1, v32
	s_cmp_gt_i32 s2, s18
	s_cbranch_scc1 .LBB62_31
; %bb.29:
	v_mbcnt_lo_u32_b32 v0, -1, 0
	v_mov_b32_e32 v107, 32
	s_delay_alu instid0(VALU_DEP_2)
	v_xor_b32_e32 v93, 16, v0
	v_xor_b32_e32 v103, 8, v0
	;; [unrolled: 1-line block ×5, first 2 shown]
	s_cbranch_execz .LBB62_32
; %bb.30:
	v_mov_b32_e32 v98, v0
	s_branch .LBB62_71
.LBB62_31:
                                        ; implicit-def: $vgpr0
                                        ; implicit-def: $vgpr107
                                        ; implicit-def: $vgpr93
                                        ; implicit-def: $vgpr103
                                        ; implicit-def: $vgpr104
                                        ; implicit-def: $vgpr105
                                        ; implicit-def: $vgpr106
.LBB62_32:
	v_lshl_add_u32 v18, v100, 2, v102
	s_ashr_i32 s19, s18, 31
	s_ashr_i32 s9, s8, 31
	v_dual_mov_b32 v0, 0 :: v_dual_lshlrev_b32 v1, 20, v98
	s_delay_alu instid0(VALU_DEP_2)
	v_mul_lo_u32 v8, s8, v18
	s_mul_u64 s[6:7], s[18:19], s[8:9]
	v_and_b32_e32 v2, 28, v99
	s_lshl_b64 s[6:7], s[6:7], 2
	v_add_nc_u64_e32 v[10:11], src_flat_scratch_base_lo, v[0:1]
	s_add_nc_u64 s[10:11], s[4:5], s[6:7]
	s_sub_co_i32 s20, s2, s18
	s_mov_b32 s4, 0
	v_cmp_gt_i32_e64 s2, s20, v18
	s_mov_b32 s5, s4
	s_mov_b32 s6, s4
	v_dual_ashrrev_i32 v9, 31, v8 :: v_dual_mov_b32 v13, 0
	v_dual_lshlrev_b32 v12, 2, v2 :: v_dual_mov_b32 v4, s4
	v_mov_b32_e32 v5, s5
	s_delay_alu instid0(VALU_DEP_3) | instskip(SKIP_1) | instid1(VALU_DEP_3)
	v_lshl_add_u64 v[2:3], v[8:9], 2, s[10:11]
	s_lshl_b32 s9, s8, 4
	v_mad_u32_u24 v7, 0x90, v18, v12
	v_add_nc_u32_e32 v23, 0x50, v18
	v_add_nc_u32_e32 v25, 0x60, v18
	v_add_nc_u64_e32 v[0:1], v[2:3], v[12:13]
	v_mov_b32_e32 v6, s6
	v_add_nc_u32_e32 v24, 0x70, v18
	v_cmp_gt_i32_e64 s7, s20, v23
	v_cmp_gt_i32_e64 s8, s20, v25
	s_cmp_lg_u64 s[14:15], 0
	v_dual_add_nc_u32 v19, 16, v18 :: v_dual_cndmask_b32 v0, v10, v0, s2
	v_cndmask_b32_e64 v1, v11, v1, s2
	s_clause 0x1
	scratch_store_b32 off, v13, off
	scratch_store_b96 off, v[4:6], off offset:4
	v_add_nc_u32_e32 v20, 32, v18
	v_cmp_gt_i32_e64 s3, s20, v19
	v_add_nc_u32_e32 v8, s9, v8
	flat_load_b128 v[0:3], v[0:1]
	s_clause 0x1
	scratch_store_b32 off, v13, off
	scratch_store_b96 off, v[4:6], off offset:4
	v_cmp_gt_i32_e64 s4, s20, v20
	v_dual_add_nc_u32 v21, 48, v18 :: v_dual_ashrrev_i32 v9, 31, v8
	v_add_nc_u32_e32 v22, 64, v18
	s_delay_alu instid0(VALU_DEP_2) | instskip(NEXT) | instid1(VALU_DEP_3)
	v_cmp_gt_i32_e64 s5, s20, v21
	v_lshl_add_u64 v[14:15], v[8:9], 2, s[10:11]
	s_delay_alu instid0(VALU_DEP_3) | instskip(NEXT) | instid1(VALU_DEP_2)
	v_cmp_gt_i32_e64 s6, s20, v22
	v_add_nc_u64_e32 v[14:15], v[14:15], v[12:13]
	s_delay_alu instid0(VALU_DEP_1) | instskip(SKIP_1) | instid1(VALU_DEP_1)
	v_dual_cndmask_b32 v15, v11, v15, s3 :: v_dual_cndmask_b32 v14, v10, v14, s3
	v_add_nc_u32_e32 v8, s9, v8
	v_ashrrev_i32_e32 v9, 31, v8
	s_wait_loadcnt_dscnt 0x0
	ds_store_b128 v7, v[0:3]
	flat_load_b128 v[0:3], v[14:15]
	s_wait_xcnt 0x0
	v_lshl_add_u64 v[14:15], v[8:9], 2, s[10:11]
	s_clause 0x1
	scratch_store_b32 off, v13, off
	scratch_store_b96 off, v[4:6], off offset:4
	v_add_nc_u32_e32 v8, s9, v8
	v_add_nc_u64_e32 v[14:15], v[14:15], v[12:13]
	s_delay_alu instid0(VALU_DEP_1) | instskip(NEXT) | instid1(VALU_DEP_2)
	v_dual_ashrrev_i32 v9, 31, v8 :: v_dual_cndmask_b32 v15, v11, v15, s4
	v_cndmask_b32_e64 v14, v10, v14, s4
	s_wait_loadcnt_dscnt 0x0
	ds_store_b128 v7, v[0:3] offset:2304
	flat_load_b128 v[0:3], v[14:15]
	s_wait_xcnt 0x0
	v_lshl_add_u64 v[14:15], v[8:9], 2, s[10:11]
	s_clause 0x1
	scratch_store_b32 off, v13, off
	scratch_store_b96 off, v[4:6], off offset:4
	v_add_nc_u32_e32 v8, s9, v8
	v_add_nc_u64_e32 v[14:15], v[14:15], v[12:13]
	s_delay_alu instid0(VALU_DEP_1) | instskip(NEXT) | instid1(VALU_DEP_2)
	v_dual_ashrrev_i32 v9, 31, v8 :: v_dual_cndmask_b32 v15, v11, v15, s5
	v_cndmask_b32_e64 v14, v10, v14, s5
	s_wait_loadcnt_dscnt 0x0
	ds_store_b128 v7, v[0:3] offset:4608
	flat_load_b128 v[0:3], v[14:15]
	s_wait_xcnt 0x0
	v_lshl_add_u64 v[14:15], v[8:9], 2, s[10:11]
	s_clause 0x1
	scratch_store_b32 off, v13, off
	scratch_store_b96 off, v[4:6], off offset:4
	v_add_nc_u32_e32 v8, s9, v8
	v_add_nc_u64_e32 v[14:15], v[14:15], v[12:13]
	s_delay_alu instid0(VALU_DEP_1) | instskip(NEXT) | instid1(VALU_DEP_2)
	v_dual_ashrrev_i32 v9, 31, v8 :: v_dual_cndmask_b32 v15, v11, v15, s6
	v_cndmask_b32_e64 v14, v10, v14, s6
	s_wait_loadcnt_dscnt 0x0
	ds_store_b128 v7, v[0:3] offset:6912
	flat_load_b128 v[0:3], v[14:15]
	s_wait_xcnt 0x0
	v_lshl_add_u64 v[14:15], v[8:9], 2, s[10:11]
	s_clause 0x1
	scratch_store_b32 off, v13, off
	scratch_store_b96 off, v[4:6], off offset:4
	v_add_nc_u32_e32 v8, s9, v8
	v_add_nc_u64_e32 v[14:15], v[14:15], v[12:13]
	s_delay_alu instid0(VALU_DEP_1) | instskip(NEXT) | instid1(VALU_DEP_2)
	v_dual_ashrrev_i32 v9, 31, v8 :: v_dual_cndmask_b32 v15, v11, v15, s7
	v_cndmask_b32_e64 v14, v10, v14, s7
	s_wait_loadcnt_dscnt 0x0
	ds_store_b128 v7, v[0:3] offset:9216
	flat_load_b128 v[0:3], v[14:15]
	s_wait_xcnt 0x0
	v_lshl_add_u64 v[14:15], v[8:9], 2, s[10:11]
	s_clause 0x1
	scratch_store_b32 off, v13, off
	scratch_store_b96 off, v[4:6], off offset:4
	v_add_nc_u32_e32 v8, s9, v8
	v_cmp_gt_i32_e64 s9, s20, v24
	v_add_nc_u64_e32 v[14:15], v[14:15], v[12:13]
	s_delay_alu instid0(VALU_DEP_1) | instskip(NEXT) | instid1(VALU_DEP_2)
	v_dual_ashrrev_i32 v9, 31, v8 :: v_dual_cndmask_b32 v15, v11, v15, s8
	v_cndmask_b32_e64 v14, v10, v14, s8
	s_delay_alu instid0(VALU_DEP_2) | instskip(SKIP_2) | instid1(VALU_DEP_2)
	v_lshl_add_u64 v[8:9], v[8:9], 2, s[10:11]
	s_cselect_b32 s11, -1, 0
	v_cmp_gt_i32_e64 s10, s20, v32
	v_add_nc_u64_e32 v[8:9], v[8:9], v[12:13]
	s_delay_alu instid0(VALU_DEP_1)
	v_dual_cndmask_b32 v9, v11, v9, s9 :: v_dual_cndmask_b32 v8, v10, v8, s9
	s_wait_loadcnt_dscnt 0x0
	ds_store_b128 v7, v[0:3] offset:11520
	flat_load_b128 v[0:3], v[14:15]
	s_clause 0x1
	scratch_store_b32 off, v13, off
	scratch_store_b96 off, v[4:6], off offset:4
	s_wait_xcnt 0x0
	v_dual_mov_b32 v4, v13 :: v_dual_mov_b32 v5, v13
	v_mov_b32_e32 v6, v13
	s_wait_loadcnt_dscnt 0x0
	ds_store_b128 v7, v[0:3] offset:13824
	flat_load_b128 v[0:3], v[8:9]
	s_wait_loadcnt_dscnt 0x0
	ds_store_b128 v7, v[0:3] offset:16128
	s_wait_storecnt_dscnt 0x0
	s_barrier_signal -1
	s_barrier_wait -1
	s_wait_xcnt 0x0
	ds_load_b128 v[8:11], v33
	ds_load_b128 v[14:17], v39 offset:20480
	ds_load_b128 v[26:29], v39 offset:20608
	;; [unrolled: 1-line block ×3, first 2 shown]
	v_mov_b32_e32 v0, v13
	ds_load_b128 v[46:49], v33 offset:9216
	ds_load_b128 v[50:53], v33 offset:13824
	v_dual_mov_b32 v1, v13 :: v_dual_mov_b32 v2, v13
	v_dual_mov_b32 v3, v13 :: v_dual_mov_b32 v7, v13
	s_wait_dscnt 0x4
	;;#ASMSTART
	v_dot2_f32_f16 v0, v8, v14, v0
	;;#ASMEND
	;;#ASMSTART
	v_dot2_f32_f16 v0, v9, v15, v0
	;;#ASMEND
	;;#ASMSTART
	v_dot2_f32_f16 v0, v10, v16, v0
	;;#ASMEND
	;;#ASMSTART
	v_dot2_f32_f16 v0, v11, v17, v0
	;;#ASMEND
	s_wait_dscnt 0x3
	;;#ASMSTART
	v_dot2_f32_f16 v1, v8, v26, v1
	;;#ASMEND
	;;#ASMSTART
	v_dot2_f32_f16 v1, v9, v27, v1
	;;#ASMEND
	;;#ASMSTART
	v_dot2_f32_f16 v1, v10, v28, v1
	;;#ASMEND
	;;#ASMSTART
	v_dot2_f32_f16 v1, v11, v29, v1
	;;#ASMEND
	;; [unrolled: 13-line block ×3, first 2 shown]
	;;#ASMSTART
	v_dot2_f32_f16 v3, v42, v26, v3
	;;#ASMEND
	;;#ASMSTART
	v_dot2_f32_f16 v3, v43, v27, v3
	;;#ASMEND
	;;#ASMSTART
	v_dot2_f32_f16 v3, v44, v28, v3
	;;#ASMEND
	;;#ASMSTART
	v_dot2_f32_f16 v3, v45, v29, v3
	;;#ASMEND
	s_wait_dscnt 0x1
	;;#ASMSTART
	v_dot2_f32_f16 v4, v46, v14, v4
	;;#ASMEND
	;;#ASMSTART
	v_dot2_f32_f16 v4, v47, v15, v4
	;;#ASMEND
	;; [unrolled: 3-line block ×8, first 2 shown]
	s_wait_dscnt 0x0
	;;#ASMSTART
	v_dot2_f32_f16 v6, v50, v14, v6
	;;#ASMEND
	;;#ASMSTART
	v_dot2_f32_f16 v6, v51, v15, v6
	;;#ASMEND
	;; [unrolled: 3-line block ×8, first 2 shown]
	ds_load_b128 v[8:11], v33 offset:16
	ds_load_b128 v[14:17], v39 offset:20496
	;; [unrolled: 1-line block ×6, first 2 shown]
	s_wait_dscnt 0x4
	;;#ASMSTART
	v_dot2_f32_f16 v0, v8, v14, v0
	;;#ASMEND
	;;#ASMSTART
	v_dot2_f32_f16 v0, v9, v15, v0
	;;#ASMEND
	;;#ASMSTART
	v_dot2_f32_f16 v0, v10, v16, v0
	;;#ASMEND
	;;#ASMSTART
	v_dot2_f32_f16 v0, v11, v17, v0
	;;#ASMEND
	s_wait_dscnt 0x3
	;;#ASMSTART
	v_dot2_f32_f16 v1, v8, v26, v1
	;;#ASMEND
	;;#ASMSTART
	v_dot2_f32_f16 v1, v9, v27, v1
	;;#ASMEND
	;;#ASMSTART
	v_dot2_f32_f16 v1, v10, v28, v1
	;;#ASMEND
	;;#ASMSTART
	v_dot2_f32_f16 v1, v11, v29, v1
	;;#ASMEND
	;; [unrolled: 13-line block ×3, first 2 shown]
	;;#ASMSTART
	v_dot2_f32_f16 v3, v42, v26, v3
	;;#ASMEND
	;;#ASMSTART
	v_dot2_f32_f16 v3, v43, v27, v3
	;;#ASMEND
	;; [unrolled: 3-line block ×4, first 2 shown]
	s_wait_dscnt 0x1
	;;#ASMSTART
	v_dot2_f32_f16 v4, v46, v14, v4
	;;#ASMEND
	;;#ASMSTART
	v_dot2_f32_f16 v4, v47, v15, v4
	;;#ASMEND
	;; [unrolled: 3-line block ×8, first 2 shown]
	s_wait_dscnt 0x0
	;;#ASMSTART
	v_dot2_f32_f16 v6, v50, v14, v6
	;;#ASMEND
	;;#ASMSTART
	v_dot2_f32_f16 v6, v51, v15, v6
	;;#ASMEND
	;;#ASMSTART
	v_dot2_f32_f16 v6, v52, v16, v6
	;;#ASMEND
	;;#ASMSTART
	v_dot2_f32_f16 v6, v53, v17, v6
	;;#ASMEND
	;;#ASMSTART
	v_dot2_f32_f16 v7, v50, v26, v7
	;;#ASMEND
	;;#ASMSTART
	v_dot2_f32_f16 v7, v51, v27, v7
	;;#ASMEND
	;;#ASMSTART
	v_dot2_f32_f16 v7, v52, v28, v7
	;;#ASMEND
	;;#ASMSTART
	v_dot2_f32_f16 v7, v53, v29, v7
	;;#ASMEND
	ds_load_b128 v[8:11], v33 offset:32
	ds_load_b128 v[14:17], v39 offset:20512
	;; [unrolled: 1-line block ×6, first 2 shown]
	s_wait_dscnt 0x4
	;;#ASMSTART
	v_dot2_f32_f16 v0, v8, v14, v0
	;;#ASMEND
	;;#ASMSTART
	v_dot2_f32_f16 v0, v9, v15, v0
	;;#ASMEND
	;;#ASMSTART
	v_dot2_f32_f16 v0, v10, v16, v0
	;;#ASMEND
	;;#ASMSTART
	v_dot2_f32_f16 v0, v11, v17, v0
	;;#ASMEND
	s_wait_dscnt 0x3
	;;#ASMSTART
	v_dot2_f32_f16 v1, v8, v26, v1
	;;#ASMEND
	;;#ASMSTART
	v_dot2_f32_f16 v1, v9, v27, v1
	;;#ASMEND
	;;#ASMSTART
	v_dot2_f32_f16 v1, v10, v28, v1
	;;#ASMEND
	;;#ASMSTART
	v_dot2_f32_f16 v1, v11, v29, v1
	;;#ASMEND
	;; [unrolled: 13-line block ×3, first 2 shown]
	;;#ASMSTART
	v_dot2_f32_f16 v3, v42, v26, v3
	;;#ASMEND
	;;#ASMSTART
	v_dot2_f32_f16 v3, v43, v27, v3
	;;#ASMEND
	;; [unrolled: 3-line block ×4, first 2 shown]
	s_wait_dscnt 0x1
	;;#ASMSTART
	v_dot2_f32_f16 v4, v46, v14, v4
	;;#ASMEND
	;;#ASMSTART
	v_dot2_f32_f16 v4, v47, v15, v4
	;;#ASMEND
	;; [unrolled: 3-line block ×8, first 2 shown]
	s_wait_dscnt 0x0
	;;#ASMSTART
	v_dot2_f32_f16 v6, v50, v14, v6
	;;#ASMEND
	;;#ASMSTART
	v_dot2_f32_f16 v6, v51, v15, v6
	;;#ASMEND
	;; [unrolled: 3-line block ×8, first 2 shown]
	ds_load_b128 v[8:11], v33 offset:48
	ds_load_b128 v[14:17], v39 offset:20528
	;; [unrolled: 1-line block ×6, first 2 shown]
	s_wait_dscnt 0x4
	;;#ASMSTART
	v_dot2_f32_f16 v0, v8, v14, v0
	;;#ASMEND
	;;#ASMSTART
	v_dot2_f32_f16 v0, v9, v15, v0
	;;#ASMEND
	;;#ASMSTART
	v_dot2_f32_f16 v0, v10, v16, v0
	;;#ASMEND
	;;#ASMSTART
	v_dot2_f32_f16 v0, v11, v17, v0
	;;#ASMEND
	s_wait_dscnt 0x3
	;;#ASMSTART
	v_dot2_f32_f16 v1, v8, v26, v1
	;;#ASMEND
	;;#ASMSTART
	v_dot2_f32_f16 v1, v9, v27, v1
	;;#ASMEND
	;;#ASMSTART
	v_dot2_f32_f16 v1, v10, v28, v1
	;;#ASMEND
	;;#ASMSTART
	v_dot2_f32_f16 v1, v11, v29, v1
	;;#ASMEND
	;; [unrolled: 13-line block ×3, first 2 shown]
	;;#ASMSTART
	v_dot2_f32_f16 v3, v42, v26, v3
	;;#ASMEND
	;;#ASMSTART
	v_dot2_f32_f16 v3, v43, v27, v3
	;;#ASMEND
	;; [unrolled: 3-line block ×4, first 2 shown]
	s_wait_dscnt 0x1
	;;#ASMSTART
	v_dot2_f32_f16 v4, v46, v14, v4
	;;#ASMEND
	;;#ASMSTART
	v_dot2_f32_f16 v4, v47, v15, v4
	;;#ASMEND
	;; [unrolled: 3-line block ×8, first 2 shown]
	s_wait_dscnt 0x0
	;;#ASMSTART
	v_dot2_f32_f16 v6, v50, v14, v6
	;;#ASMEND
	;;#ASMSTART
	v_dot2_f32_f16 v6, v51, v15, v6
	;;#ASMEND
	;; [unrolled: 3-line block ×8, first 2 shown]
	ds_load_b128 v[8:11], v33 offset:64
	ds_load_b128 v[14:17], v39 offset:20544
	;; [unrolled: 1-line block ×6, first 2 shown]
	s_wait_dscnt 0x4
	;;#ASMSTART
	v_dot2_f32_f16 v0, v8, v14, v0
	;;#ASMEND
	;;#ASMSTART
	v_dot2_f32_f16 v0, v9, v15, v0
	;;#ASMEND
	;;#ASMSTART
	v_dot2_f32_f16 v0, v10, v16, v0
	;;#ASMEND
	;;#ASMSTART
	v_dot2_f32_f16 v0, v11, v17, v0
	;;#ASMEND
	s_wait_dscnt 0x3
	;;#ASMSTART
	v_dot2_f32_f16 v1, v8, v26, v1
	;;#ASMEND
	;;#ASMSTART
	v_dot2_f32_f16 v1, v9, v27, v1
	;;#ASMEND
	;;#ASMSTART
	v_dot2_f32_f16 v1, v10, v28, v1
	;;#ASMEND
	;;#ASMSTART
	v_dot2_f32_f16 v1, v11, v29, v1
	;;#ASMEND
	s_wait_dscnt 0x2
	;;#ASMSTART
	v_dot2_f32_f16 v2, v42, v14, v2
	;;#ASMEND
	;;#ASMSTART
	v_dot2_f32_f16 v2, v43, v15, v2
	;;#ASMEND
	;;#ASMSTART
	v_dot2_f32_f16 v2, v44, v16, v2
	;;#ASMEND
	;;#ASMSTART
	v_dot2_f32_f16 v2, v45, v17, v2
	;;#ASMEND
	;;#ASMSTART
	v_dot2_f32_f16 v3, v42, v26, v3
	;;#ASMEND
	;;#ASMSTART
	v_dot2_f32_f16 v3, v43, v27, v3
	;;#ASMEND
	;; [unrolled: 3-line block ×4, first 2 shown]
	s_wait_dscnt 0x1
	;;#ASMSTART
	v_dot2_f32_f16 v4, v46, v14, v4
	;;#ASMEND
	;;#ASMSTART
	v_dot2_f32_f16 v4, v47, v15, v4
	;;#ASMEND
	;; [unrolled: 3-line block ×8, first 2 shown]
	s_wait_dscnt 0x0
	;;#ASMSTART
	v_dot2_f32_f16 v6, v50, v14, v6
	;;#ASMEND
	;;#ASMSTART
	v_dot2_f32_f16 v6, v51, v15, v6
	;;#ASMEND
	;; [unrolled: 3-line block ×8, first 2 shown]
	ds_load_b128 v[8:11], v33 offset:80
	ds_load_b128 v[14:17], v39 offset:20560
	;; [unrolled: 1-line block ×6, first 2 shown]
	s_wait_dscnt 0x4
	;;#ASMSTART
	v_dot2_f32_f16 v0, v8, v14, v0
	;;#ASMEND
	;;#ASMSTART
	v_dot2_f32_f16 v0, v9, v15, v0
	;;#ASMEND
	;;#ASMSTART
	v_dot2_f32_f16 v0, v10, v16, v0
	;;#ASMEND
	;;#ASMSTART
	v_dot2_f32_f16 v0, v11, v17, v0
	;;#ASMEND
	s_wait_dscnt 0x3
	;;#ASMSTART
	v_dot2_f32_f16 v1, v8, v26, v1
	;;#ASMEND
	;;#ASMSTART
	v_dot2_f32_f16 v1, v9, v27, v1
	;;#ASMEND
	;;#ASMSTART
	v_dot2_f32_f16 v1, v10, v28, v1
	;;#ASMEND
	;;#ASMSTART
	v_dot2_f32_f16 v1, v11, v29, v1
	;;#ASMEND
	;; [unrolled: 13-line block ×3, first 2 shown]
	;;#ASMSTART
	v_dot2_f32_f16 v3, v42, v26, v3
	;;#ASMEND
	;;#ASMSTART
	v_dot2_f32_f16 v3, v43, v27, v3
	;;#ASMEND
	;; [unrolled: 3-line block ×4, first 2 shown]
	s_wait_dscnt 0x1
	;;#ASMSTART
	v_dot2_f32_f16 v4, v46, v14, v4
	;;#ASMEND
	;;#ASMSTART
	v_dot2_f32_f16 v4, v47, v15, v4
	;;#ASMEND
	;; [unrolled: 3-line block ×8, first 2 shown]
	s_wait_dscnt 0x0
	;;#ASMSTART
	v_dot2_f32_f16 v6, v50, v14, v6
	;;#ASMEND
	;;#ASMSTART
	v_dot2_f32_f16 v6, v51, v15, v6
	;;#ASMEND
	;; [unrolled: 3-line block ×8, first 2 shown]
	ds_load_b128 v[8:11], v33 offset:96
	ds_load_b128 v[14:17], v39 offset:20576
	;; [unrolled: 1-line block ×6, first 2 shown]
	s_wait_dscnt 0x4
	;;#ASMSTART
	v_dot2_f32_f16 v0, v8, v14, v0
	;;#ASMEND
	;;#ASMSTART
	v_dot2_f32_f16 v0, v9, v15, v0
	;;#ASMEND
	;;#ASMSTART
	v_dot2_f32_f16 v0, v10, v16, v0
	;;#ASMEND
	;;#ASMSTART
	v_dot2_f32_f16 v0, v11, v17, v0
	;;#ASMEND
	s_wait_dscnt 0x3
	;;#ASMSTART
	v_dot2_f32_f16 v1, v8, v26, v1
	;;#ASMEND
	;;#ASMSTART
	v_dot2_f32_f16 v1, v9, v27, v1
	;;#ASMEND
	;;#ASMSTART
	v_dot2_f32_f16 v1, v10, v28, v1
	;;#ASMEND
	;;#ASMSTART
	v_dot2_f32_f16 v1, v11, v29, v1
	;;#ASMEND
	;; [unrolled: 13-line block ×3, first 2 shown]
	;;#ASMSTART
	v_dot2_f32_f16 v3, v42, v26, v3
	;;#ASMEND
	;;#ASMSTART
	v_dot2_f32_f16 v3, v43, v27, v3
	;;#ASMEND
	;; [unrolled: 3-line block ×4, first 2 shown]
	s_wait_dscnt 0x1
	;;#ASMSTART
	v_dot2_f32_f16 v4, v46, v14, v4
	;;#ASMEND
	;;#ASMSTART
	v_dot2_f32_f16 v4, v47, v15, v4
	;;#ASMEND
	;; [unrolled: 3-line block ×8, first 2 shown]
	s_wait_dscnt 0x0
	;;#ASMSTART
	v_dot2_f32_f16 v6, v50, v14, v6
	;;#ASMEND
	;;#ASMSTART
	v_dot2_f32_f16 v6, v51, v15, v6
	;;#ASMEND
	;; [unrolled: 3-line block ×8, first 2 shown]
	ds_load_b128 v[26:29], v33 offset:112
	ds_load_b128 v[42:45], v39 offset:20592
	;; [unrolled: 1-line block ×6, first 2 shown]
	s_wait_dscnt 0x4
	;;#ASMSTART
	v_dot2_f32_f16 v0, v26, v42, v0
	;;#ASMEND
	;;#ASMSTART
	v_dot2_f32_f16 v0, v27, v43, v0
	;;#ASMEND
	;;#ASMSTART
	v_dot2_f32_f16 v0, v28, v44, v0
	;;#ASMEND
	;;#ASMSTART
	v_dot2_f32_f16 v0, v29, v45, v0
	;;#ASMEND
	s_wait_dscnt 0x3
	;;#ASMSTART
	v_dot2_f32_f16 v1, v26, v46, v1
	;;#ASMEND
	;;#ASMSTART
	v_dot2_f32_f16 v1, v27, v47, v1
	;;#ASMEND
	;;#ASMSTART
	v_dot2_f32_f16 v1, v28, v48, v1
	;;#ASMEND
	;;#ASMSTART
	v_dot2_f32_f16 v1, v29, v49, v1
	;;#ASMEND
	;; [unrolled: 13-line block ×3, first 2 shown]
	;;#ASMSTART
	v_dot2_f32_f16 v3, v50, v46, v3
	;;#ASMEND
	;;#ASMSTART
	v_dot2_f32_f16 v3, v51, v47, v3
	;;#ASMEND
	;; [unrolled: 3-line block ×4, first 2 shown]
	s_wait_dscnt 0x1
	;;#ASMSTART
	v_dot2_f32_f16 v4, v54, v42, v4
	;;#ASMEND
	v_mad_u32 v10, v38, s36, s18
	;;#ASMSTART
	v_dot2_f32_f16 v4, v55, v43, v4
	;;#ASMEND
	;;#ASMSTART
	v_dot2_f32_f16 v4, v56, v44, v4
	;;#ASMEND
	;; [unrolled: 3-line block ×5, first 2 shown]
	v_mov_b64_e32 v[8:9], v[40:41]
	;;#ASMSTART
	v_dot2_f32_f16 v5, v56, v48, v5
	;;#ASMEND
	;;#ASMSTART
	v_dot2_f32_f16 v5, v57, v49, v5
	;;#ASMEND
	s_wait_dscnt 0x0
	;;#ASMSTART
	v_dot2_f32_f16 v6, v58, v42, v6
	;;#ASMEND
	v_cndmask_b32_e64 v14, 0, 1, s11
	;;#ASMSTART
	v_dot2_f32_f16 v6, v59, v43, v6
	;;#ASMEND
	;;#ASMSTART
	v_dot2_f32_f16 v6, v60, v44, v6
	;;#ASMEND
	;; [unrolled: 3-line block ×7, first 2 shown]
	s_and_saveexec_b32 s12, s10
	s_cbranch_execz .LBB62_36
; %bb.33:
	s_and_not1_b32 vcc_lo, exec_lo, s11
	s_cbranch_vccnz .LBB62_35
; %bb.34:
	v_add_nc_u32_e32 v8, v10, v32
	global_load_u16 v8, v8, s[14:15] scale_offset
	s_wait_loadcnt 0x0
	v_cvt_f32_f16_e32 v8, v8
	s_delay_alu instid0(VALU_DEP_1)
	v_mul_f32_e32 v13, v101, v8
.LBB62_35:
	s_delay_alu instid0(VALU_DEP_1) | instskip(SKIP_1) | instid1(VALU_DEP_2)
	v_add_f32_e32 v0, v0, v13
	v_max_num_f32_e32 v8, v40, v40
	v_add_f32_e32 v9, 0x40051340, v0
	s_delay_alu instid0(VALU_DEP_1)
	v_dual_max_num_f32 v8, v8, v9 :: v_dual_mov_b32 v9, v41
.LBB62_36:
	s_or_b32 exec_lo, exec_lo, s12
	v_add_nc_u32_e32 v15, 32, v32
	s_delay_alu instid0(VALU_DEP_1)
	v_cmp_gt_i32_e64 s11, s20, v15
	s_and_saveexec_b32 s12, s11
	s_cbranch_execz .LBB62_41
; %bb.37:
	v_cmp_ne_u32_e32 vcc_lo, 1, v14
	s_cbranch_vccnz .LBB62_39
; %bb.38:
	v_dual_ashrrev_i32 v11, 31, v10 :: v_dual_mov_b32 v33, 0
	s_delay_alu instid0(VALU_DEP_1) | instskip(NEXT) | instid1(VALU_DEP_1)
	v_add_nc_u64_e32 v[16:17], v[10:11], v[32:33]
	v_lshl_add_u64 v[16:17], v[16:17], 1, s[14:15]
	global_load_u16 v11, v[16:17], off offset:64
	s_wait_loadcnt 0x0
	v_cvt_f32_f16_e32 v11, v11
	s_delay_alu instid0(VALU_DEP_1)
	v_mul_f32_e32 v11, v101, v11
	s_branch .LBB62_40
.LBB62_39:
	v_mov_b32_e32 v11, 0
.LBB62_40:
	s_delay_alu instid0(VALU_DEP_1) | instskip(NEXT) | instid1(VALU_DEP_1)
	v_dual_add_f32 v2, v2, v11 :: v_dual_max_num_f32 v8, v8, v8
	v_add_f32_e32 v11, 0x40051340, v2
	s_delay_alu instid0(VALU_DEP_1)
	v_max_num_f32_e32 v8, v8, v11
.LBB62_41:
	s_or_b32 exec_lo, exec_lo, s12
	v_add_nc_u32_e32 v26, 64, v32
	s_delay_alu instid0(VALU_DEP_1)
	v_cmp_gt_i32_e64 s12, s20, v26
	s_and_saveexec_b32 s13, s12
	s_cbranch_execz .LBB62_46
; %bb.42:
	v_cmp_ne_u32_e32 vcc_lo, 1, v14
	s_cbranch_vccnz .LBB62_44
; %bb.43:
	v_dual_ashrrev_i32 v11, 31, v10 :: v_dual_mov_b32 v33, 0
	s_delay_alu instid0(VALU_DEP_1) | instskip(NEXT) | instid1(VALU_DEP_1)
	v_add_nc_u64_e32 v[16:17], v[10:11], v[32:33]
	v_lshl_add_u64 v[16:17], v[16:17], 1, s[14:15]
	global_load_u16 v11, v[16:17], off offset:128
	s_wait_loadcnt 0x0
	v_cvt_f32_f16_e32 v11, v11
	s_delay_alu instid0(VALU_DEP_1)
	v_mul_f32_e32 v11, v101, v11
	s_branch .LBB62_45
.LBB62_44:
	v_mov_b32_e32 v11, 0
.LBB62_45:
	s_delay_alu instid0(VALU_DEP_1) | instskip(SKIP_1) | instid1(VALU_DEP_2)
	v_add_f32_e32 v4, v4, v11
	v_max_num_f32_e32 v8, v8, v8
	v_add_f32_e32 v11, 0x40051340, v4
	s_delay_alu instid0(VALU_DEP_1)
	v_max_num_f32_e32 v8, v8, v11
.LBB62_46:
	s_or_b32 exec_lo, exec_lo, s13
	v_add_nc_u32_e32 v27, 0x60, v32
	s_delay_alu instid0(VALU_DEP_1)
	v_cmp_gt_i32_e64 s13, s20, v27
	s_and_saveexec_b32 s21, s13
	s_cbranch_execz .LBB62_51
; %bb.47:
	v_cmp_ne_u32_e32 vcc_lo, 1, v14
	s_cbranch_vccnz .LBB62_49
; %bb.48:
	v_dual_ashrrev_i32 v11, 31, v10 :: v_dual_mov_b32 v33, 0
	s_delay_alu instid0(VALU_DEP_1) | instskip(NEXT) | instid1(VALU_DEP_1)
	v_add_nc_u64_e32 v[10:11], v[10:11], v[32:33]
	v_lshl_add_u64 v[10:11], v[10:11], 1, s[14:15]
	global_load_u16 v10, v[10:11], off offset:192
	s_wait_loadcnt 0x0
	v_cvt_f32_f16_e32 v10, v10
	s_delay_alu instid0(VALU_DEP_1)
	v_mul_f32_e32 v10, v101, v10
	s_branch .LBB62_50
.LBB62_49:
	v_mov_b32_e32 v10, 0
.LBB62_50:
	s_delay_alu instid0(VALU_DEP_1) | instskip(NEXT) | instid1(VALU_DEP_1)
	v_dual_add_f32 v6, v6, v10 :: v_dual_max_num_f32 v8, v8, v8
	v_add_f32_e32 v10, 0x40051340, v6
	s_delay_alu instid0(VALU_DEP_1)
	v_max_num_f32_e32 v8, v8, v10
.LBB62_51:
	s_or_b32 exec_lo, exec_lo, s21
	v_xor_b32_e32 v103, 8, v98
	v_xor_b32_e32 v93, 16, v98
	;; [unrolled: 1-line block ×3, first 2 shown]
	v_dual_mov_b32 v37, 0 :: v_dual_bitop2_b32 v105, 2, v98 bitop3:0x14
	v_xor_b32_e32 v106, 1, v98
	s_delay_alu instid0(VALU_DEP_4) | instskip(SKIP_2) | instid1(VALU_DEP_2)
	v_cmp_gt_i32_e32 vcc_lo, 32, v93
	v_dual_mov_b32 v107, 32 :: v_dual_cndmask_b32 v10, v98, v93
	v_cmp_gt_i32_e32 vcc_lo, 32, v103
	v_dual_lshlrev_b32 v13, 2, v10 :: v_dual_cndmask_b32 v11, v98, v103, vcc_lo
	v_cmp_gt_i32_e32 vcc_lo, 32, v104
	ds_bpermute_b32 v10, v13, v8
	v_dual_max_num_f32 v8, v8, v8 :: v_dual_lshlrev_b32 v16, 2, v11
	v_cndmask_b32_e32 v11, v98, v104, vcc_lo
	v_cmp_gt_i32_e32 vcc_lo, 32, v105
	v_cndmask_b32_e32 v28, v98, v105, vcc_lo
	v_cmp_gt_i32_e32 vcc_lo, 32, v106
	s_delay_alu instid0(VALU_DEP_2) | instskip(SKIP_2) | instid1(VALU_DEP_1)
	v_dual_lshlrev_b32 v30, 2, v28 :: v_dual_cndmask_b32 v28, v98, v106, vcc_lo
	s_wait_dscnt 0x0
	v_max_num_f32_e32 v10, v10, v10
	v_max_num_f32_e32 v10, v8, v10
	ds_bpermute_b32 v8, v16, v10
	s_wait_dscnt 0x0
	v_dual_max_num_f32 v17, v8, v8 :: v_dual_lshlrev_b32 v8, 2, v11
	s_delay_alu instid0(VALU_DEP_1) | instskip(SKIP_4) | instid1(VALU_DEP_2)
	v_max_num_f32_e32 v17, v10, v17
	ds_bpermute_b32 v10, v8, v17
	s_wait_dscnt 0x0
	v_max_num_f32_e32 v29, v10, v10
	v_mul_u64_e32 v[10:11], s[16:17], v[36:37]
	v_max_num_f32_e32 v10, v17, v29
	ds_bpermute_b32 v17, v30, v10
	s_wait_dscnt 0x0
	v_dual_max_num_f32 v17, v17, v17 :: v_dual_add_nc_u32 v11, v36, v11
	s_delay_alu instid0(VALU_DEP_1) | instskip(NEXT) | instid1(VALU_DEP_2)
	v_dual_lshlrev_b32 v29, 2, v28 :: v_dual_max_num_f32 v17, v10, v17
	v_lshrrev_b32_e32 v10, s37, v11
	ds_bpermute_b32 v11, v29, v17
	s_wait_dscnt 0x0
	v_max_num_f32_e32 v11, v11, v11
	v_mul_lo_u32 v10, v10, s38
	s_delay_alu instid0(VALU_DEP_1) | instskip(NEXT) | instid1(VALU_DEP_1)
	v_dual_max_num_f32 v28, v17, v11 :: v_dual_sub_nc_u32 v10, v36, v10
	v_mad_u32 v10, v10, s36, s18
	s_and_saveexec_b32 s16, s10
	s_cbranch_execnz .LBB62_55
; %bb.52:
	s_or_b32 exec_lo, exec_lo, s16
	s_and_saveexec_b32 s10, s11
	s_cbranch_execnz .LBB62_58
.LBB62_53:
	s_or_b32 exec_lo, exec_lo, s10
	s_and_saveexec_b32 s10, s12
	s_cbranch_execnz .LBB62_62
.LBB62_54:
	s_or_b32 exec_lo, exec_lo, s10
	s_and_saveexec_b32 s10, s13
	s_cbranch_execnz .LBB62_66
	s_branch .LBB62_70
.LBB62_55:
	v_cmp_ne_u32_e32 vcc_lo, 1, v14
	s_cbranch_vccnz .LBB62_57
; %bb.56:
	s_delay_alu instid0(VALU_DEP_2) | instskip(SKIP_3) | instid1(VALU_DEP_1)
	v_add_nc_u32_e32 v11, v10, v32
	global_load_u16 v11, v11, s[14:15] scale_offset
	s_wait_loadcnt 0x0
	v_cvt_f32_f16_e32 v11, v11
	v_mul_f32_e32 v37, v101, v11
.LBB62_57:
	s_delay_alu instid0(VALU_DEP_1) | instskip(SKIP_1) | instid1(VALU_DEP_2)
	v_add_f32_e32 v1, v1, v37
	v_max_num_f32_e32 v9, v9, v9
	v_add_f32_e32 v11, 0x40051340, v1
	s_delay_alu instid0(VALU_DEP_1)
	v_max_num_f32_e32 v9, v9, v11
	s_or_b32 exec_lo, exec_lo, s16
	s_and_saveexec_b32 s10, s11
	s_cbranch_execz .LBB62_53
.LBB62_58:
	v_cmp_ne_u32_e32 vcc_lo, 1, v14
	s_cbranch_vccnz .LBB62_60
; %bb.59:
	s_delay_alu instid0(VALU_DEP_2) | instskip(NEXT) | instid1(VALU_DEP_1)
	v_dual_ashrrev_i32 v11, 31, v10 :: v_dual_mov_b32 v33, 0
	v_add_nc_u64_e32 v[36:37], v[10:11], v[32:33]
	s_delay_alu instid0(VALU_DEP_1) | instskip(SKIP_3) | instid1(VALU_DEP_1)
	v_lshl_add_u64 v[36:37], v[36:37], 1, s[14:15]
	global_load_u16 v11, v[36:37], off offset:64
	s_wait_loadcnt 0x0
	v_cvt_f32_f16_e32 v11, v11
	v_mul_f32_e32 v11, v101, v11
	s_branch .LBB62_61
.LBB62_60:
	v_mov_b32_e32 v11, 0
.LBB62_61:
	s_delay_alu instid0(VALU_DEP_1) | instskip(NEXT) | instid1(VALU_DEP_1)
	v_dual_add_f32 v3, v3, v11 :: v_dual_max_num_f32 v9, v9, v9
	v_add_f32_e32 v11, 0x40051340, v3
	s_delay_alu instid0(VALU_DEP_1)
	v_max_num_f32_e32 v9, v9, v11
	s_or_b32 exec_lo, exec_lo, s10
	s_and_saveexec_b32 s10, s12
	s_cbranch_execz .LBB62_54
.LBB62_62:
	v_cmp_ne_u32_e32 vcc_lo, 1, v14
	s_cbranch_vccnz .LBB62_64
; %bb.63:
	v_dual_ashrrev_i32 v11, 31, v10 :: v_dual_mov_b32 v33, 0
	s_delay_alu instid0(VALU_DEP_1) | instskip(NEXT) | instid1(VALU_DEP_1)
	v_add_nc_u64_e32 v[36:37], v[10:11], v[32:33]
	v_lshl_add_u64 v[36:37], v[36:37], 1, s[14:15]
	global_load_u16 v11, v[36:37], off offset:128
	s_wait_loadcnt 0x0
	v_cvt_f32_f16_e32 v11, v11
	s_delay_alu instid0(VALU_DEP_1)
	v_mul_f32_e32 v11, v101, v11
	s_branch .LBB62_65
.LBB62_64:
	v_mov_b32_e32 v11, 0
.LBB62_65:
	s_delay_alu instid0(VALU_DEP_1) | instskip(SKIP_1) | instid1(VALU_DEP_2)
	v_add_f32_e32 v5, v5, v11
	v_max_num_f32_e32 v9, v9, v9
	v_add_f32_e32 v11, 0x40051340, v5
	s_delay_alu instid0(VALU_DEP_1)
	v_max_num_f32_e32 v9, v9, v11
	s_or_b32 exec_lo, exec_lo, s10
	s_and_saveexec_b32 s10, s13
	s_cbranch_execz .LBB62_70
.LBB62_66:
	v_cmp_ne_u32_e32 vcc_lo, 1, v14
	s_cbranch_vccnz .LBB62_68
; %bb.67:
	v_dual_ashrrev_i32 v11, 31, v10 :: v_dual_mov_b32 v33, 0
	s_delay_alu instid0(VALU_DEP_1) | instskip(NEXT) | instid1(VALU_DEP_1)
	v_add_nc_u64_e32 v[10:11], v[10:11], v[32:33]
	v_lshl_add_u64 v[10:11], v[10:11], 1, s[14:15]
	global_load_u16 v10, v[10:11], off offset:192
	s_wait_loadcnt 0x0
	v_cvt_f32_f16_e32 v10, v10
	s_delay_alu instid0(VALU_DEP_1)
	v_mul_f32_e32 v10, v101, v10
	s_branch .LBB62_69
.LBB62_68:
	v_mov_b32_e32 v10, 0
.LBB62_69:
	s_delay_alu instid0(VALU_DEP_1) | instskip(NEXT) | instid1(VALU_DEP_1)
	v_dual_add_f32 v7, v7, v10 :: v_dual_max_num_f32 v9, v9, v9
	v_add_f32_e32 v10, 0x40051340, v7
	s_delay_alu instid0(VALU_DEP_1)
	v_max_num_f32_e32 v9, v9, v10
.LBB62_70:
	s_or_b32 exec_lo, exec_lo, s10
	ds_bpermute_b32 v10, v13, v9
	v_dual_max_num_f32 v9, v9, v9 :: v_dual_sub_f32 v11, v0, v28
	v_dual_sub_f32 v2, v2, v28 :: v_dual_sub_f32 v0, v4, v28
	v_sub_f32_e32 v4, v6, v28
	v_mbcnt_lo_u32_b32 v6, -1, 0
	s_mov_b32 s16, 0
	s_ashr_i32 s23, s22, 31
	v_mul_f32_e32 v38, 0x3fb8aa3b, v0
	s_mul_u64 s[14:15], s[18:19], s[22:23]
	s_mov_b32 s18, s16
	s_mov_b32 s17, s16
	v_dual_mul_f32 v36, 0x3fb8aa3b, v11 :: v_dual_mul_f32 v39, 0x3fb8aa3b, v4
	v_cmp_gt_u32_e64 s11, s20, v26
	s_lshl_b64 s[36:37], s[14:15], 2
	v_cmp_ngt_f32_e64 s13, 0xc2ce8ed0, v11
	v_cmp_ngt_f32_e64 s14, 0xc2ce8ed0, v2
	v_fma_f32 v48, 0x3fb8aa3b, v4, -v39
	s_wait_dscnt 0x0
	v_max_num_f32_e32 v10, v10, v10
	v_rndne_f32_e32 v49, v39
	v_cmp_gt_u32_e32 vcc_lo, s20, v32
	v_cmp_gt_u32_e64 s10, s20, v15
	v_cmp_gt_u32_e64 s12, s20, v27
	v_max_num_f32_e32 v9, v9, v10
	v_cmp_nlt_f32_e64 s20, 0x42b17218, v4
	v_mul_lo_u32 v14, s22, v18
	v_cmp_ngt_f32_e64 s15, 0xc2ce8ed0, v0
	v_cmp_nlt_f32_e64 s19, 0x42b17218, v0
	ds_bpermute_b32 v10, v16, v9
	s_add_nc_u64 s[26:27], s[26:27], s[36:37]
	v_dual_mov_b32 v16, 0 :: v_dual_mov_b32 v13, 0
	s_wait_dscnt 0x0
	s_barrier_signal -1
	s_barrier_wait -1
	v_add_nc_u32_e32 v76, 0x2800, v99
	v_add_nc_u32_e32 v84, 0x2c00, v99
	;; [unrolled: 1-line block ×6, first 2 shown]
	v_mul_f32_e32 v37, 0x3fb8aa3b, v2
	s_delay_alu instid0(VALU_DEP_1) | instskip(SKIP_2) | instid1(VALU_DEP_2)
	v_fma_f32 v44, 0x3fb8aa3b, v2, -v37
	v_dual_max_num_f32 v10, v10, v10 :: v_dual_lshlrev_b32 v31, 9, v100
	v_rndne_f32_e32 v45, v37
	v_max_num_f32_e32 v33, v9, v10
	s_delay_alu instid0(VALU_DEP_3)
	v_add_nc_u32_e32 v43, 0x4800, v31
	ds_bpermute_b32 v17, v8, v33
	v_dual_mov_b32 v8, s16 :: v_dual_mov_b32 v9, s17
	v_mov_b32_e32 v10, s18
	v_cmp_nlt_f32_e64 s17, 0x42b17218, v11
	v_cmp_nlt_f32_e64 s18, 0x42b17218, v2
	v_cmp_ngt_f32_e64 s16, 0xc2ce8ed0, v4
	s_clause 0x1
	scratch_store_b32 off, v13, off
	scratch_store_b96 off, v[8:10], off offset:4
	v_add_nc_u32_e32 v50, v43, v99
	v_lshl_add_u32 v52, v26, 2, v43
	v_lshl_add_u32 v51, v15, 2, v43
	v_ashrrev_i32_e32 v15, 31, v14
	v_lshl_add_u32 v43, v27, 2, v43
	s_wait_dscnt 0x0
	v_dual_max_num_f32 v42, v17, v17 :: v_dual_lshlrev_b32 v17, 20, v6
	v_fma_f32 v46, 0x3fb8aa3b, v0, -v38
	v_rndne_f32_e32 v47, v38
	s_delay_alu instid0(VALU_DEP_3)
	v_max_num_f32_e32 v6, v33, v42
	v_fma_f32 v33, 0x3fb8aa3b, v11, -v36
	v_rndne_f32_e32 v42, v36
	v_add_nc_u64_e32 v[16:17], src_flat_scratch_base_lo, v[16:17]
	v_fmac_f32_e32 v46, 0x32a5705f, v0
	ds_bpermute_b32 v30, v30, v6
	v_fmac_f32_e32 v33, 0x32a5705f, v11
	v_sub_f32_e32 v11, v36, v42
	s_delay_alu instid0(VALU_DEP_1) | instskip(NEXT) | instid1(VALU_DEP_1)
	v_dual_fmac_f32 v44, 0x32a5705f, v2 :: v_dual_add_f32 v11, v11, v33
	v_exp_f32_e32 v11, v11
	s_wait_dscnt 0x0
	v_max_num_f32_e32 v26, v30, v30
	v_cvt_i32_f32_e32 v30, v42
	s_delay_alu instid0(VALU_DEP_2) | instskip(SKIP_2) | instid1(VALU_DEP_4)
	v_dual_max_num_f32 v2, v6, v26 :: v_dual_sub_f32 v26, v39, v49
	v_fmac_f32_e32 v48, 0x32a5705f, v4
	v_sub_f32_e32 v6, v37, v45
	v_ldexp_f32 v11, v11, v30
	ds_bpermute_b32 v4, v29, v2
	v_sub_f32_e32 v0, v38, v47
	v_cvt_i32_f32_e32 v29, v45
	v_cvt_i32_f32_e32 v38, v49
	v_cndmask_b32_e64 v11, 0, v11, s13
	s_delay_alu instid0(VALU_DEP_1) | instskip(SKIP_3) | instid1(VALU_DEP_1)
	v_cndmask_b32_e64 v11, 0x7f800000, v11, s17
	s_wait_dscnt 0x0
	v_max_num_f32_e32 v4, v4, v4
	v_dual_add_f32 v6, v6, v44 :: v_dual_add_f32 v0, v0, v46
	v_exp_f32_e32 v6, v6
	s_delay_alu instid0(VALU_DEP_1) | instskip(NEXT) | instid1(TRANS32_DEP_2)
	v_exp_f32_e32 v0, v0
	v_ldexp_f32 v6, v6, v29
	v_max_num_f32_e32 v29, v2, v4
	v_add_f32_e32 v33, v26, v48
	v_lshl_add_u64 v[26:27], v[14:15], 2, s[26:27]
	s_delay_alu instid0(VALU_DEP_3) | instskip(NEXT) | instid1(VALU_DEP_3)
	v_dual_cndmask_b32 v11, 0, v11, vcc_lo :: v_dual_sub_f32 v3, v3, v29
	v_exp_f32_e32 v15, v33
	v_nop
	v_cvt_i32_f32_e32 v33, v47
	v_sub_f32_e32 v5, v5, v29
	v_add_nc_u64_e32 v[36:37], v[26:27], v[12:13]
	v_sub_f32_e32 v1, v1, v29
	s_delay_alu instid0(VALU_DEP_4) | instskip(SKIP_4) | instid1(VALU_DEP_4)
	v_ldexp_f32 v0, v0, v33
	v_ldexp_f32 v15, v15, v38
	v_cndmask_b32_e64 v6, 0, v6, s14
	v_cmp_ngt_f32_e64 s14, 0xc2ce8ed0, v3
	v_cmp_ngt_f32_e64 s13, 0xc2ce8ed0, v1
	v_dual_cndmask_b32 v0, 0, v0, s15 :: v_dual_cndmask_b32 v15, 0, v15, s16
	s_delay_alu instid0(VALU_DEP_4) | instskip(SKIP_2) | instid1(VALU_DEP_4)
	v_cndmask_b32_e64 v2, 0x7f800000, v6, s18
	v_dual_sub_f32 v6, v7, v29 :: v_dual_mul_f32 v7, 0x3fb8aa3b, v3
	v_mul_f32_e32 v26, 0x3fb8aa3b, v5
	v_cndmask_b32_e64 v4, 0x7f800000, v15, s20
	s_delay_alu instid0(VALU_DEP_4) | instskip(NEXT) | instid1(VALU_DEP_4)
	v_cndmask_b32_e64 v15, 0, v2, s10
	v_dual_mul_f32 v2, 0x3fb8aa3b, v1 :: v_dual_mul_f32 v27, 0x3fb8aa3b, v6
	v_cmp_nlt_f32_e64 s17, 0x42b17218, v1
	v_fma_f32 v38, 0x3fb8aa3b, v3, -v7
	v_rndne_f32_e32 v39, v7
	s_delay_alu instid0(VALU_DEP_4)
	v_fma_f32 v30, 0x3fb8aa3b, v1, -v2
	v_rndne_f32_e32 v33, v2
	v_rndne_f32_e32 v44, v26
	v_cmp_nlt_f32_e64 s18, 0x42b17218, v3
	v_fma_f32 v45, 0x3fb8aa3b, v6, -v27
	v_fmac_f32_e32 v30, 0x32a5705f, v1
	v_dual_sub_f32 v1, v2, v33 :: v_dual_fmac_f32 v38, 0x32a5705f, v3
	v_dual_sub_f32 v3, v26, v44 :: v_dual_sub_f32 v2, v7, v39
	v_fma_f32 v42, 0x3fb8aa3b, v5, -v26
	s_delay_alu instid0(VALU_DEP_3) | instskip(SKIP_2) | instid1(VALU_DEP_4)
	v_add_f32_e32 v1, v1, v30
	v_rndne_f32_e32 v46, v27
	v_cvt_i32_f32_e32 v26, v33
	v_dual_fmac_f32 v45, 0x32a5705f, v6 :: v_dual_fmac_f32 v42, 0x32a5705f, v5
	s_delay_alu instid0(VALU_DEP_4) | instskip(NEXT) | instid1(VALU_DEP_3)
	v_exp_f32_e32 v1, v1
	v_sub_f32_e32 v7, v27, v46
	v_add_f32_e32 v2, v2, v38
	v_cvt_i32_f32_e32 v27, v39
	v_cvt_i32_f32_e32 v30, v44
	;; [unrolled: 1-line block ×3, first 2 shown]
	v_add_f32_e32 v7, v7, v45
	v_ldexp_f32 v1, v1, v26
	v_add_f32_e32 v3, v3, v42
	v_exp_f32_e32 v2, v2
	v_cmp_ngt_f32_e64 s15, 0xc2ce8ed0, v5
	v_exp_f32_e32 v7, v7
	v_cndmask_b32_e64 v1, 0, v1, s13
	v_exp_f32_e32 v3, v3
	v_cndmask_b32_e64 v0, 0x7f800000, v0, s19
	v_cmp_ngt_f32_e64 s16, 0xc2ce8ed0, v6
	v_ldexp_f32 v2, v2, v27
	v_cmp_nlt_f32_e64 s19, 0x42b17218, v5
	v_ldexp_f32 v5, v7, v33
	v_cmp_nlt_f32_e64 s20, 0x42b17218, v6
	v_ldexp_f32 v3, v3, v30
	v_dual_cndmask_b32 v2, 0, v2, s14 :: v_dual_cndmask_b32 v26, 0, v0, s11
	s_delay_alu instid0(VALU_DEP_4) | instskip(SKIP_1) | instid1(VALU_DEP_4)
	v_cndmask_b32_e64 v5, 0, v5, s16
	v_cndmask_b32_e64 v0, 0x7f800000, v1, s17
	;; [unrolled: 1-line block ×3, first 2 shown]
	s_delay_alu instid0(VALU_DEP_4) | instskip(SKIP_1) | instid1(VALU_DEP_3)
	v_cndmask_b32_e64 v1, 0x7f800000, v2, s18
	v_add_nc_u32_e32 v46, 0x2400, v99
	v_cndmask_b32_e64 v2, 0x7f800000, v3, s19
	v_cndmask_b32_e64 v3, 0x7f800000, v5, s20
	v_cndmask_b32_e32 v6, 0, v0, vcc_lo
	v_dual_cndmask_b32 v5, 0, v4, s12 :: v_dual_cndmask_b32 v7, 0, v1, s10
	s_delay_alu instid0(VALU_DEP_3) | instskip(SKIP_1) | instid1(VALU_DEP_4)
	v_dual_cndmask_b32 v4, 0, v2, s11 :: v_dual_cndmask_b32 v33, 0, v3, s12
	v_cndmask_b32_e64 v1, v17, v37, s2
	v_cvt_pk_f16_f32 v2, v11, v6
	s_delay_alu instid0(VALU_DEP_4)
	v_cvt_pk_f16_f32 v3, v15, v7
	v_cndmask_b32_e64 v0, v16, v36, s2
	v_cvt_pk_f16_f32 v27, v26, v4
	v_cvt_pk_f16_f32 v30, v5, v33
	s_lshl_b32 s2, s22, 4
	ds_store_b32 v50, v2
	ds_store_b32 v51, v3
	ds_store_b32 v52, v27
	ds_store_b32 v43, v30
	v_add_nc_u32_e32 v36, s2, v14
	flat_load_b128 v[0:3], v[0:1]
	v_lshl_or_b32 v14, v18, 7, v12
	s_clause 0x1
	scratch_store_b32 off, v13, off
	scratch_store_b96 off, v[8:10], off offset:4
	v_ashrrev_i32_e32 v37, 31, v36
	s_delay_alu instid0(VALU_DEP_1) | instskip(SKIP_1) | instid1(VALU_DEP_2)
	v_lshl_add_u64 v[38:39], v[36:37], 2, s[26:27]
	v_add_nc_u32_e32 v36, s2, v36
	v_add_nc_u64_e32 v[38:39], v[38:39], v[12:13]
	s_delay_alu instid0(VALU_DEP_1) | instskip(NEXT) | instid1(VALU_DEP_2)
	v_dual_ashrrev_i32 v37, 31, v36 :: v_dual_cndmask_b32 v39, v17, v39, s3
	v_cndmask_b32_e64 v38, v16, v38, s3
	s_wait_loadcnt_dscnt 0x0
	ds_store_b128 v14, v[0:3]
	flat_load_b128 v[0:3], v[38:39]
	s_wait_xcnt 0x0
	v_lshl_add_u64 v[38:39], v[36:37], 2, s[26:27]
	v_lshl_or_b32 v14, v19, 7, v12
	s_clause 0x1
	scratch_store_b32 off, v13, off
	scratch_store_b96 off, v[8:10], off offset:4
	v_add_nc_u64_e32 v[38:39], v[38:39], v[12:13]
	s_delay_alu instid0(VALU_DEP_1)
	v_dual_cndmask_b32 v19, v17, v39, s4 :: v_dual_cndmask_b32 v18, v16, v38, s4
	s_wait_loadcnt_dscnt 0x0
	ds_store_b128 v14, v[0:3]
	flat_load_b128 v[0:3], v[18:19]
	s_wait_xcnt 0x0
	v_add_nc_u32_e32 v18, s2, v36
	v_lshl_or_b32 v14, v20, 7, v12
	s_clause 0x1
	scratch_store_b32 off, v13, off
	scratch_store_b96 off, v[8:10], off offset:4
	v_ashrrev_i32_e32 v19, 31, v18
	s_delay_alu instid0(VALU_DEP_1) | instskip(NEXT) | instid1(VALU_DEP_1)
	v_lshl_add_u64 v[36:37], v[18:19], 2, s[26:27]
	v_add_nc_u64_e32 v[36:37], v[36:37], v[12:13]
	s_delay_alu instid0(VALU_DEP_1) | instskip(SKIP_1) | instid1(VALU_DEP_1)
	v_dual_cndmask_b32 v37, v17, v37, s5 :: v_dual_cndmask_b32 v36, v16, v36, s5
	v_add_nc_u32_e32 v18, s2, v18
	v_ashrrev_i32_e32 v19, 31, v18
	s_wait_loadcnt_dscnt 0x0
	ds_store_b128 v14, v[0:3]
	flat_load_b128 v[0:3], v[36:37]
	s_wait_xcnt 0x0
	v_lshl_add_u64 v[36:37], v[18:19], 2, s[26:27]
	v_lshl_or_b32 v14, v21, 7, v12
	s_clause 0x1
	scratch_store_b32 off, v13, off
	scratch_store_b96 off, v[8:10], off offset:4
	v_add_nc_u32_e32 v18, s2, v18
	v_add_nc_u64_e32 v[36:37], v[36:37], v[12:13]
	s_delay_alu instid0(VALU_DEP_1) | instskip(NEXT) | instid1(VALU_DEP_2)
	v_dual_ashrrev_i32 v19, 31, v18 :: v_dual_cndmask_b32 v21, v17, v37, s6
	v_cndmask_b32_e64 v20, v16, v36, s6
	s_wait_loadcnt_dscnt 0x0
	ds_store_b128 v14, v[0:3]
	flat_load_b128 v[0:3], v[20:21]
	s_wait_xcnt 0x0
	v_lshl_add_u64 v[20:21], v[18:19], 2, s[26:27]
	v_lshl_or_b32 v14, v22, 7, v12
	s_clause 0x1
	scratch_store_b32 off, v13, off
	scratch_store_b96 off, v[8:10], off offset:4
	v_add_nc_u32_e32 v18, s2, v18
	v_add_nc_u64_e32 v[20:21], v[20:21], v[12:13]
	s_delay_alu instid0(VALU_DEP_1) | instskip(NEXT) | instid1(VALU_DEP_2)
	v_dual_ashrrev_i32 v19, 31, v18 :: v_dual_cndmask_b32 v21, v17, v21, s7
	v_cndmask_b32_e64 v20, v16, v20, s7
	;; [unrolled: 14-line block ×3, first 2 shown]
	s_delay_alu instid0(VALU_DEP_2) | instskip(NEXT) | instid1(VALU_DEP_1)
	v_lshl_add_u64 v[18:19], v[18:19], 2, s[26:27]
	v_add_nc_u64_e32 v[18:19], v[18:19], v[12:13]
	s_delay_alu instid0(VALU_DEP_1)
	v_dual_cndmask_b32 v17, v17, v19, s9 :: v_dual_cndmask_b32 v16, v16, v18, s9
	s_wait_loadcnt_dscnt 0x0
	ds_store_b128 v14, v[0:3]
	flat_load_b128 v[0:3], v[20:21]
	v_lshl_or_b32 v14, v25, 7, v12
	s_clause 0x1
	scratch_store_b32 off, v13, off
	scratch_store_b96 off, v[8:10], off offset:4
	s_wait_xcnt 0x0
	v_dual_sub_f32 v13, v40, v28 :: v_dual_sub_f32 v10, v41, v29
	v_lshl_or_b32 v8, v24, 7, v12
	v_add_nc_u32_e32 v25, 0x1000, v99
	s_delay_alu instid0(VALU_DEP_3) | instskip(SKIP_2) | instid1(VALU_DEP_3)
	v_mul_f32_e32 v9, 0x3fb8aa3b, v13
	v_cmp_ngt_f32_e32 vcc_lo, 0xc2ce8ed0, v13
	v_cmp_nlt_f32_e64 s3, 0x42b17218, v13
	v_rndne_f32_e32 v18, v9
	s_delay_alu instid0(VALU_DEP_1)
	v_sub_f32_e32 v20, v9, v18
	v_cvt_i32_f32_e32 v18, v18
	s_wait_loadcnt_dscnt 0x0
	ds_store_b128 v14, v[0:3]
	flat_load_b128 v[0:3], v[16:17]
	s_wait_xcnt 0x0
	v_fma_f32 v17, 0x3fb8aa3b, v13, -v9
	v_add_nc_u32_e32 v9, 0x400, v99
	v_mul_f32_e32 v16, 0x3fb8aa3b, v10
	v_cmp_ngt_f32_e64 s2, 0xc2ce8ed0, v10
	s_delay_alu instid0(VALU_DEP_4) | instskip(SKIP_1) | instid1(VALU_DEP_4)
	v_fmac_f32_e32 v17, 0x32a5705f, v13
	v_add_nc_u32_e32 v12, 0x800, v99
	v_fma_f32 v19, 0x3fb8aa3b, v10, -v16
	v_rndne_f32_e32 v14, v16
	s_delay_alu instid0(VALU_DEP_4) | instskip(NEXT) | instid1(VALU_DEP_2)
	v_add_f32_e32 v17, v20, v17
	v_sub_f32_e32 v16, v16, v14
	v_cvt_i32_f32_e32 v14, v14
	s_delay_alu instid0(VALU_DEP_3) | instskip(SKIP_1) | instid1(TRANS32_DEP_1)
	v_exp_f32_e32 v17, v17
	v_nop
	v_ldexp_f32 v17, v17, v18
	s_delay_alu instid0(VALU_DEP_1) | instskip(SKIP_2) | instid1(VALU_DEP_3)
	v_dual_cndmask_b32 v13, 0, v17 :: v_dual_add_nc_u32 v24, 0xc00, v99
	v_cmp_nlt_f32_e32 vcc_lo, 0x42b17218, v10
	v_add_f32_e32 v11, v11, v15
	v_cndmask_b32_e64 v13, 0x7f800000, v13, s3
	s_delay_alu instid0(VALU_DEP_2) | instskip(NEXT) | instid1(VALU_DEP_1)
	v_add_f32_e32 v11, v26, v11
	v_dual_fmac_f32 v19, 0x32a5705f, v10 :: v_dual_add_f32 v30, v5, v11
	s_delay_alu instid0(VALU_DEP_1) | instskip(SKIP_2) | instid1(VALU_DEP_4)
	v_add_f32_e32 v16, v16, v19
	v_add_f32_e32 v5, v6, v7
	v_add_nc_u32_e32 v49, 0x1800, v99
	v_dual_fmac_f32 v30, v34, v13 :: v_dual_add_nc_u32 v47, 0x1c00, v99
	s_delay_alu instid0(VALU_DEP_4) | instskip(NEXT) | instid1(VALU_DEP_3)
	v_exp_f32_e32 v16, v16
	v_add_f32_e32 v34, v4, v5
	v_add_nc_u32_e32 v50, 0x1400, v99
	s_delay_alu instid0(TRANS32_DEP_1) | instskip(NEXT) | instid1(VALU_DEP_1)
	v_ldexp_f32 v14, v16, v14
	v_cndmask_b32_e64 v10, 0, v14, s2
	s_delay_alu instid0(VALU_DEP_1) | instskip(SKIP_2) | instid1(VALU_DEP_3)
	v_cndmask_b32_e32 v100, 0x7f800000, v10, vcc_lo
	v_cvt_f16_f32_e32 v10, v13
	v_add_nc_u32_e32 v48, 0x2000, v99
	v_cvt_f16_f32_e32 v14, v100
	s_delay_alu instid0(VALU_DEP_3) | instskip(NEXT) | instid1(VALU_DEP_2)
	v_and_b32_e32 v10, 0xffff, v10
	v_and_b32_e32 v6, 0xffff, v14
	s_delay_alu instid0(VALU_DEP_2) | instskip(NEXT) | instid1(VALU_DEP_2)
	v_mul_u32_u24_e32 v51, 0x10001, v10
	v_mul_u32_u24_e32 v72, 0x10001, v6
	s_wait_loadcnt_dscnt 0x0
	ds_store_b128 v8, v[0:3]
	s_wait_storecnt_dscnt 0x0
	s_barrier_signal -1
	s_barrier_wait -1
	ds_load_2addr_b32 v[40:41], v99 offset1:32
	ds_load_2addr_b32 v[38:39], v99 offset0:64 offset1:96
	ds_load_2addr_b32 v[22:23], v99 offset0:128 offset1:160
	ds_load_b128 v[52:55], v31 offset:18432
	ds_load_b128 v[56:59], v31 offset:18448
	ds_load_2addr_b32 v[2:3], v99 offset0:192 offset1:224
	ds_load_2addr_b32 v[0:1], v9 offset1:32
	ds_load_2addr_b32 v[20:21], v9 offset0:64 offset1:96
	ds_load_2addr_b32 v[14:15], v9 offset0:128 offset1:160
	ds_load_b128 v[60:63], v31 offset:18464
	ds_load_b128 v[68:71], v31 offset:18480
	ds_load_2addr_b32 v[10:11], v9 offset0:192 offset1:224
	;; [unrolled: 6-line block ×5, first 2 shown]
	ds_load_2addr_b32 v[24:25], v50 offset1:32
	s_wait_dscnt 0x1b
	v_lshrrev_b32_e32 v73, 16, v52
	v_and_b32_e32 v77, 0xffff, v52
	s_wait_dscnt 0x14
	v_dual_lshrrev_b32 v168, 16, v68 :: v_dual_lshrrev_b32 v170, 16, v69
	v_and_b32_e32 v169, 0xffff, v68
	v_and_b32_e32 v171, 0xffff, v69
	v_mul_u32_u24_e32 v68, 0x10001, v77
	v_mul_u32_u24_e32 v69, 0x10001, v73
	v_lshrrev_b32_e32 v85, 16, v53
	v_and_b32_e32 v90, 0xffff, v53
	v_dual_lshrrev_b32 v91, 16, v54 :: v_dual_lshrrev_b32 v99, 16, v55
	v_pk_mul_f16 v68, v40, v68
	v_pk_mul_f16 v40, v40, v69
	v_and_b32_e32 v54, 0xffff, v54
	v_mul_u32_u24_e32 v69, 0x10001, v85
	v_and_b32_e32 v55, 0xffff, v55
	v_pk_fma_f16 v51, v87, v51, v68
	v_mul_u32_u24_e32 v68, 0x10001, v90
	v_pk_fma_f16 v40, v86, v72, v40
	v_mul_u32_u24_e32 v54, 0x10001, v54
	v_dual_lshrrev_b32 v120, 16, v56 :: v_dual_lshrrev_b32 v121, 16, v57
	s_delay_alu instid0(VALU_DEP_4) | instskip(NEXT) | instid1(VALU_DEP_4)
	v_pk_fma_f16 v51, v41, v68, v51
	v_pk_fma_f16 v40, v41, v69, v40
	v_mul_u32_u24_e32 v41, 0x10001, v91
	v_and_b32_e32 v56, 0xffff, v56
	v_and_b32_e32 v57, 0xffff, v57
	v_pk_fma_f16 v51, v38, v54, v51
	v_mul_u32_u24_e32 v54, 0x10001, v55
	v_mul_u32_u24_e32 v55, 0x10001, v99
	v_pk_fma_f16 v38, v38, v41, v40
	v_mul_u32_u24_e32 v56, 0x10001, v56
	v_dual_lshrrev_b32 v122, 16, v58 :: v_dual_lshrrev_b32 v154, 16, v59
	v_pk_fma_f16 v51, v39, v54, v51
	s_delay_alu instid0(VALU_DEP_4)
	v_pk_fma_f16 v54, v39, v55, v38
	v_mul_u32_u24_e32 v55, 0x10001, v120
	v_and_b32_e32 v136, 0xffff, v58
	v_dual_lshrrev_b32 v161, 16, v60 :: v_dual_lshrrev_b32 v163, 16, v61
	v_and_b32_e32 v162, 0xffff, v60
	v_and_b32_e32 v164, 0xffff, v61
	v_dual_lshrrev_b32 v172, 16, v70 :: v_dual_lshrrev_b32 v174, 16, v71
	v_and_b32_e32 v173, 0xffff, v70
	v_and_b32_e32 v175, 0xffff, v71
	s_wait_dscnt 0xf
	v_dual_lshrrev_b32 v61, 16, v80 :: v_dual_lshrrev_b32 v60, 16, v81
	v_and_b32_e32 v65, 0xffff, v80
	v_and_b32_e32 v64, 0xffff, v81
	ds_load_2addr_b32 v[82:83], v50 offset0:64 offset1:96
	ds_load_2addr_b32 v[80:81], v50 offset0:128 offset1:160
	v_mul_u32_u24_e32 v57, 0x10001, v57
	v_pk_fma_f16 v51, v22, v56, v51
	ds_load_2addr_b32 v[70:71], v50 offset0:192 offset1:224
	v_mul_u32_u24_e32 v50, 0x10001, v121
	v_pk_fma_f16 v22, v22, v55, v54
	v_and_b32_e32 v156, 0xffff, v59
	v_pk_fma_f16 v56, v23, v57, v51
	v_mul_u32_u24_e32 v57, 0x10001, v136
	s_wait_dscnt 0x11
	v_dual_lshrrev_b32 v149, 16, v108 :: v_dual_lshrrev_b32 v145, 16, v109
	v_pk_fma_f16 v22, v23, v50, v22
	v_mul_u32_u24_e32 v23, 0x10001, v122
	v_mul_u32_u24_e32 v72, 0x10001, v156
	v_pk_fma_f16 v56, v2, v57, v56
	v_mul_u32_u24_e32 v57, 0x10001, v154
	v_and_b32_e32 v151, 0xffff, v108
	v_pk_fma_f16 v2, v2, v23, v22
	v_and_b32_e32 v150, 0xffff, v109
	v_dual_lshrrev_b32 v146, 16, v110 :: v_dual_lshrrev_b32 v59, 16, v111
	v_and_b32_e32 v160, 0xffff, v110
	v_and_b32_e32 v152, 0xffff, v111
	ds_load_b128 v[108:111], v31 offset:18592
	ds_load_b128 v[38:41], v31 offset:18608
	v_pk_fma_f16 v22, v3, v72, v56
	v_pk_fma_f16 v2, v3, v57, v2
	v_mul_u32_u24_e32 v3, 0x10001, v162
	v_mul_u32_u24_e32 v23, 0x10001, v161
	v_dual_lshrrev_b32 v166, 16, v62 :: v_dual_lshrrev_b32 v167, 16, v63
	v_and_b32_e32 v62, 0xffff, v62
	v_mul_u32_u24_e32 v56, 0x10001, v164
	v_mul_u32_u24_e32 v57, 0x10001, v163
	v_pk_fma_f16 v3, v0, v3, v22
	v_pk_fma_f16 v0, v0, v23, v2
	v_and_b32_e32 v63, 0xffff, v63
	ds_load_2addr_b32 v[68:69], v49 offset1:32
	ds_load_2addr_b32 v[54:55], v49 offset0:64 offset1:96
	ds_load_2addr_b32 v[50:51], v49 offset0:128 offset1:160
	ds_load_b128 v[162:165], v31 offset:18624
	v_mul_u32_u24_e32 v22, 0x10001, v62
	v_pk_fma_f16 v23, v1, v56, v3
	v_pk_fma_f16 v62, v1, v57, v0
	ds_load_b128 v[0:3], v31 offset:18640
	ds_load_2addr_b32 v[56:57], v49 offset0:192 offset1:224
	v_mul_u32_u24_e32 v49, 0x10001, v166
	v_mul_u32_u24_e32 v63, 0x10001, v63
	v_pk_fma_f16 v22, v20, v22, v23
	v_mul_u32_u24_e32 v23, 0x10001, v167
	s_wait_dscnt 0xe
	v_dual_lshrrev_b32 v124, 16, v126 :: v_dual_lshrrev_b32 v123, 16, v127
	v_pk_fma_f16 v20, v20, v49, v62
	v_and_b32_e32 v125, 0xffff, v127
	s_wait_dscnt 0xd
	v_dual_lshrrev_b32 v134, 16, v130 :: v_dual_lshrrev_b32 v135, 16, v131
	v_and_b32_e32 v138, 0xffff, v131
	s_wait_dscnt 0x6
	v_lshrrev_b32_e32 v127, 16, v38
	v_and_b32_e32 v131, 0xffff, v38
	v_pk_fma_f16 v22, v21, v63, v22
	v_mul_u32_u24_e32 v38, 0x10001, v169
	v_pk_fma_f16 v20, v21, v23, v20
	v_mul_u32_u24_e32 v21, 0x10001, v168
	v_dual_lshrrev_b32 v176, 16, v78 :: v_dual_lshrrev_b32 v178, 16, v79
	v_and_b32_e32 v177, 0xffff, v78
	v_and_b32_e32 v179, 0xffff, v79
	v_dual_lshrrev_b32 v158, 16, v112 :: v_dual_lshrrev_b32 v157, 16, v113
	v_and_b32_e32 v58, 0xffff, v112
	v_and_b32_e32 v159, 0xffff, v113
	;; [unrolled: 3-line block ×3, first 2 shown]
	v_dual_lshrrev_b32 v77, 16, v128 :: v_dual_lshrrev_b32 v78, 16, v129
	v_and_b32_e32 v79, 0xffff, v129
	v_dual_lshrrev_b32 v112, 16, v132 :: v_dual_lshrrev_b32 v113, 16, v133
	v_and_b32_e32 v117, 0xffff, v133
	v_lshrrev_b32_e32 v129, 16, v39
	v_and_b32_e32 v133, 0xffff, v39
	v_dual_lshrrev_b32 v99, 16, v40 :: v_dual_lshrrev_b32 v85, 16, v41
	v_and_b32_e32 v116, 0xffff, v40
	v_pk_fma_f16 v38, v14, v38, v22
	v_mul_u32_u24_e32 v39, 0x10001, v171
	v_mul_u32_u24_e32 v40, 0x10001, v170
	v_pk_fma_f16 v14, v14, v21, v20
	s_wait_dscnt 0x1
	v_and_b32_e32 v156, 0xffff, v0
	v_and_b32_e32 v154, 0xffff, v1
	v_pk_fma_f16 v38, v15, v39, v38
	v_mul_u32_u24_e32 v39, 0x10001, v172
	v_pk_fma_f16 v14, v15, v40, v14
	v_mul_u32_u24_e32 v15, 0x10001, v173
	v_mul_u32_u24_e32 v40, 0x10001, v175
	v_dual_lshrrev_b32 v53, 16, v114 :: v_dual_lshrrev_b32 v52, 16, v115
	v_and_b32_e32 v155, 0xffff, v114
	s_delay_alu instid0(VALU_DEP_4)
	v_pk_fma_f16 v15, v10, v15, v38
	v_mul_u32_u24_e32 v38, 0x10001, v174
	v_pk_fma_f16 v10, v10, v39, v14
	v_mul_u32_u24_e32 v39, 0x10001, v178
	v_and_b32_e32 v153, 0xffff, v115
	v_pk_fma_f16 v14, v11, v40, v15
	v_mul_u32_u24_e32 v15, 0x10001, v176
	v_pk_fma_f16 v10, v11, v38, v10
	v_mul_u32_u24_e32 v11, 0x10001, v177
	v_mul_u32_u24_e32 v38, 0x10001, v179
	v_mul_u32_u24_e32 v40, 0x10001, v64
	v_dual_lshrrev_b32 v140, 16, v118 :: v_dual_lshrrev_b32 v141, 16, v119
	s_delay_alu instid0(VALU_DEP_4)
	v_pk_fma_f16 v11, v8, v11, v14
	v_pk_fma_f16 v8, v8, v15, v10
	v_mul_u32_u24_e32 v14, 0x10001, v65
	v_and_b32_e32 v144, 0xffff, v118
	v_and_b32_e32 v115, 0xffff, v128
	v_pk_fma_f16 v15, v9, v38, v11
	v_pk_fma_f16 v38, v9, v39, v8
	v_mul_u32_u24_e32 v39, 0x10001, v61
	v_and_b32_e32 v137, 0xffff, v130
	v_and_b32_e32 v118, 0xffff, v132
	v_pk_fma_f16 v14, v6, v14, v15
	v_mul_u32_u24_e32 v15, 0x10001, v60
	v_pk_fma_f16 v6, v6, v39, v38
	v_mul_u32_u24_e32 v38, 0x10001, v151
	v_and_b32_e32 v151, 0xffff, v2
	v_pk_fma_f16 v14, v7, v40, v14
	v_dual_lshrrev_b32 v128, 16, v108 :: v_dual_lshrrev_b32 v130, 16, v109
	v_pk_fma_f16 v6, v7, v15, v6
	v_mul_u32_u24_e32 v7, 0x10001, v149
	v_mul_u32_u24_e32 v15, 0x10001, v150
	v_pk_fma_f16 v14, v4, v38, v14
	v_mul_u32_u24_e32 v38, 0x10001, v145
	v_dual_lshrrev_b32 v149, 16, v0 :: v_dual_lshrrev_b32 v150, 16, v1
	v_pk_fma_f16 v4, v4, v7, v6
	s_delay_alu instid0(VALU_DEP_4)
	v_pk_fma_f16 v0, v5, v15, v14
	v_lshrrev_b32_e32 v145, 16, v2
	v_mul_u32_u24_e32 v2, 0x10001, v160
	v_mul_u32_u24_e32 v14, 0x10001, v152
	v_pk_fma_f16 v1, v5, v38, v4
	v_mul_u32_u24_e32 v4, 0x10001, v146
	v_mul_u32_u24_e32 v15, 0x10001, v59
	v_pk_fma_f16 v0, v12, v2, v0
	v_lshrrev_b32_e32 v146, 16, v3
	v_and_b32_e32 v152, 0xffff, v3
	v_pk_fma_f16 v1, v12, v4, v1
	v_mul_u32_u24_e32 v2, 0x10001, v58
	v_pk_fma_f16 v0, v13, v14, v0
	v_mul_u32_u24_e32 v3, 0x10001, v158
	v_and_b32_e32 v132, 0xffff, v109
	v_pk_fma_f16 v1, v13, v15, v1
	ds_load_2addr_b32 v[62:63], v47 offset1:32
	ds_load_2addr_b32 v[22:23], v47 offset0:64 offset1:96
	v_dual_lshrrev_b32 v86, 16, v164 :: v_dual_lshrrev_b32 v87, 16, v165
	v_and_b32_e32 v90, 0xffff, v164
	v_and_b32_e32 v109, 0xffff, v165
	ds_load_b128 v[164:167], v31 offset:18656
	ds_load_b128 v[8:11], v31 offset:18672
	v_mul_u32_u24_e32 v38, 0x10001, v159
	v_pk_fma_f16 v0, v36, v2, v0
	v_mul_u32_u24_e32 v2, 0x10001, v157
	v_pk_fma_f16 v1, v36, v3, v1
	v_mul_u32_u24_e32 v3, 0x10001, v155
	v_mul_u32_u24_e32 v36, 0x10001, v52
	v_pk_fma_f16 v0, v37, v38, v0
	v_and_b32_e32 v143, 0xffff, v119
	v_pk_fma_f16 v1, v37, v2, v1
	v_mul_u32_u24_e32 v2, 0x10001, v53
	v_and_b32_e32 v126, 0xffff, v126
	v_pk_fma_f16 v0, v18, v3, v0
	v_mul_u32_u24_e32 v3, 0x10001, v153
	ds_load_b128 v[4:7], v31 offset:18688
	v_pk_fma_f16 v1, v18, v2, v1
	v_mul_u32_u24_e32 v2, 0x10001, v148
	ds_load_2addr_b32 v[20:21], v47 offset0:128 offset1:160
	v_pk_fma_f16 v0, v19, v3, v0
	v_mul_u32_u24_e32 v3, 0x10001, v142
	v_pk_fma_f16 v1, v19, v36, v1
	s_wait_dscnt 0x2
	v_lshrrev_b32_e32 v148, 16, v8
	v_and_b32_e32 v155, 0xffff, v8
	v_mul_u32_u24_e32 v8, 0x10001, v147
	v_pk_fma_f16 v0, v16, v2, v0
	v_mul_u32_u24_e32 v2, 0x10001, v139
	v_pk_fma_f16 v1, v16, v3, v1
	v_mul_u32_u24_e32 v3, 0x10001, v140
	v_lshrrev_b32_e32 v147, 16, v9
	v_pk_fma_f16 v0, v17, v8, v0
	v_and_b32_e32 v153, 0xffff, v9
	v_pk_fma_f16 v1, v17, v2, v1
	v_mul_u32_u24_e32 v2, 0x10001, v144
	v_mul_u32_u24_e32 v8, 0x10001, v143
	;; [unrolled: 1-line block ×3, first 2 shown]
	v_dual_lshrrev_b32 v139, 16, v10 :: v_dual_lshrrev_b32 v140, 16, v11
	s_delay_alu instid0(VALU_DEP_4)
	v_pk_fma_f16 v0, v42, v2, v0
	v_pk_fma_f16 v1, v42, v3, v1
	v_and_b32_e32 v142, 0xffff, v10
	v_and_b32_e32 v141, 0xffff, v11
	v_mul_u32_u24_e32 v10, 0x10001, v126
	v_pk_fma_f16 v8, v43, v8, v0
	v_pk_fma_f16 v9, v43, v9, v1
	v_mul_u32_u24_e32 v11, 0x10001, v124
	ds_load_2addr_b32 v[72:73], v47 offset0:192 offset1:224
	v_mul_u32_u24_e32 v47, 0x10001, v125
	v_pk_fma_f16 v8, v44, v10, v8
	v_mul_u32_u24_e32 v10, 0x10001, v123
	v_pk_fma_f16 v9, v44, v11, v9
	v_mul_u32_u24_e32 v11, 0x10001, v115
	v_and_b32_e32 v136, 0xffff, v108
	v_pk_fma_f16 v8, v45, v47, v8
	v_dual_lshrrev_b32 v119, 16, v110 :: v_dual_lshrrev_b32 v120, 16, v111
	v_pk_fma_f16 v9, v45, v10, v9
	v_mul_u32_u24_e32 v10, 0x10001, v77
	v_mul_u32_u24_e32 v77, 0x10001, v79
	v_pk_fma_f16 v8, v74, v11, v8
	v_mul_u32_u24_e32 v11, 0x10001, v78
	v_and_b32_e32 v121, 0xffff, v110
	v_pk_fma_f16 v9, v74, v10, v9
	v_dual_lshrrev_b32 v91, 16, v162 :: v_dual_lshrrev_b32 v108, 16, v163
	v_and_b32_e32 v114, 0xffff, v162
	v_and_b32_e32 v110, 0xffff, v163
	v_dual_lshrrev_b32 v160, 16, v164 :: v_dual_lshrrev_b32 v161, 16, v165
	v_and_b32_e32 v163, 0xffff, v164
	v_and_b32_e32 v164, 0xffff, v165
	;; [unrolled: 3-line block ×3, first 2 shown]
	s_wait_dscnt 0x2
	v_dual_lshrrev_b32 v165, 16, v4 :: v_dual_lshrrev_b32 v166, 16, v5
	v_and_b32_e32 v167, 0xffff, v4
	v_pk_fma_f16 v4, v75, v77, v8
	v_and_b32_e32 v168, 0xffff, v5
	v_pk_fma_f16 v5, v75, v11, v9
	v_lshrrev_b32_e32 v143, 16, v6
	v_and_b32_e32 v144, 0xffff, v6
	v_mul_u32_u24_e32 v6, 0x10001, v137
	v_mul_u32_u24_e32 v8, 0x10001, v134
	v_and_b32_e32 v122, 0xffff, v111
	v_and_b32_e32 v111, 0xffff, v41
	ds_load_2addr_b32 v[64:65], v48 offset1:32
	ds_load_2addr_b32 v[60:61], v48 offset0:64 offset1:96
	ds_load_2addr_b32 v[40:41], v48 offset0:128 offset1:160
	ds_load_b128 v[12:15], v31 offset:18704
	ds_load_2addr_b32 v[58:59], v48 offset0:192 offset1:224
	v_mul_u32_u24_e32 v74, 0x10001, v138
	v_mul_u32_u24_e32 v75, 0x10001, v135
	v_pk_fma_f16 v4, v66, v6, v4
	v_pk_fma_f16 v5, v66, v8, v5
	ds_load_2addr_b32 v[52:53], v46 offset1:32
	ds_load_2addr_b32 v[38:39], v46 offset0:64 offset1:96
	ds_load_2addr_b32 v[36:37], v46 offset0:128 offset1:160
	ds_load_b128 v[16:19], v31 offset:18720
	ds_load_b128 v[0:3], v31 offset:18736
	ds_load_2addr_b32 v[42:43], v46 offset0:192 offset1:224
	ds_load_2addr_b32 v[48:49], v76 offset1:32
	ds_load_2addr_b32 v[46:47], v76 offset0:64 offset1:96
	ds_load_2addr_b32 v[44:45], v76 offset0:128 offset1:160
	v_lshrrev_b32_e32 v134, 16, v7
	v_and_b32_e32 v135, 0xffff, v7
	ds_load_b128 v[8:11], v31 offset:18752
	v_mul_u32_u24_e32 v77, 0x10001, v118
	v_pk_fma_f16 v74, v67, v74, v4
	v_pk_fma_f16 v75, v67, v75, v5
	ds_load_b128 v[4:7], v31 offset:18768
	ds_load_2addr_b32 v[66:67], v76 offset0:192 offset1:224
	v_mul_u32_u24_e32 v76, 0x10001, v112
	v_mul_u32_u24_e32 v78, 0x10001, v117
	v_pk_fma_f16 v74, v26, v77, v74
	v_mul_u32_u24_e32 v77, 0x10001, v113
	s_wait_dscnt 0xd
	v_dual_lshrrev_b32 v137, 16, v12 :: v_dual_lshrrev_b32 v138, 16, v13
	v_pk_fma_f16 v26, v26, v76, v75
	v_and_b32_e32 v170, 0xffff, v12
	v_pk_fma_f16 v12, v27, v78, v74
	v_mul_u32_u24_e32 v74, 0x10001, v136
	v_and_b32_e32 v169, 0xffff, v13
	v_pk_fma_f16 v26, v27, v77, v26
	v_mul_u32_u24_e32 v13, 0x10001, v128
	v_dual_lshrrev_b32 v123, 16, v14 :: v_dual_lshrrev_b32 v124, 16, v15
	v_and_b32_e32 v125, 0xffff, v14
	v_pk_fma_f16 v12, v24, v74, v12
	v_mul_u32_u24_e32 v14, 0x10001, v132
	v_mul_u32_u24_e32 v27, 0x10001, v130
	v_pk_fma_f16 v13, v24, v13, v26
	v_and_b32_e32 v126, 0xffff, v15
	v_mul_u32_u24_e32 v15, 0x10001, v119
	v_pk_fma_f16 v12, v25, v14, v12
	v_mul_u32_u24_e32 v14, 0x10001, v121
	v_pk_fma_f16 v13, v25, v27, v13
	s_wait_dscnt 0x8
	v_dual_lshrrev_b32 v121, 16, v16 :: v_dual_lshrrev_b32 v119, 16, v17
	v_and_b32_e32 v128, 0xffff, v16
	v_mul_u32_u24_e32 v16, 0x10001, v122
	v_pk_fma_f16 v12, v82, v14, v12
	v_mul_u32_u24_e32 v14, 0x10001, v120
	v_pk_fma_f16 v13, v82, v15, v13
	v_mul_u32_u24_e32 v15, 0x10001, v127
	v_and_b32_e32 v120, 0xffff, v17
	v_pk_fma_f16 v12, v83, v16, v12
	v_dual_lshrrev_b32 v113, 16, v18 :: v_dual_lshrrev_b32 v112, 16, v19
	v_pk_fma_f16 v13, v83, v14, v13
	v_mul_u32_u24_e32 v14, 0x10001, v131
	v_and_b32_e32 v117, 0xffff, v18
	v_mul_u32_u24_e32 v16, 0x10001, v133
	v_mul_u32_u24_e32 v17, 0x10001, v129
	v_pk_fma_f16 v24, v80, v15, v13
	v_pk_fma_f16 v18, v80, v14, v12
	v_mul_u32_u24_e32 v25, 0x10001, v116
	v_mul_u32_u24_e32 v27, 0x10001, v99
	;; [unrolled: 1-line block ×3, first 2 shown]
	v_pk_fma_f16 v24, v81, v17, v24
	v_pk_fma_f16 v26, v81, v16, v18
	s_wait_dscnt 0x7
	v_lshrrev_b32_e32 v111, 16, v0
	v_and_b32_e32 v118, 0xffff, v0
	v_and_b32_e32 v116, 0xffff, v1
	v_pk_fma_f16 v24, v70, v27, v24
	v_pk_fma_f16 v25, v70, v25, v26
	v_mul_u32_u24_e32 v26, 0x10001, v85
	v_mul_u32_u24_e32 v27, 0x10001, v114
	v_and_b32_e32 v114, 0xffff, v2
	ds_load_2addr_b32 v[78:79], v84 offset1:32
	ds_load_2addr_b32 v[76:77], v84 offset0:64 offset1:96
	v_pk_fma_f16 v25, v71, v82, v25
	v_pk_fma_f16 v24, v71, v26, v24
	v_mul_u32_u24_e32 v26, 0x10001, v91
	v_mul_u32_u24_e32 v91, 0x10001, v110
	v_lshrrev_b32_e32 v110, 16, v1
	v_pk_fma_f16 v25, v68, v27, v25
	v_mul_u32_u24_e32 v27, 0x10001, v108
	v_pk_fma_f16 v24, v68, v26, v24
	v_dual_lshrrev_b32 v108, 16, v2 :: v_dual_lshrrev_b32 v99, 16, v3
	s_delay_alu instid0(VALU_DEP_4) | instskip(SKIP_1) | instid1(VALU_DEP_4)
	v_pk_fma_f16 v0, v69, v91, v25
	v_mul_u32_u24_e32 v2, 0x10001, v90
	v_pk_fma_f16 v1, v69, v27, v24
	v_mul_u32_u24_e32 v24, 0x10001, v86
	v_mul_u32_u24_e32 v68, 0x10001, v109
	;; [unrolled: 1-line block ×3, first 2 shown]
	v_pk_fma_f16 v0, v54, v2, v0
	v_mul_u32_u24_e32 v86, 0x10001, v156
	v_pk_fma_f16 v1, v54, v24, v1
	v_mul_u32_u24_e32 v87, 0x10001, v149
	ds_load_2addr_b32 v[74:75], v84 offset0:128 offset1:160
	v_pk_fma_f16 v68, v55, v68, v0
	v_and_b32_e32 v115, 0xffff, v19
	v_pk_fma_f16 v69, v55, v69, v1
	ds_load_b128 v[12:15], v31 offset:18784
	ds_load_b128 v[16:19], v31 offset:18800
	ds_load_2addr_b32 v[80:81], v84 offset0:192 offset1:224
	ds_load_2addr_b32 v[84:85], v89 offset1:32
	ds_load_2addr_b32 v[82:83], v89 offset0:64 offset1:96
	ds_load_2addr_b32 v[70:71], v89 offset0:128 offset1:160
	v_and_b32_e32 v109, 0xffff, v3
	ds_load_b128 v[24:27], v31 offset:18816
	ds_load_b128 v[0:3], v31 offset:18832
	ds_load_2addr_b32 v[54:55], v89 offset0:192 offset1:224
	v_mul_u32_u24_e32 v89, 0x10001, v154
	v_pk_fma_f16 v68, v50, v86, v68
	v_mul_u32_u24_e32 v86, 0x10001, v150
	v_pk_fma_f16 v50, v50, v87, v69
	s_wait_dscnt 0xe
	v_dual_lshrrev_b32 v129, 16, v8 :: v_dual_lshrrev_b32 v130, 16, v9
	v_and_b32_e32 v133, 0xffff, v8
	v_pk_fma_f16 v8, v51, v89, v68
	v_mul_u32_u24_e32 v68, 0x10001, v151
	v_pk_fma_f16 v50, v51, v86, v50
	v_and_b32_e32 v136, 0xffff, v9
	v_mul_u32_u24_e32 v9, 0x10001, v145
	v_dual_lshrrev_b32 v127, 16, v10 :: v_dual_lshrrev_b32 v122, 16, v11
	v_and_b32_e32 v131, 0xffff, v10
	v_pk_fma_f16 v8, v56, v68, v8
	v_mul_u32_u24_e32 v10, 0x10001, v152
	v_mul_u32_u24_e32 v51, 0x10001, v146
	v_pk_fma_f16 v9, v56, v9, v50
	v_and_b32_e32 v132, 0xffff, v11
	v_mul_u32_u24_e32 v11, 0x10001, v160
	v_pk_fma_f16 v8, v57, v10, v8
	v_mul_u32_u24_e32 v10, 0x10001, v163
	v_pk_fma_f16 v9, v57, v51, v9
	s_wait_dscnt 0xd
	v_dual_lshrrev_b32 v145, 16, v4 :: v_dual_lshrrev_b32 v150, 16, v5
	v_and_b32_e32 v151, 0xffff, v4
	v_mul_u32_u24_e32 v4, 0x10001, v164
	v_pk_fma_f16 v8, v62, v10, v8
	v_mul_u32_u24_e32 v10, 0x10001, v161
	v_pk_fma_f16 v9, v62, v11, v9
	v_and_b32_e32 v154, 0xffff, v5
	v_dual_lshrrev_b32 v146, 16, v6 :: v_dual_lshrrev_b32 v149, 16, v7
	v_pk_fma_f16 v4, v63, v4, v8
	s_delay_alu instid0(VALU_DEP_4)
	v_pk_fma_f16 v5, v63, v10, v9
	v_and_b32_e32 v152, 0xffff, v6
	v_mul_u32_u24_e32 v6, 0x10001, v159
	v_mul_u32_u24_e32 v8, 0x10001, v157
	;; [unrolled: 1-line block ×5, first 2 shown]
	v_pk_fma_f16 v4, v22, v6, v4
	v_pk_fma_f16 v5, v22, v8, v5
	v_mul_u32_u24_e32 v22, 0x10001, v155
	v_mul_u32_u24_e32 v63, 0x10001, v153
	v_mul_u32_u24_e32 v147, 0x10001, v147
	v_pk_fma_f16 v56, v23, v56, v4
	v_pk_fma_f16 v23, v23, v57, v5
	s_wait_dscnt 0x8
	v_and_b32_e32 v155, 0xffff, v12
	v_and_b32_e32 v148, 0xffff, v13
	ds_load_2addr_b32 v[86:87], v88 offset1:32
	ds_load_2addr_b32 v[68:69], v88 offset0:64 offset1:96
	v_pk_fma_f16 v22, v20, v22, v56
	v_pk_fma_f16 v20, v20, v62, v23
	v_mul_u32_u24_e32 v23, 0x10001, v142
	v_lshrrev_b32_e32 v142, 16, v12
	ds_load_2addr_b32 v[50:51], v88 offset0:128 offset1:160
	v_pk_fma_f16 v22, v21, v63, v22
	v_pk_fma_f16 v20, v21, v147, v20
	v_mul_u32_u24_e32 v21, 0x10001, v139
	v_mul_u32_u24_e32 v139, 0x10001, v141
	v_lshrrev_b32_e32 v141, 16, v13
	v_pk_fma_f16 v22, v72, v23, v22
	v_mul_u32_u24_e32 v23, 0x10001, v140
	v_pk_fma_f16 v20, v72, v21, v20
	v_lshrrev_b32_e32 v140, 16, v14
	v_and_b32_e32 v147, 0xffff, v14
	v_pk_fma_f16 v12, v73, v139, v22
	v_mul_u32_u24_e32 v14, 0x10001, v167
	v_pk_fma_f16 v13, v73, v23, v20
	v_mul_u32_u24_e32 v20, 0x10001, v165
	v_mul_u32_u24_e32 v72, 0x10001, v168
	;; [unrolled: 1-line block ×3, first 2 shown]
	v_pk_fma_f16 v12, v64, v14, v12
	v_and_b32_e32 v156, 0xffff, v7
	v_pk_fma_f16 v13, v64, v20, v13
	ds_load_b128 v[8:11], v31 offset:18848
	ds_load_b128 v[4:7], v31 offset:18864
	ds_load_2addr_b32 v[56:57], v88 offset0:192 offset1:224
	ds_load_2addr_b32 v[90:91], v102 offset1:32
	ds_load_2addr_b32 v[88:89], v102 offset0:64 offset1:96
	ds_load_2addr_b32 v[62:63], v102 offset0:128 offset1:160
	v_lshrrev_b32_e32 v139, 16, v15
	v_and_b32_e32 v153, 0xffff, v15
	ds_load_b128 v[20:23], v31 offset:18880
	v_mul_u32_u24_e32 v144, 0x10001, v144
	v_pk_fma_f16 v72, v65, v72, v12
	v_pk_fma_f16 v73, v65, v73, v13
	ds_load_b128 v[12:15], v31 offset:18896
	ds_load_2addr_b32 v[64:65], v102 offset0:192 offset1:224
	v_mul_u32_u24_e32 v102, 0x10001, v143
	v_mul_u32_u24_e32 v143, 0x10001, v135
	v_pk_fma_f16 v72, v60, v144, v72
	v_mul_u32_u24_e32 v134, 0x10001, v134
	s_wait_dscnt 0x13
	v_lshrrev_b32_e32 v135, 16, v16
	v_pk_fma_f16 v60, v60, v102, v73
	v_and_b32_e32 v157, 0xffff, v16
	v_pk_fma_f16 v16, v61, v143, v72
	v_lshrrev_b32_e32 v143, 16, v17
	v_mul_u32_u24_e32 v72, 0x10001, v170
	v_pk_fma_f16 v60, v61, v134, v60
	v_and_b32_e32 v158, 0xffff, v17
	v_mul_u32_u24_e32 v17, 0x10001, v137
	v_dual_lshrrev_b32 v134, 16, v18 :: v_dual_lshrrev_b32 v102, 16, v19
	v_and_b32_e32 v144, 0xffff, v18
	v_pk_fma_f16 v16, v40, v72, v16
	v_mul_u32_u24_e32 v18, 0x10001, v169
	v_mul_u32_u24_e32 v138, 0x10001, v138
	v_pk_fma_f16 v17, v40, v17, v60
	v_and_b32_e32 v137, 0xffff, v19
	v_mul_u32_u24_e32 v19, 0x10001, v123
	v_pk_fma_f16 v16, v41, v18, v16
	v_mul_u32_u24_e32 v18, 0x10001, v125
	v_pk_fma_f16 v17, v41, v138, v17
	s_wait_dscnt 0xe
	v_dual_lshrrev_b32 v125, 16, v24 :: v_dual_lshrrev_b32 v123, 16, v25
	v_and_b32_e32 v138, 0xffff, v24
	v_mul_u32_u24_e32 v24, 0x10001, v126
	v_pk_fma_f16 v16, v58, v18, v16
	v_mul_u32_u24_e32 v18, 0x10001, v124
	v_pk_fma_f16 v17, v58, v19, v17
	v_mul_u32_u24_e32 v19, 0x10001, v128
	v_mul_u32_u24_e32 v120, 0x10001, v120
	v_pk_fma_f16 v16, v59, v24, v16
	v_mul_u32_u24_e32 v119, 0x10001, v119
	v_pk_fma_f16 v17, v59, v18, v17
	v_mul_u32_u24_e32 v18, 0x10001, v121
	ds_load_2addr_b32 v[72:73], v101 offset1:32
	ds_load_2addr_b32 v[60:61], v101 offset0:64 offset1:96
	v_pk_fma_f16 v16, v52, v19, v16
	ds_load_2addr_b32 v[40:41], v101 offset0:128 offset1:160
	v_and_b32_e32 v58, 0xffff, v25
	v_pk_fma_f16 v52, v52, v18, v17
	v_dual_lshrrev_b32 v124, 16, v26 :: v_dual_lshrrev_b32 v121, 16, v27
	v_and_b32_e32 v59, 0xffff, v26
	v_and_b32_e32 v126, 0xffff, v27
	ds_load_b128 v[24:27], v31 offset:18912
	v_pk_fma_f16 v120, v53, v120, v16
	ds_load_b128 v[16:19], v31 offset:18928
	v_pk_fma_f16 v31, v53, v119, v52
	ds_load_2addr_b32 v[52:53], v101 offset0:192 offset1:224
	v_mul_u32_u24_e32 v101, 0x10001, v117
	v_mul_u32_u24_e32 v113, 0x10001, v113
	;; [unrolled: 1-line block ×5, first 2 shown]
	v_pk_fma_f16 v101, v38, v101, v120
	v_pk_fma_f16 v31, v38, v113, v31
	v_mul_u32_u24_e32 v110, 0x10001, v110
	v_mul_u32_u24_e32 v99, 0x10001, v99
	;; [unrolled: 1-line block ×3, first 2 shown]
	v_pk_fma_f16 v101, v39, v115, v101
	v_pk_fma_f16 v31, v39, v112, v31
	v_mul_u32_u24_e32 v39, 0x10001, v118
	v_mul_u32_u24_e32 v115, 0x10001, v116
	s_wait_dscnt 0x13
	v_dual_lshrrev_b32 v117, 16, v0 :: v_dual_lshrrev_b32 v38, 16, v1
	v_pk_fma_f16 v31, v36, v111, v31
	v_pk_fma_f16 v39, v36, v39, v101
	v_mul_u32_u24_e32 v36, 0x10001, v114
	v_mul_u32_u24_e32 v101, 0x10001, v108
	;; [unrolled: 1-line block ×3, first 2 shown]
	v_pk_fma_f16 v31, v37, v110, v31
	v_pk_fma_f16 v39, v37, v115, v39
	v_and_b32_e32 v0, 0xffff, v0
	v_and_b32_e32 v1, 0xffff, v1
	v_dual_lshrrev_b32 v113, 16, v2 :: v_dual_lshrrev_b32 v112, 16, v3
	s_delay_alu instid0(VALU_DEP_4)
	v_pk_fma_f16 v36, v42, v36, v39
	v_pk_fma_f16 v31, v42, v101, v31
	v_mul_u32_u24_e32 v39, 0x10001, v133
	v_mul_u32_u24_e32 v42, 0x10001, v129
	;; [unrolled: 1-line block ×3, first 2 shown]
	v_pk_fma_f16 v36, v43, v108, v36
	v_pk_fma_f16 v31, v43, v99, v31
	v_mul_u32_u24_e32 v99, 0x10001, v136
	v_mul_u32_u24_e32 v0, 0x10001, v0
	v_and_b32_e32 v2, 0xffff, v2
	v_pk_fma_f16 v36, v48, v39, v36
	v_pk_fma_f16 v31, v48, v42, v31
	v_mul_u32_u24_e32 v39, 0x10001, v131
	v_mul_u32_u24_e32 v42, 0x10001, v127
	;; [unrolled: 1-line block ×3, first 2 shown]
	v_pk_fma_f16 v36, v49, v99, v36
	v_pk_fma_f16 v31, v49, v101, v31
	v_mul_u32_u24_e32 v49, 0x10001, v132
	v_mul_u32_u24_e32 v99, 0x10001, v122
	v_mul_u32_u24_e32 v38, 0x10001, v38
	v_pk_fma_f16 v36, v46, v39, v36
	v_pk_fma_f16 v31, v46, v42, v31
	v_mul_u32_u24_e32 v39, 0x10001, v151
	v_mul_u32_u24_e32 v42, 0x10001, v145
	v_and_b32_e32 v3, 0xffff, v3
	v_pk_fma_f16 v36, v47, v49, v36
	v_pk_fma_f16 v31, v47, v99, v31
	v_mul_u32_u24_e32 v47, 0x10001, v154
	v_mul_u32_u24_e32 v49, 0x10001, v150
	;; [unrolled: 1-line block ×3, first 2 shown]
	v_pk_fma_f16 v36, v44, v39, v36
	v_pk_fma_f16 v31, v44, v42, v31
	v_mul_u32_u24_e32 v39, 0x10001, v152
	v_mul_u32_u24_e32 v42, 0x10001, v146
	s_wait_dscnt 0xe
	v_dual_lshrrev_b32 v37, 16, v8 :: v_dual_lshrrev_b32 v43, 16, v9
	v_pk_fma_f16 v36, v45, v47, v36
	v_pk_fma_f16 v31, v45, v49, v31
	v_mul_u32_u24_e32 v45, 0x10001, v156
	v_mul_u32_u24_e32 v47, 0x10001, v149
	;; [unrolled: 1-line block ×3, first 2 shown]
	v_pk_fma_f16 v36, v66, v39, v36
	v_pk_fma_f16 v31, v66, v42, v31
	v_mul_u32_u24_e32 v39, 0x10001, v155
	v_mul_u32_u24_e32 v42, 0x10001, v142
	;; [unrolled: 1-line block ×3, first 2 shown]
	v_pk_fma_f16 v36, v67, v45, v36
	v_pk_fma_f16 v31, v67, v47, v31
	v_mul_u32_u24_e32 v47, 0x10001, v148
	v_mul_u32_u24_e32 v67, 0x10001, v143
	v_and_b32_e32 v8, 0xffff, v8
	v_pk_fma_f16 v36, v78, v39, v36
	v_pk_fma_f16 v31, v78, v42, v31
	v_mul_u32_u24_e32 v39, 0x10001, v147
	v_mul_u32_u24_e32 v42, 0x10001, v140
	;; [unrolled: 1-line block ×3, first 2 shown]
	v_pk_fma_f16 v36, v79, v47, v36
	v_pk_fma_f16 v31, v79, v49, v31
	v_mul_u32_u24_e32 v49, 0x10001, v153
	v_and_b32_e32 v9, 0xffff, v9
	v_mul_u32_u24_e32 v8, 0x10001, v8
	v_pk_fma_f16 v36, v76, v39, v36
	v_pk_fma_f16 v31, v76, v42, v31
	v_mul_u32_u24_e32 v39, 0x10001, v157
	v_mul_u32_u24_e32 v42, 0x10001, v135
	v_dual_lshrrev_b32 v48, 16, v10 :: v_dual_lshrrev_b32 v46, 16, v11
	v_pk_fma_f16 v36, v77, v49, v36
	v_pk_fma_f16 v31, v77, v66, v31
	v_mul_u32_u24_e32 v66, 0x10001, v158
	v_and_b32_e32 v10, 0xffff, v10
	v_mul_u32_u24_e32 v9, 0x10001, v9
	v_pk_fma_f16 v36, v74, v39, v36
	v_pk_fma_f16 v31, v74, v42, v31
	v_mul_u32_u24_e32 v39, 0x10001, v144
	v_mul_u32_u24_e32 v42, 0x10001, v134
	;; [unrolled: 1-line block ×3, first 2 shown]
	v_pk_fma_f16 v36, v75, v66, v36
	v_pk_fma_f16 v31, v75, v67, v31
	v_mul_u32_u24_e32 v67, 0x10001, v137
	v_and_b32_e32 v11, 0xffff, v11
	v_mul_u32_u24_e32 v10, 0x10001, v10
	v_pk_fma_f16 v36, v80, v39, v36
	v_pk_fma_f16 v31, v80, v42, v31
	v_mul_u32_u24_e32 v39, 0x10001, v138
	v_mul_u32_u24_e32 v42, 0x10001, v125
	s_wait_dscnt 0xd
	v_dual_lshrrev_b32 v44, 16, v4 :: v_dual_lshrrev_b32 v45, 16, v5
	v_pk_fma_f16 v36, v81, v67, v36
	v_pk_fma_f16 v31, v81, v74, v31
	v_mul_u32_u24_e32 v74, 0x10001, v123
	v_and_b32_e32 v4, 0xffff, v4
	v_mul_u32_u24_e32 v11, 0x10001, v11
	v_pk_fma_f16 v36, v84, v39, v36
	v_pk_fma_f16 v31, v84, v42, v31
	v_mul_u32_u24_e32 v39, 0x10001, v59
	v_mul_u32_u24_e32 v42, 0x10001, v124
	;; [unrolled: 1-line block ×3, first 2 shown]
	v_pk_fma_f16 v36, v85, v58, v36
	v_pk_fma_f16 v31, v85, v74, v31
	v_mul_u32_u24_e32 v74, 0x10001, v121
	v_and_b32_e32 v5, 0xffff, v5
	v_mul_u32_u24_e32 v4, 0x10001, v4
	v_pk_fma_f16 v36, v82, v39, v36
	v_pk_fma_f16 v31, v82, v42, v31
	v_mul_u32_u24_e32 v39, 0x10001, v117
	v_dual_lshrrev_b32 v47, 16, v6 :: v_dual_lshrrev_b32 v49, 16, v7
	s_delay_alu instid0(VALU_DEP_4) | instskip(NEXT) | instid1(VALU_DEP_4)
	v_pk_fma_f16 v36, v83, v59, v36
	v_pk_fma_f16 v31, v83, v74, v31
	v_and_b32_e32 v6, 0xffff, v6
	v_mul_u32_u24_e32 v5, 0x10001, v5
	v_and_b32_e32 v7, 0xffff, v7
	v_pk_fma_f16 v0, v70, v0, v36
	v_pk_fma_f16 v31, v70, v39, v31
	v_mul_u32_u24_e32 v36, 0x10001, v113
	v_mul_u32_u24_e32 v6, 0x10001, v6
	s_wait_dscnt 0x8
	v_dual_lshrrev_b32 v66, 16, v20 :: v_dual_lshrrev_b32 v67, 16, v21
	v_pk_fma_f16 v0, v71, v1, v0
	v_pk_fma_f16 v1, v71, v38, v31
	v_mul_u32_u24_e32 v38, 0x10001, v112
	s_wait_dscnt 0x7
	v_lshrrev_b32_e32 v31, 16, v12
	v_and_b32_e32 v20, 0xffff, v20
	v_pk_fma_f16 v0, v54, v2, v0
	v_pk_fma_f16 v1, v54, v36, v1
	v_and_b32_e32 v2, 0xffff, v12
	v_mul_u32_u24_e32 v12, 0x10001, v37
	v_mul_u32_u24_e32 v36, 0x10001, v43
	v_pk_fma_f16 v0, v55, v3, v0
	v_pk_fma_f16 v1, v55, v38, v1
	v_lshrrev_b32_e32 v3, 16, v13
	v_mul_u32_u24_e32 v7, 0x10001, v7
	v_and_b32_e32 v21, 0xffff, v21
	v_pk_fma_f16 v0, v86, v8, v0
	v_pk_fma_f16 v1, v86, v12, v1
	v_mul_u32_u24_e32 v12, 0x10001, v48
	v_and_b32_e32 v8, 0xffff, v13
	v_mul_u32_u24_e32 v13, 0x10001, v46
	v_pk_fma_f16 v0, v87, v9, v0
	v_pk_fma_f16 v1, v87, v36, v1
	v_lshrrev_b32_e32 v9, 16, v14
	v_dual_lshrrev_b32 v58, 16, v22 :: v_dual_lshrrev_b32 v42, 16, v23
	s_delay_alu instid0(VALU_DEP_4) | instskip(NEXT) | instid1(VALU_DEP_4)
	v_pk_fma_f16 v0, v68, v10, v0
	v_pk_fma_f16 v1, v68, v12, v1
	v_mul_u32_u24_e32 v12, 0x10001, v44
	v_and_b32_e32 v10, 0xffff, v14
	v_mul_u32_u24_e32 v14, 0x10001, v66
	v_pk_fma_f16 v0, v69, v11, v0
	v_pk_fma_f16 v1, v69, v13, v1
	v_mul_u32_u24_e32 v13, 0x10001, v45
	v_and_b32_e32 v22, 0xffff, v22
	v_lshrrev_b32_e32 v11, 16, v15
	v_pk_fma_f16 v0, v50, v4, v0
	v_pk_fma_f16 v1, v50, v12, v1
	v_mul_u32_u24_e32 v12, 0x10001, v47
	v_and_b32_e32 v4, 0xffff, v15
	v_mul_u32_u24_e32 v15, 0x10001, v67
	v_pk_fma_f16 v0, v51, v5, v0
	v_pk_fma_f16 v1, v51, v13, v1
	v_mul_u32_u24_e32 v13, 0x10001, v49
	v_and_b32_e32 v23, 0xffff, v23
	v_mul_u32_u24_e32 v2, 0x10001, v2
	v_pk_fma_f16 v0, v56, v6, v0
	v_pk_fma_f16 v1, v56, v12, v1
	v_mul_u32_u24_e32 v12, 0x10001, v20
	v_mul_u32_u24_e32 v20, 0x10001, v58
	v_mul_u32_u24_e32 v8, 0x10001, v8
	v_pk_fma_f16 v0, v57, v7, v0
	v_pk_fma_f16 v1, v57, v13, v1
	v_mul_u32_u24_e32 v13, 0x10001, v21
	v_mul_u32_u24_e32 v21, 0x10001, v42
	;; [unrolled: 5-line block ×3, first 2 shown]
	v_mul_u32_u24_e32 v9, 0x10001, v9
	v_pk_fma_f16 v0, v91, v13, v0
	v_pk_fma_f16 v1, v91, v15, v1
	v_mul_u32_u24_e32 v15, 0x10001, v23
	s_wait_dscnt 0x2
	v_dual_lshrrev_b32 v5, 16, v24 :: v_dual_lshrrev_b32 v7, 16, v25
	v_pk_fma_f16 v0, v88, v14, v0
	v_pk_fma_f16 v1, v88, v20, v1
	v_mul_u32_u24_e32 v20, 0x10001, v31
	v_and_b32_e32 v6, 0xffff, v24
	v_mul_u32_u24_e32 v4, 0x10001, v4
	v_pk_fma_f16 v0, v89, v15, v0
	v_pk_fma_f16 v1, v89, v21, v1
	v_and_b32_e32 v12, 0xffff, v25
	v_mul_u32_u24_e32 v6, 0x10001, v6
	v_mul_u32_u24_e32 v5, 0x10001, v5
	v_pk_fma_f16 v0, v62, v2, v0
	v_pk_fma_f16 v1, v62, v20, v1
	v_dual_lshrrev_b32 v13, 16, v26 :: v_dual_lshrrev_b32 v15, 16, v27
	v_and_b32_e32 v14, 0xffff, v26
	s_delay_alu instid0(VALU_DEP_4) | instskip(NEXT) | instid1(VALU_DEP_4)
	v_pk_fma_f16 v0, v63, v8, v0
	v_pk_fma_f16 v1, v63, v3, v1
	v_mul_u32_u24_e32 v8, 0x10001, v11
	v_mul_u32_u24_e32 v7, 0x10001, v7
	v_and_b32_e32 v2, 0xffff, v27
	v_pk_fma_f16 v0, v64, v10, v0
	v_pk_fma_f16 v1, v64, v9, v1
	v_mul_u32_u24_e32 v10, 0x10001, v13
	s_wait_dscnt 0x1
	v_lshrrev_b32_e32 v3, 16, v16
	v_and_b32_e32 v9, 0xffff, v16
	v_pk_fma_f16 v0, v65, v4, v0
	v_pk_fma_f16 v1, v65, v8, v1
	v_mul_u32_u24_e32 v8, 0x10001, v12
	v_mul_u32_u24_e32 v2, 0x10001, v2
	v_lshrrev_b32_e32 v4, 16, v17
	v_pk_fma_f16 v0, v72, v6, v0
	v_pk_fma_f16 v1, v72, v5, v1
	v_mul_u32_u24_e32 v6, 0x10001, v14
	v_and_b32_e32 v5, 0xffff, v17
	v_mul_u32_u24_e32 v9, 0x10001, v9
	v_pk_fma_f16 v0, v73, v8, v0
	v_pk_fma_f16 v1, v73, v7, v1
	v_mul_u32_u24_e32 v8, 0x10001, v15
	v_mul_u32_u24_e32 v3, 0x10001, v3
	v_lshrrev_b32_e32 v7, 16, v18
	v_pk_fma_f16 v0, v60, v6, v0
	v_pk_fma_f16 v1, v60, v10, v1
	v_and_b32_e32 v6, 0xffff, v18
	v_mul_u32_u24_e32 v5, 0x10001, v5
	v_mul_u32_u24_e32 v4, 0x10001, v4
	v_pk_fma_f16 v0, v61, v2, v0
	v_pk_fma_f16 v1, v61, v8, v1
	v_dual_add_f32 v31, v33, v34 :: v_dual_lshrrev_b32 v2, 16, v19
	v_mul_u32_u24_e32 v6, 0x10001, v6
	s_delay_alu instid0(VALU_DEP_4) | instskip(NEXT) | instid1(VALU_DEP_4)
	v_pk_fma_f16 v0, v40, v9, v0
	v_pk_fma_f16 v1, v40, v3, v1
	v_and_b32_e32 v3, 0xffff, v19
	v_mul_u32_u24_e32 v7, 0x10001, v7
	v_fmac_f32_e32 v31, v35, v100
	v_pk_fma_f16 v0, v41, v5, v0
	v_pk_fma_f16 v1, v41, v4, v1
	v_mul_u32_u24_e32 v3, 0x10001, v3
	v_mul_u32_u24_e32 v2, 0x10001, v2
	v_mov_b64_e32 v[40:41], v[28:29]
	s_wait_dscnt 0x0
	v_pk_fma_f16 v0, v52, v6, v0
	v_pk_fma_f16 v1, v52, v7, v1
	v_mov_b64_e32 v[34:35], v[30:31]
	s_barrier_signal -1
	s_delay_alu instid0(VALU_DEP_3) | instskip(NEXT) | instid1(VALU_DEP_3)
	v_pk_fma_f16 v87, v53, v3, v0
	v_pk_fma_f16 v86, v53, v2, v1
	s_barrier_wait -1
.LBB62_71:
	v_cmp_lt_i32_e32 vcc_lo, v93, v107
	s_cmp_eq_u64 s[24:25], 0
	s_cselect_b32 s2, -1, 0
	s_cmp_lg_u32 s35, 0
	v_cndmask_b32_e32 v0, v98, v93, vcc_lo
	v_cmp_lt_i32_e32 vcc_lo, v103, v107
	s_cselect_b32 s3, -1, 0
	s_delay_alu instid0(SALU_CYCLE_1) | instskip(NEXT) | instid1(VALU_DEP_2)
	s_or_b32 s2, s3, s2
	v_dual_cndmask_b32 v2, v98, v103 :: v_dual_lshlrev_b32 v1, 2, v0
	v_cmp_lt_i32_e32 vcc_lo, v104, v107
	s_delay_alu instid0(VALU_DEP_2) | instskip(SKIP_4) | instid1(VALU_DEP_2)
	v_lshlrev_b32_e32 v3, 2, v2
	ds_bpermute_b32 v0, v1, v34
	ds_bpermute_b32 v1, v1, v35
	v_cndmask_b32_e32 v4, v98, v104, vcc_lo
	v_cmp_lt_i32_e32 vcc_lo, v105, v107
	v_lshlrev_b32_e32 v4, 2, v4
	s_wait_dscnt 0x0
	v_pk_add_f32 v[0:1], v[34:35], v[0:1]
	ds_bpermute_b32 v2, v3, v0
	ds_bpermute_b32 v3, v3, v1
	s_wait_dscnt 0x0
	v_pk_add_f32 v[0:1], v[0:1], v[2:3]
	ds_bpermute_b32 v2, v4, v0
	ds_bpermute_b32 v3, v4, v1
	v_cndmask_b32_e32 v4, v98, v105, vcc_lo
	v_cmp_lt_i32_e32 vcc_lo, v106, v107
	s_delay_alu instid0(VALU_DEP_2)
	v_lshlrev_b32_e32 v4, 2, v4
	s_wait_dscnt 0x0
	v_pk_add_f32 v[0:1], v[0:1], v[2:3]
	ds_bpermute_b32 v2, v4, v0
	ds_bpermute_b32 v3, v4, v1
	v_cndmask_b32_e32 v4, v98, v106, vcc_lo
	s_and_b32 vcc_lo, exec_lo, s2
	s_delay_alu instid0(VALU_DEP_1)
	v_lshlrev_b32_e32 v4, 2, v4
	s_wait_dscnt 0x0
	v_pk_add_f32 v[0:1], v[0:1], v[2:3]
	ds_bpermute_b32 v2, v4, v0
	ds_bpermute_b32 v3, v4, v1
	s_wait_dscnt 0x0
	v_pk_add_f32 v[0:1], v[0:1], v[2:3]
	s_cbranch_vccnz .LBB62_73
; %bb.72:
	v_dual_mov_b32 v2, s33 :: v_dual_max_num_f32 v5, v41, v41
	global_load_b32 v4, v2, s[24:25] scale_offset
	s_wait_xcnt 0x0
	v_max_num_f32_e32 v2, v40, v40
	s_wait_loadcnt 0x0
	v_max_num_f32_e32 v3, v4, v4
	s_delay_alu instid0(VALU_DEP_1) | instskip(NEXT) | instid1(VALU_DEP_1)
	v_dual_max_num_f32 v2, v2, v3 :: v_dual_max_num_f32 v3, v5, v3
	v_dual_sub_f32 v5, v40, v2 :: v_dual_sub_f32 v7, v41, v3
	v_dual_sub_f32 v6, v4, v2 :: v_dual_sub_f32 v8, v4, v3
	v_mov_b64_e32 v[40:41], v[2:3]
	s_delay_alu instid0(VALU_DEP_3) | instskip(NEXT) | instid1(VALU_DEP_3)
	v_mul_f32_e32 v4, 0x3fb8aa3b, v5
	v_dual_mul_f32 v10, 0x3fb8aa3b, v7 :: v_dual_mul_f32 v9, 0x3fb8aa3b, v6
	s_delay_alu instid0(VALU_DEP_4) | instskip(SKIP_1) | instid1(VALU_DEP_4)
	v_mul_f32_e32 v11, 0x3fb8aa3b, v8
	v_cmp_ngt_f32_e32 vcc_lo, 0xc2ce8ed0, v5
	v_fma_f32 v12, 0x3fb8aa3b, v5, -v4
	v_rndne_f32_e32 v13, v4
	v_fma_f32 v14, 0x3fb8aa3b, v6, -v9
	v_rndne_f32_e32 v15, v9
	;; [unrolled: 2-line block ×3, first 2 shown]
	v_fmac_f32_e32 v12, 0x32a5705f, v5
	v_rndne_f32_e32 v19, v11
	v_dual_fmac_f32 v14, 0x32a5705f, v6 :: v_dual_sub_f32 v9, v9, v15
	v_fma_f32 v18, 0x3fb8aa3b, v8, -v11
	s_delay_alu instid0(VALU_DEP_3) | instskip(NEXT) | instid1(VALU_DEP_3)
	v_dual_sub_f32 v10, v10, v17 :: v_dual_sub_f32 v11, v11, v19
	v_dual_fmac_f32 v16, 0x32a5705f, v7 :: v_dual_add_f32 v9, v9, v14
	v_sub_f32_e32 v4, v4, v13
	v_cvt_i32_f32_e32 v13, v13
	v_cvt_i32_f32_e32 v14, v19
	s_delay_alu instid0(VALU_DEP_4)
	v_add_f32_e32 v10, v10, v16
	v_exp_f32_e32 v9, v9
	v_add_f32_e32 v4, v4, v12
	v_cvt_i32_f32_e32 v12, v15
	v_cvt_i32_f32_e32 v15, v17
	v_exp_f32_e32 v10, v10
	s_delay_alu instid0(VALU_DEP_3) | instskip(NEXT) | instid1(TRANS32_DEP_2)
	v_exp_f32_e32 v4, v4
	v_ldexp_f32 v10, v10, v15
	s_delay_alu instid0(TRANS32_DEP_1) | instskip(NEXT) | instid1(VALU_DEP_1)
	v_ldexp_f32 v4, v4, v13
	v_cndmask_b32_e32 v4, 0, v4, vcc_lo
	v_cmp_ngt_f32_e32 vcc_lo, 0xc2ce8ed0, v7
	s_delay_alu instid0(VALU_DEP_4) | instskip(SKIP_1) | instid1(VALU_DEP_4)
	v_cndmask_b32_e32 v10, 0, v10, vcc_lo
	v_cmp_nlt_f32_e32 vcc_lo, 0x42b17218, v5
	v_cndmask_b32_e32 v4, 0x7f800000, v4, vcc_lo
	v_cmp_nlt_f32_e32 vcc_lo, 0x42b17218, v7
	v_ldexp_f32 v7, v9, v12
	v_cndmask_b32_e32 v5, 0x7f800000, v10, vcc_lo
	v_cmp_ngt_f32_e32 vcc_lo, 0xc2ce8ed0, v6
	v_fmac_f32_e32 v18, 0x32a5705f, v8
	v_cvt_f16_f32_e32 v10, v4
	v_cndmask_b32_e32 v7, 0, v7, vcc_lo
	v_cmp_ngt_f32_e32 vcc_lo, 0xc2ce8ed0, v8
	s_delay_alu instid0(VALU_DEP_4) | instskip(NEXT) | instid1(VALU_DEP_4)
	v_add_f32_e32 v11, v11, v18
	v_and_b32_e32 v10, 0xffff, v10
	s_delay_alu instid0(VALU_DEP_2) | instskip(SKIP_1) | instid1(TRANS32_DEP_1)
	v_exp_f32_e32 v11, v11
	v_nop
	v_ldexp_f32 v9, v11, v14
	v_cvt_f16_f32_e32 v11, v5
	s_delay_alu instid0(VALU_DEP_2) | instskip(SKIP_1) | instid1(VALU_DEP_3)
	v_cndmask_b32_e32 v9, 0, v9, vcc_lo
	v_cmp_nlt_f32_e32 vcc_lo, 0x42b17218, v6
	v_and_b32_e32 v11, 0xffff, v11
	v_cndmask_b32_e32 v6, 0x7f800000, v7, vcc_lo
	v_cmp_nlt_f32_e32 vcc_lo, 0x42b17218, v8
	v_mul_u32_u24_e32 v8, 0x10001, v10
	v_cndmask_b32_e32 v7, 0x7f800000, v9, vcc_lo
	v_mul_u32_u24_e32 v9, 0x10001, v11
	s_delay_alu instid0(VALU_DEP_3) | instskip(NEXT) | instid1(VALU_DEP_3)
	v_pk_mul_f16 v87, v87, v8
	v_pk_fma_f32 v[0:1], v[0:1], v[4:5], v[6:7]
	s_delay_alu instid0(VALU_DEP_3)
	v_pk_mul_f16 v86, v86, v9
.LBB62_73:
	s_mov_b32 s2, exec_lo
	v_cmpx_gt_i32_e64 s38, v97
	s_cbranch_execz .LBB62_83
; %bb.74:
	s_load_b32 s0, s[0:1], 0xd4
	v_mov_b32_e32 v2, 1.0
	s_wait_kmcnt 0x0
	s_cmp_lg_u32 s0, 1
	s_cselect_b32 s3, -1, 0
	s_cmp_eq_u32 s0, 1
	s_cselect_b32 s1, -1, 0
	s_and_b32 vcc_lo, exec_lo, s3
	s_cbranch_vccnz .LBB62_76
; %bb.75:
	v_div_scale_f32 v2, null, v0, v0, 1.0
	s_delay_alu instid0(VALU_DEP_1) | instskip(SKIP_1) | instid1(TRANS32_DEP_1)
	v_rcp_f32_e32 v3, v2
	v_nop
	v_fma_f32 v4, -v2, v3, 1.0
	s_delay_alu instid0(VALU_DEP_1) | instskip(SKIP_1) | instid1(VALU_DEP_1)
	v_fmac_f32_e32 v3, v4, v3
	v_div_scale_f32 v4, vcc_lo, 1.0, v0, 1.0
	v_mul_f32_e32 v5, v4, v3
	s_delay_alu instid0(VALU_DEP_1) | instskip(NEXT) | instid1(VALU_DEP_1)
	v_fma_f32 v6, -v2, v5, v4
	v_fmac_f32_e32 v5, v6, v3
	s_delay_alu instid0(VALU_DEP_1) | instskip(NEXT) | instid1(VALU_DEP_1)
	v_fma_f32 v2, -v2, v5, v4
	v_div_fmas_f32 v2, v2, v3, v5
	s_delay_alu instid0(VALU_DEP_1)
	v_div_fixup_f32 v2, v2, v0, 1.0
.LBB62_76:
	s_mul_i32 s2, s34, s38
	v_lshrrev_b32_e32 v7, 16, v87
	s_add_co_i32 s2, s2, s40
	v_cvt_f32_f16_e32 v6, v87
	v_dual_add_nc_u32 v3, s2, v95 :: v_dual_mov_b32 v5, 0
	s_delay_alu instid0(VALU_DEP_3) | instskip(SKIP_1) | instid1(VALU_DEP_3)
	v_cvt_f32_f16_e32 v7, v7
	v_cmp_eq_u32_e32 vcc_lo, 0, v32
	v_mad_u32 v3, v3, s39, s33
	s_and_b32 s3, vcc_lo, s3
	s_delay_alu instid0(VALU_DEP_1) | instskip(NEXT) | instid1(VALU_DEP_1)
	v_mad_u32 v3, s0, v3, s35
	v_lshl_add_u32 v4, v3, 6, v92
	v_pk_mul_f32 v[6:7], v[2:3], v[6:7] op_sel_hi:[0,1]
	s_delay_alu instid0(VALU_DEP_2)
	v_lshl_add_u64 v[4:5], v[4:5], 2, s[28:29]
	global_store_b64 v[4:5], v[6:7], off
	s_wait_xcnt 0x0
	s_and_saveexec_b32 s4, s3
	s_cbranch_execz .LBB62_78
; %bb.77:
	v_dual_mov_b32 v4, v40 :: v_dual_mov_b32 v5, v0
	global_store_b64 v3, v[4:5], s[30:31] scale_offset
.LBB62_78:
	s_wait_xcnt 0x0
	s_or_b32 exec_lo, exec_lo, s4
	v_cmp_gt_i32_e32 vcc_lo, s38, v96
	s_and_b32 exec_lo, exec_lo, vcc_lo
	s_cbranch_execz .LBB62_83
; %bb.79:
	v_mov_b32_e32 v0, 1.0
	s_and_not1_b32 vcc_lo, exec_lo, s1
	s_cbranch_vccnz .LBB62_81
; %bb.80:
	v_div_scale_f32 v0, null, v1, v1, 1.0
	s_delay_alu instid0(VALU_DEP_1) | instskip(SKIP_1) | instid1(TRANS32_DEP_1)
	v_rcp_f32_e32 v2, v0
	v_nop
	v_fma_f32 v3, -v0, v2, 1.0
	s_delay_alu instid0(VALU_DEP_1) | instskip(SKIP_1) | instid1(VALU_DEP_1)
	v_fmac_f32_e32 v2, v3, v2
	v_div_scale_f32 v3, vcc_lo, 1.0, v1, 1.0
	v_mul_f32_e32 v4, v3, v2
	s_delay_alu instid0(VALU_DEP_1) | instskip(NEXT) | instid1(VALU_DEP_1)
	v_fma_f32 v5, -v0, v4, v3
	v_fmac_f32_e32 v4, v5, v2
	s_delay_alu instid0(VALU_DEP_1) | instskip(NEXT) | instid1(VALU_DEP_1)
	v_fma_f32 v0, -v0, v4, v3
	v_div_fmas_f32 v0, v0, v2, v4
	s_delay_alu instid0(VALU_DEP_1)
	v_div_fixup_f32 v0, v0, v1, 1.0
.LBB62_81:
	v_dual_mov_b32 v5, 0 :: v_dual_add_nc_u32 v2, s2, v94
	v_lshrrev_b32_e32 v3, 16, v86
	v_cvt_f32_f16_e32 v6, v86
	s_delay_alu instid0(VALU_DEP_3) | instskip(NEXT) | instid1(VALU_DEP_3)
	v_mad_u32 v2, v2, s39, s33
	v_cvt_f32_f16_e32 v7, v3
	s_delay_alu instid0(VALU_DEP_1) | instskip(NEXT) | instid1(VALU_DEP_3)
	v_pk_mul_f32 v[6:7], v[0:1], v[6:7] op_sel_hi:[0,1]
	v_mad_u32 v2, s0, v2, s35
	s_delay_alu instid0(VALU_DEP_1) | instskip(NEXT) | instid1(VALU_DEP_1)
	v_lshl_add_u32 v4, v2, 6, v92
	v_lshl_add_u64 v[4:5], v[4:5], 2, s[28:29]
	global_store_b64 v[4:5], v[6:7], off
	s_wait_xcnt 0x0
	s_and_b32 exec_lo, exec_lo, s3
	s_cbranch_execz .LBB62_83
; %bb.82:
	v_mov_b32_e32 v0, v41
	global_store_b64 v2, v[0:1], s[30:31] scale_offset
.LBB62_83:
	s_sendmsg sendmsg(MSG_DEALLOC_VGPRS)
	s_endpgm
	.section	.rodata,"a",@progbits
	.p2align	6, 0x0
	.amdhsa_kernel _ZL15flash_attn_tileILi64ELi64ELi8ELi1ELb0EEvPKcS1_S1_S1_S1_PKiPfP15HIP_vector_typeIfLj2EEffffjfiS5_IjLj3EEiiiiiiiiiiiliiliiiiil
		.amdhsa_group_segment_fixed_size 21504
		.amdhsa_private_segment_fixed_size 32
		.amdhsa_kernarg_size 464
		.amdhsa_user_sgpr_count 2
		.amdhsa_user_sgpr_dispatch_ptr 0
		.amdhsa_user_sgpr_queue_ptr 0
		.amdhsa_user_sgpr_kernarg_segment_ptr 1
		.amdhsa_user_sgpr_dispatch_id 0
		.amdhsa_user_sgpr_kernarg_preload_length 0
		.amdhsa_user_sgpr_kernarg_preload_offset 0
		.amdhsa_user_sgpr_private_segment_size 0
		.amdhsa_wavefront_size32 1
		.amdhsa_uses_dynamic_stack 0
		.amdhsa_enable_private_segment 1
		.amdhsa_system_sgpr_workgroup_id_x 1
		.amdhsa_system_sgpr_workgroup_id_y 1
		.amdhsa_system_sgpr_workgroup_id_z 1
		.amdhsa_system_sgpr_workgroup_info 0
		.amdhsa_system_vgpr_workitem_id 1
		.amdhsa_next_free_vgpr 180
		.amdhsa_next_free_sgpr 47
		.amdhsa_named_barrier_count 0
		.amdhsa_reserve_vcc 1
		.amdhsa_float_round_mode_32 0
		.amdhsa_float_round_mode_16_64 0
		.amdhsa_float_denorm_mode_32 3
		.amdhsa_float_denorm_mode_16_64 3
		.amdhsa_fp16_overflow 0
		.amdhsa_memory_ordered 1
		.amdhsa_forward_progress 1
		.amdhsa_inst_pref_size 213
		.amdhsa_round_robin_scheduling 0
		.amdhsa_exception_fp_ieee_invalid_op 0
		.amdhsa_exception_fp_denorm_src 0
		.amdhsa_exception_fp_ieee_div_zero 0
		.amdhsa_exception_fp_ieee_overflow 0
		.amdhsa_exception_fp_ieee_underflow 0
		.amdhsa_exception_fp_ieee_inexact 0
		.amdhsa_exception_int_div_zero 0
	.end_amdhsa_kernel
	.section	.text._ZL15flash_attn_tileILi64ELi64ELi8ELi1ELb0EEvPKcS1_S1_S1_S1_PKiPfP15HIP_vector_typeIfLj2EEffffjfiS5_IjLj3EEiiiiiiiiiiiliiliiiiil,"axG",@progbits,_ZL15flash_attn_tileILi64ELi64ELi8ELi1ELb0EEvPKcS1_S1_S1_S1_PKiPfP15HIP_vector_typeIfLj2EEffffjfiS5_IjLj3EEiiiiiiiiiiiliiliiiiil,comdat
.Lfunc_end62:
	.size	_ZL15flash_attn_tileILi64ELi64ELi8ELi1ELb0EEvPKcS1_S1_S1_S1_PKiPfP15HIP_vector_typeIfLj2EEffffjfiS5_IjLj3EEiiiiiiiiiiiliiliiiiil, .Lfunc_end62-_ZL15flash_attn_tileILi64ELi64ELi8ELi1ELb0EEvPKcS1_S1_S1_S1_PKiPfP15HIP_vector_typeIfLj2EEffffjfiS5_IjLj3EEiiiiiiiiiiiliiliiiiil
                                        ; -- End function
	.set _ZL15flash_attn_tileILi64ELi64ELi8ELi1ELb0EEvPKcS1_S1_S1_S1_PKiPfP15HIP_vector_typeIfLj2EEffffjfiS5_IjLj3EEiiiiiiiiiiiliiliiiiil.num_vgpr, 180
	.set _ZL15flash_attn_tileILi64ELi64ELi8ELi1ELb0EEvPKcS1_S1_S1_S1_PKiPfP15HIP_vector_typeIfLj2EEffffjfiS5_IjLj3EEiiiiiiiiiiiliiliiiiil.num_agpr, 0
	.set _ZL15flash_attn_tileILi64ELi64ELi8ELi1ELb0EEvPKcS1_S1_S1_S1_PKiPfP15HIP_vector_typeIfLj2EEffffjfiS5_IjLj3EEiiiiiiiiiiiliiliiiiil.numbered_sgpr, 47
	.set _ZL15flash_attn_tileILi64ELi64ELi8ELi1ELb0EEvPKcS1_S1_S1_S1_PKiPfP15HIP_vector_typeIfLj2EEffffjfiS5_IjLj3EEiiiiiiiiiiiliiliiiiil.num_named_barrier, 0
	.set _ZL15flash_attn_tileILi64ELi64ELi8ELi1ELb0EEvPKcS1_S1_S1_S1_PKiPfP15HIP_vector_typeIfLj2EEffffjfiS5_IjLj3EEiiiiiiiiiiiliiliiiiil.private_seg_size, 32
	.set _ZL15flash_attn_tileILi64ELi64ELi8ELi1ELb0EEvPKcS1_S1_S1_S1_PKiPfP15HIP_vector_typeIfLj2EEffffjfiS5_IjLj3EEiiiiiiiiiiiliiliiiiil.uses_vcc, 1
	.set _ZL15flash_attn_tileILi64ELi64ELi8ELi1ELb0EEvPKcS1_S1_S1_S1_PKiPfP15HIP_vector_typeIfLj2EEffffjfiS5_IjLj3EEiiiiiiiiiiiliiliiiiil.uses_flat_scratch, 1
	.set _ZL15flash_attn_tileILi64ELi64ELi8ELi1ELb0EEvPKcS1_S1_S1_S1_PKiPfP15HIP_vector_typeIfLj2EEffffjfiS5_IjLj3EEiiiiiiiiiiiliiliiiiil.has_dyn_sized_stack, 0
	.set _ZL15flash_attn_tileILi64ELi64ELi8ELi1ELb0EEvPKcS1_S1_S1_S1_PKiPfP15HIP_vector_typeIfLj2EEffffjfiS5_IjLj3EEiiiiiiiiiiiliiliiiiil.has_recursion, 0
	.set _ZL15flash_attn_tileILi64ELi64ELi8ELi1ELb0EEvPKcS1_S1_S1_S1_PKiPfP15HIP_vector_typeIfLj2EEffffjfiS5_IjLj3EEiiiiiiiiiiiliiliiiiil.has_indirect_call, 0
	.section	.AMDGPU.csdata,"",@progbits
; Kernel info:
; codeLenInByte = 27140
; TotalNumSgprs: 49
; NumVgprs: 180
; ScratchSize: 32
; MemoryBound: 0
; FloatMode: 240
; IeeeMode: 1
; LDSByteSize: 21504 bytes/workgroup (compile time only)
; SGPRBlocks: 0
; VGPRBlocks: 11
; NumSGPRsForWavesPerEU: 49
; NumVGPRsForWavesPerEU: 180
; NamedBarCnt: 0
; Occupancy: 5
; WaveLimiterHint : 1
; COMPUTE_PGM_RSRC2:SCRATCH_EN: 1
; COMPUTE_PGM_RSRC2:USER_SGPR: 2
; COMPUTE_PGM_RSRC2:TRAP_HANDLER: 0
; COMPUTE_PGM_RSRC2:TGID_X_EN: 1
; COMPUTE_PGM_RSRC2:TGID_Y_EN: 1
; COMPUTE_PGM_RSRC2:TGID_Z_EN: 1
; COMPUTE_PGM_RSRC2:TIDIG_COMP_CNT: 1
	.section	.text._ZL33flash_attn_stream_k_fixup_uniformILi64ELi8ELi1EEvPfPK15HIP_vector_typeIfLj2EEiiiiiiS1_IjLj3EES5_S5_,"axG",@progbits,_ZL33flash_attn_stream_k_fixup_uniformILi64ELi8ELi1EEvPfPK15HIP_vector_typeIfLj2EEiiiiiiS1_IjLj3EES5_S5_,comdat
	.globl	_ZL33flash_attn_stream_k_fixup_uniformILi64ELi8ELi1EEvPfPK15HIP_vector_typeIfLj2EEiiiiiiS1_IjLj3EES5_S5_ ; -- Begin function _ZL33flash_attn_stream_k_fixup_uniformILi64ELi8ELi1EEvPfPK15HIP_vector_typeIfLj2EEiiiiiiS1_IjLj3EES5_S5_
	.p2align	8
	.type	_ZL33flash_attn_stream_k_fixup_uniformILi64ELi8ELi1EEvPfPK15HIP_vector_typeIfLj2EEiiiiiiS1_IjLj3EES5_S5_,@function
_ZL33flash_attn_stream_k_fixup_uniformILi64ELi8ELi1EEvPfPK15HIP_vector_typeIfLj2EEiiiiiiS1_IjLj3EES5_S5_: ; @_ZL33flash_attn_stream_k_fixup_uniformILi64ELi8ELi1EEvPfPK15HIP_vector_typeIfLj2EEiiiiiiS1_IjLj3EES5_S5_
; %bb.0:
	s_load_b256 s[4:11], s[0:1], 0x1c
	s_bfe_u32 s2, ttmp6, 0x40014
	s_lshr_b32 s3, ttmp7, 16
	s_add_co_i32 s2, s2, 1
	s_bfe_u32 s13, ttmp6, 0x40010
	s_mul_i32 s2, s3, s2
	s_bfe_u32 s12, ttmp6, 0x40008
	s_and_b32 s14, ttmp7, 0xffff
	s_add_co_i32 s13, s13, 1
	s_bfe_u32 s15, ttmp6, 0x4000c
	s_add_co_i32 s2, s12, s2
	s_mul_i32 s12, s14, s13
	s_bfe_u32 s13, ttmp6, 0x40004
	s_add_co_i32 s15, s15, 1
	s_add_co_i32 s13, s13, s12
	s_and_b32 s12, ttmp6, 15
	s_mul_i32 s15, ttmp9, s15
	s_getreg_b32 s20, hwreg(HW_REG_IB_STS2, 6, 4)
	s_add_co_i32 s12, s12, s15
	s_load_b128 s[16:19], s[0:1], 0x3c
	s_cmp_eq_u32 s20, 0
	s_cselect_b32 s12, ttmp9, s12
	s_cselect_b32 s13, s14, s13
	s_wait_kmcnt 0x0
	s_mul_hi_u32 s7, s7, s12
	s_cselect_b32 s14, s3, s2
	s_add_co_i32 s2, s12, s7
	s_delay_alu instid0(SALU_CYCLE_1) | instskip(NEXT) | instid1(SALU_CYCLE_1)
	s_lshr_b32 s7, s2, s8
	s_mul_i32 s2, s7, s9
	s_delay_alu instid0(SALU_CYCLE_1) | instskip(NEXT) | instid1(SALU_CYCLE_1)
	s_sub_co_i32 s8, s12, s2
	s_mul_hi_u32 s2, s8, s10
	s_delay_alu instid0(SALU_CYCLE_1) | instskip(SKIP_2) | instid1(SALU_CYCLE_1)
	s_add_co_i32 s9, s8, s2
	s_load_b64 s[2:3], s[0:1], 0x10
	s_lshr_b32 s15, s9, s11
	s_mul_i32 s9, s15, s16
	s_delay_alu instid0(SALU_CYCLE_1) | instskip(NEXT) | instid1(SALU_CYCLE_1)
	s_sub_co_i32 s8, s8, s9
	s_mul_hi_u32 s9, s8, s17
	s_delay_alu instid0(SALU_CYCLE_1) | instskip(NEXT) | instid1(SALU_CYCLE_1)
	s_add_co_i32 s9, s8, s9
	s_lshr_b32 s16, s9, s18
	s_delay_alu instid0(SALU_CYCLE_1) | instskip(NEXT) | instid1(SALU_CYCLE_1)
	s_mul_i32 s9, s16, s19
	s_sub_co_i32 s17, s8, s9
	s_delay_alu instid0(SALU_CYCLE_1) | instskip(NEXT) | instid1(SALU_CYCLE_1)
	s_lshl_b32 s8, s17, 3
	s_add_co_i32 s8, s8, s13
	s_wait_kmcnt 0x0
	s_cmp_lt_i32 s8, s2
	s_cselect_b32 s8, -1, 0
	s_add_co_i32 s9, s16, s14
	s_delay_alu instid0(SALU_CYCLE_1) | instskip(SKIP_1) | instid1(SALU_CYCLE_1)
	s_cmp_lt_i32 s9, s5
	s_cselect_b32 s9, -1, 0
	s_and_b32 s8, s8, s9
	s_delay_alu instid0(SALU_CYCLE_1)
	s_and_not1_b32 vcc_lo, exec_lo, s8
	s_cbranch_vccnz .LBB63_6
; %bb.1:
	s_mul_i32 s2, s7, s2
	s_load_b128 s[8:11], s[0:1], 0x0
	s_wait_xcnt 0x0
	s_add_co_i32 s0, s2, s13
	s_mul_i32 s15, s15, s5
	s_mul_i32 s0, s0, s3
	;; [unrolled: 1-line block ×3, first 2 shown]
	s_add_co_i32 s0, s0, s14
	s_lshl_b32 s1, s1, 9
	s_add_co_i32 s0, s0, s15
	s_mul_i32 s7, s6, s12
	s_add_co_i32 s0, s0, s16
	s_add_co_i32 s5, s7, s6
	s_lshl_b32 s0, s0, 6
	s_add_co_i32 s13, s13, s14
	s_add_co_i32 s1, s1, s0
	s_lshl_b32 s0, s5, 3
	v_or_b32_e32 v4, s1, v0
	s_add_co_i32 s0, s13, s0
	s_add_co_i32 s2, s5, -2
	s_add_co_i32 s0, s0, -8
	s_delay_alu instid0(SALU_CYCLE_1)
	s_ashr_i32 s1, s0, 31
	s_wait_kmcnt 0x0
	global_load_b32 v3, v4, s[8:9] scale_offset
	s_lshl_b64 s[0:1], s[0:1], 3
	v_ashrrev_i32_e32 v5, 31, v4
	s_add_nc_u64 s[0:1], s[10:11], s[0:1]
	s_cmp_lt_i32 s2, s7
	s_load_b32 s14, s[0:1], 0x4
	s_cbranch_scc1 .LBB63_4
; %bb.2:
	s_wait_xcnt 0x0
	s_load_b32 s0, s[0:1], 0x0
	s_add_co_i32 s12, s12, 1
	s_lshl_b32 s3, s13, 6
	s_wait_xcnt 0x0
	s_mul_i32 s1, s6, s12
	s_lshl_b32 s2, s4, 5
	s_lshl_b32 s6, s1, 9
	;; [unrolled: 1-line block ×3, first 2 shown]
	s_add_co_i32 s6, s3, s6
	s_ashr_i32 s3, s2, 31
	s_wait_kmcnt 0x0
	v_dual_mov_b32 v2, s14 :: v_dual_bitop2_b32 v0, s6, v0 bitop3:0x54
	s_add_co_i32 s1, s13, s1
	s_lshl_b32 s4, s4, 3
	s_lshl_b64 s[2:3], s[2:3], 2
	s_delay_alu instid0(VALU_DEP_1)
	v_add_nc_u32_e32 v0, 0xfffffc00, v0
	s_add_co_i32 s4, s1, s4
	s_add_nc_u64 s[2:3], s[10:11], s[2:3]
	s_add_co_i32 s1, s5, -1
	s_add_co_i32 s4, s4, -16
.LBB63_3:                               ; =>This Inner Loop Header: Depth=1
	global_load_b32 v7, v0, s[2:3] scale_offset
	s_ashr_i32 s5, s4, 31
	v_max_num_f32_e64 v1, s0, s0
	s_lshl_b64 s[12:13], s[4:5], 3
	s_delay_alu instid0(SALU_CYCLE_1) | instskip(SKIP_1) | instid1(VALU_DEP_1)
	s_add_nc_u64 s[12:13], s[10:11], s[12:13]
	s_load_b64 s[12:13], s[12:13], 0x0
	v_readfirstlane_b32 s5, v1
	v_add_nc_u32_e32 v0, 0xfffffe00, v0
	s_wait_kmcnt 0x0
	v_max_num_f32_e64 v1, s12, s12
	s_delay_alu instid0(VALU_DEP_1) | instskip(SKIP_1) | instid1(SALU_CYCLE_3)
	v_readfirstlane_b32 s6, v1
	s_max_num_f32 s5, s5, s6
	s_sub_f32 s0, s0, s5
	s_sub_f32 s6, s12, s5
	s_delay_alu instid0(SALU_CYCLE_2) | instskip(NEXT) | instid1(SALU_CYCLE_2)
	s_mul_f32 s12, s0, 0x3fb8aa3b
	s_mul_f32 s14, s6, 0x3fb8aa3b
	s_delay_alu instid0(SALU_CYCLE_2)
	s_xor_b32 s15, s12, 0x80000000
	s_rndne_f32 s16, s12
	s_fmamk_f32 s15, s0, 0x3fb8aa3b, s15
	s_cmp_nlt_f32 s0, 0xc2ce8ed0
	s_rndne_f32 s17, s14
	s_sub_f32 s12, s12, s16
	s_fmamk_f32 s15, s0, 0x32a5705f, s15
	s_cselect_b32 vcc_lo, -1, 0
	s_cmp_ngt_f32 s0, 0x42b17218
	s_delay_alu instid0(SALU_CYCLE_1) | instskip(SKIP_2) | instid1(SALU_CYCLE_1)
	s_add_f32 s12, s12, s15
	s_cvt_i32_f32 s15, s16
	s_sub_f32 s16, s14, s17
	v_s_exp_f32 s12, s12
	v_nop
	s_delay_alu instid0(TRANS32_DEP_1) | instskip(SKIP_1) | instid1(VALU_DEP_1)
	v_ldexp_f32 v1, s12, s15
	s_cvt_i32_f32 s12, s17
	v_cndmask_b32_e32 v1, 0, v1, vcc_lo
	s_cselect_b32 vcc_lo, -1, 0
	s_cmp_ge_f32 s0, 0xc1a00000
	s_delay_alu instid0(VALU_DEP_1)
	v_cndmask_b32_e32 v1, 0x7f800000, v1, vcc_lo
	s_cselect_b32 vcc_lo, -1, 0
	s_xor_b32 s0, s14, 0x80000000
	s_cmp_nlt_f32 s6, 0xc2ce8ed0
	s_fmamk_f32 s0, s6, 0x3fb8aa3b, s0
	v_cndmask_b32_e32 v10, 0, v1, vcc_lo
	s_delay_alu instid0(SALU_CYCLE_2) | instskip(NEXT) | instid1(SALU_CYCLE_3)
	s_fmamk_f32 s0, s6, 0x32a5705f, s0
	s_add_f32 s0, s16, s0
	s_delay_alu instid0(SALU_CYCLE_3) | instskip(SKIP_1) | instid1(TRANS32_DEP_1)
	v_s_exp_f32 s0, s0
	v_nop
	v_ldexp_f32 v6, s0, s12
	s_cselect_b32 s0, -1, 0
	s_cmp_ngt_f32 s6, 0x42b17218
	s_delay_alu instid0(VALU_DEP_1) | instskip(SKIP_2) | instid1(VALU_DEP_1)
	v_cndmask_b32_e64 v6, 0, v6, s0
	s_cselect_b32 s0, -1, 0
	s_cmp_ge_f32 s6, 0xc1a00000
	v_cndmask_b32_e64 v8, 0x7f800000, v6, s0
	s_cselect_b32 s0, -1, 0
	v_mov_b32_e32 v6, s13
	s_add_co_i32 s1, s1, -1
	s_add_co_i32 s4, s4, -8
	v_cndmask_b32_e64 v8, 0, v8, s0
	s_cmp_le_i32 s1, s7
	s_mov_b32 s0, s5
	s_wait_loadcnt 0x0
	s_delay_alu instid0(VALU_DEP_1) | instskip(NEXT) | instid1(VALU_DEP_1)
	v_pk_mul_f32 v[6:7], v[6:7], v[8:9] op_sel_hi:[1,0]
	v_pk_fma_f32 v[2:3], v[2:3], v[10:11], v[6:7] op_sel_hi:[1,0,1]
	s_cbranch_scc0 .LBB63_3
	s_branch .LBB63_5
.LBB63_4:
	s_wait_kmcnt 0x0
	v_mov_b32_e32 v2, s14
.LBB63_5:
	v_lshl_add_u64 v[0:1], v[4:5], 2, s[8:9]
	s_wait_loadcnt 0x0
	s_delay_alu instid0(VALU_DEP_2) | instskip(NEXT) | instid1(VALU_DEP_1)
	v_div_scale_f32 v4, null, v2, v2, v3
	v_rcp_f32_e32 v5, v4
	v_nop
	s_delay_alu instid0(TRANS32_DEP_1) | instskip(NEXT) | instid1(VALU_DEP_1)
	v_fma_f32 v6, -v4, v5, 1.0
	v_fmac_f32_e32 v5, v6, v5
	v_div_scale_f32 v6, vcc_lo, v3, v2, v3
	s_delay_alu instid0(VALU_DEP_1) | instskip(NEXT) | instid1(VALU_DEP_1)
	v_mul_f32_e32 v7, v6, v5
	v_fma_f32 v8, -v4, v7, v6
	s_delay_alu instid0(VALU_DEP_1) | instskip(NEXT) | instid1(VALU_DEP_1)
	v_fmac_f32_e32 v7, v8, v5
	v_fma_f32 v4, -v4, v7, v6
	s_delay_alu instid0(VALU_DEP_1) | instskip(NEXT) | instid1(VALU_DEP_1)
	v_div_fmas_f32 v4, v4, v5, v7
	v_div_fixup_f32 v2, v4, v2, v3
	global_store_b32 v[0:1], v2, off
.LBB63_6:
	s_endpgm
	.section	.rodata,"a",@progbits
	.p2align	6, 0x0
	.amdhsa_kernel _ZL33flash_attn_stream_k_fixup_uniformILi64ELi8ELi1EEvPfPK15HIP_vector_typeIfLj2EEiiiiiiS1_IjLj3EES5_S5_
		.amdhsa_group_segment_fixed_size 0
		.amdhsa_private_segment_fixed_size 0
		.amdhsa_kernarg_size 76
		.amdhsa_user_sgpr_count 2
		.amdhsa_user_sgpr_dispatch_ptr 0
		.amdhsa_user_sgpr_queue_ptr 0
		.amdhsa_user_sgpr_kernarg_segment_ptr 1
		.amdhsa_user_sgpr_dispatch_id 0
		.amdhsa_user_sgpr_kernarg_preload_length 0
		.amdhsa_user_sgpr_kernarg_preload_offset 0
		.amdhsa_user_sgpr_private_segment_size 0
		.amdhsa_wavefront_size32 1
		.amdhsa_uses_dynamic_stack 0
		.amdhsa_enable_private_segment 0
		.amdhsa_system_sgpr_workgroup_id_x 1
		.amdhsa_system_sgpr_workgroup_id_y 1
		.amdhsa_system_sgpr_workgroup_id_z 1
		.amdhsa_system_sgpr_workgroup_info 0
		.amdhsa_system_vgpr_workitem_id 0
		.amdhsa_next_free_vgpr 12
		.amdhsa_next_free_sgpr 21
		.amdhsa_named_barrier_count 0
		.amdhsa_reserve_vcc 1
		.amdhsa_float_round_mode_32 0
		.amdhsa_float_round_mode_16_64 0
		.amdhsa_float_denorm_mode_32 3
		.amdhsa_float_denorm_mode_16_64 3
		.amdhsa_fp16_overflow 0
		.amdhsa_memory_ordered 1
		.amdhsa_forward_progress 1
		.amdhsa_inst_pref_size 9
		.amdhsa_round_robin_scheduling 0
		.amdhsa_exception_fp_ieee_invalid_op 0
		.amdhsa_exception_fp_denorm_src 0
		.amdhsa_exception_fp_ieee_div_zero 0
		.amdhsa_exception_fp_ieee_overflow 0
		.amdhsa_exception_fp_ieee_underflow 0
		.amdhsa_exception_fp_ieee_inexact 0
		.amdhsa_exception_int_div_zero 0
	.end_amdhsa_kernel
	.section	.text._ZL33flash_attn_stream_k_fixup_uniformILi64ELi8ELi1EEvPfPK15HIP_vector_typeIfLj2EEiiiiiiS1_IjLj3EES5_S5_,"axG",@progbits,_ZL33flash_attn_stream_k_fixup_uniformILi64ELi8ELi1EEvPfPK15HIP_vector_typeIfLj2EEiiiiiiS1_IjLj3EES5_S5_,comdat
.Lfunc_end63:
	.size	_ZL33flash_attn_stream_k_fixup_uniformILi64ELi8ELi1EEvPfPK15HIP_vector_typeIfLj2EEiiiiiiS1_IjLj3EES5_S5_, .Lfunc_end63-_ZL33flash_attn_stream_k_fixup_uniformILi64ELi8ELi1EEvPfPK15HIP_vector_typeIfLj2EEiiiiiiS1_IjLj3EES5_S5_
                                        ; -- End function
	.set _ZL33flash_attn_stream_k_fixup_uniformILi64ELi8ELi1EEvPfPK15HIP_vector_typeIfLj2EEiiiiiiS1_IjLj3EES5_S5_.num_vgpr, 12
	.set _ZL33flash_attn_stream_k_fixup_uniformILi64ELi8ELi1EEvPfPK15HIP_vector_typeIfLj2EEiiiiiiS1_IjLj3EES5_S5_.num_agpr, 0
	.set _ZL33flash_attn_stream_k_fixup_uniformILi64ELi8ELi1EEvPfPK15HIP_vector_typeIfLj2EEiiiiiiS1_IjLj3EES5_S5_.numbered_sgpr, 21
	.set _ZL33flash_attn_stream_k_fixup_uniformILi64ELi8ELi1EEvPfPK15HIP_vector_typeIfLj2EEiiiiiiS1_IjLj3EES5_S5_.num_named_barrier, 0
	.set _ZL33flash_attn_stream_k_fixup_uniformILi64ELi8ELi1EEvPfPK15HIP_vector_typeIfLj2EEiiiiiiS1_IjLj3EES5_S5_.private_seg_size, 0
	.set _ZL33flash_attn_stream_k_fixup_uniformILi64ELi8ELi1EEvPfPK15HIP_vector_typeIfLj2EEiiiiiiS1_IjLj3EES5_S5_.uses_vcc, 1
	.set _ZL33flash_attn_stream_k_fixup_uniformILi64ELi8ELi1EEvPfPK15HIP_vector_typeIfLj2EEiiiiiiS1_IjLj3EES5_S5_.uses_flat_scratch, 0
	.set _ZL33flash_attn_stream_k_fixup_uniformILi64ELi8ELi1EEvPfPK15HIP_vector_typeIfLj2EEiiiiiiS1_IjLj3EES5_S5_.has_dyn_sized_stack, 0
	.set _ZL33flash_attn_stream_k_fixup_uniformILi64ELi8ELi1EEvPfPK15HIP_vector_typeIfLj2EEiiiiiiS1_IjLj3EES5_S5_.has_recursion, 0
	.set _ZL33flash_attn_stream_k_fixup_uniformILi64ELi8ELi1EEvPfPK15HIP_vector_typeIfLj2EEiiiiiiS1_IjLj3EES5_S5_.has_indirect_call, 0
	.section	.AMDGPU.csdata,"",@progbits
; Kernel info:
; codeLenInByte = 1080
; TotalNumSgprs: 23
; NumVgprs: 12
; ScratchSize: 0
; MemoryBound: 0
; FloatMode: 240
; IeeeMode: 1
; LDSByteSize: 0 bytes/workgroup (compile time only)
; SGPRBlocks: 0
; VGPRBlocks: 0
; NumSGPRsForWavesPerEU: 23
; NumVGPRsForWavesPerEU: 12
; NamedBarCnt: 0
; Occupancy: 16
; WaveLimiterHint : 0
; COMPUTE_PGM_RSRC2:SCRATCH_EN: 0
; COMPUTE_PGM_RSRC2:USER_SGPR: 2
; COMPUTE_PGM_RSRC2:TRAP_HANDLER: 0
; COMPUTE_PGM_RSRC2:TGID_X_EN: 1
; COMPUTE_PGM_RSRC2:TGID_Y_EN: 1
; COMPUTE_PGM_RSRC2:TGID_Z_EN: 1
; COMPUTE_PGM_RSRC2:TIDIG_COMP_CNT: 0
	.section	.text._ZL33flash_attn_stream_k_fixup_generalILi64ELi8ELi1EEvPfPK15HIP_vector_typeIfLj2EEiiiiS1_IjLj3EES5_S5_S5_,"axG",@progbits,_ZL33flash_attn_stream_k_fixup_generalILi64ELi8ELi1EEvPfPK15HIP_vector_typeIfLj2EEiiiiS1_IjLj3EES5_S5_S5_,comdat
	.globl	_ZL33flash_attn_stream_k_fixup_generalILi64ELi8ELi1EEvPfPK15HIP_vector_typeIfLj2EEiiiiS1_IjLj3EES5_S5_S5_ ; -- Begin function _ZL33flash_attn_stream_k_fixup_generalILi64ELi8ELi1EEvPfPK15HIP_vector_typeIfLj2EEiiiiS1_IjLj3EES5_S5_S5_
	.p2align	8
	.type	_ZL33flash_attn_stream_k_fixup_generalILi64ELi8ELi1EEvPfPK15HIP_vector_typeIfLj2EEiiiiS1_IjLj3EES5_S5_S5_,@function
_ZL33flash_attn_stream_k_fixup_generalILi64ELi8ELi1EEvPfPK15HIP_vector_typeIfLj2EEiiiiS1_IjLj3EES5_S5_S5_: ; @_ZL33flash_attn_stream_k_fixup_generalILi64ELi8ELi1EEvPfPK15HIP_vector_typeIfLj2EEiiiiS1_IjLj3EES5_S5_S5_
; %bb.0:
	s_clause 0x1
	s_load_b128 s[4:7], s[0:1], 0x10
	s_load_b32 s16, s[0:1], 0x50
	s_bfe_u32 s2, ttmp6, 0x4000c
	s_and_b32 s3, ttmp6, 15
	s_add_co_i32 s2, s2, 1
	s_getreg_b32 s15, hwreg(HW_REG_IB_STS2, 6, 4)
	s_mul_i32 s2, ttmp9, s2
	s_mov_b32 s17, 0
	s_add_co_i32 s3, s3, s2
	s_cmp_eq_u32 s15, 0
	s_cselect_b32 s2, ttmp9, s3
	s_delay_alu instid0(SALU_CYCLE_1) | instskip(SKIP_3) | instid1(SALU_CYCLE_1)
	s_ashr_i32 s3, s2, 31
	s_wait_kmcnt 0x0
	s_ashr_i32 s19, s7, 31
	s_mov_b32 s18, s7
	s_mul_u64 s[8:9], s[18:19], s[2:3]
	s_delay_alu instid0(SALU_CYCLE_1) | instskip(NEXT) | instid1(SALU_CYCLE_1)
	s_and_b64 s[10:11], s[8:9], 0xffffffff00000000
	s_cmp_lg_u64 s[10:11], 0
	s_cbranch_scc0 .LBB64_21
; %bb.1:
	s_add_nc_u64 s[10:11], s[16:17], 0
	s_mov_b32 s23, s17
	s_xor_b64 s[10:11], s[10:11], 0
	s_mov_b32 s27, s17
	s_cvt_f32_u32 s3, s10
	s_cvt_f32_u32 s7, s11
	s_sub_nc_u64 s[20:21], 0, s[10:11]
	s_delay_alu instid0(SALU_CYCLE_2) | instskip(NEXT) | instid1(SALU_CYCLE_3)
	s_fmamk_f32 s3, s7, 0x4f800000, s3
	v_s_rcp_f32 s3, s3
	s_delay_alu instid0(TRANS32_DEP_1) | instskip(NEXT) | instid1(SALU_CYCLE_3)
	s_mul_f32 s3, s3, 0x5f7ffffc
	s_mul_f32 s7, s3, 0x2f800000
	s_delay_alu instid0(SALU_CYCLE_3) | instskip(NEXT) | instid1(SALU_CYCLE_3)
	s_trunc_f32 s7, s7
	s_fmamk_f32 s3, s7, 0xcf800000, s3
	s_cvt_u32_f32 s13, s7
	s_delay_alu instid0(SALU_CYCLE_2) | instskip(NEXT) | instid1(SALU_CYCLE_3)
	s_cvt_u32_f32 s12, s3
	s_mul_u64 s[24:25], s[20:21], s[12:13]
	s_delay_alu instid0(SALU_CYCLE_1)
	s_mul_hi_u32 s29, s12, s25
	s_mul_i32 s28, s12, s25
	s_mul_hi_u32 s22, s12, s24
	s_mul_i32 s7, s13, s24
	s_add_nc_u64 s[22:23], s[22:23], s[28:29]
	s_mul_hi_u32 s3, s13, s24
	s_mul_hi_u32 s14, s13, s25
	s_add_co_u32 s7, s22, s7
	s_add_co_ci_u32 s26, s23, s3
	s_mul_i32 s24, s13, s25
	s_add_co_ci_u32 s25, s14, 0
	s_delay_alu instid0(SALU_CYCLE_1) | instskip(SKIP_3) | instid1(SALU_CYCLE_1)
	s_add_nc_u64 s[22:23], s[26:27], s[24:25]
	s_mov_b32 s25, s17
	s_add_co_u32 s12, s12, s22
	s_cselect_b32 s3, -1, 0
	s_cmp_lg_u32 s3, 0
	s_add_co_ci_u32 s13, s13, s23
	s_mov_b32 s23, s17
	s_mul_u64 s[20:21], s[20:21], s[12:13]
	s_delay_alu instid0(SALU_CYCLE_1)
	s_mul_hi_u32 s27, s12, s21
	s_mul_i32 s26, s12, s21
	s_mul_hi_u32 s22, s12, s20
	s_mul_i32 s7, s13, s20
	s_add_nc_u64 s[22:23], s[22:23], s[26:27]
	s_mul_hi_u32 s3, s13, s20
	s_mul_hi_u32 s14, s13, s21
	s_add_co_u32 s7, s22, s7
	s_add_co_ci_u32 s24, s23, s3
	s_mul_i32 s20, s13, s21
	s_add_co_ci_u32 s21, s14, 0
	s_mov_b32 s23, s17
	s_add_nc_u64 s[20:21], s[24:25], s[20:21]
	s_delay_alu instid0(SALU_CYCLE_1) | instskip(SKIP_1) | instid1(SALU_CYCLE_1)
	s_add_co_u32 s3, s12, s20
	s_cselect_b32 s7, -1, 0
	s_cmp_lg_u32 s7, 0
	s_add_co_ci_u32 s7, s13, s21
	s_ashr_i32 s12, s9, 31
	s_delay_alu instid0(SALU_CYCLE_1) | instskip(NEXT) | instid1(SALU_CYCLE_1)
	s_mov_b32 s13, s12
	s_add_nc_u64 s[20:21], s[8:9], s[12:13]
	s_delay_alu instid0(SALU_CYCLE_1) | instskip(NEXT) | instid1(SALU_CYCLE_1)
	s_xor_b64 s[20:21], s[20:21], s[12:13]
	s_mul_hi_u32 s27, s20, s7
	s_mul_i32 s26, s20, s7
	s_mul_hi_u32 s22, s20, s3
	s_mul_hi_u32 s14, s21, s3
	s_mul_i32 s3, s21, s3
	s_add_nc_u64 s[22:23], s[22:23], s[26:27]
	s_mul_hi_u32 s9, s21, s7
	s_add_co_u32 s3, s22, s3
	s_add_co_ci_u32 s24, s23, s14
	s_mul_i32 s26, s21, s7
	s_add_co_ci_u32 s27, s9, 0
	s_delay_alu instid0(SALU_CYCLE_1) | instskip(NEXT) | instid1(SALU_CYCLE_1)
	s_add_nc_u64 s[22:23], s[24:25], s[26:27]
	s_and_b64 s[24:25], s[22:23], 0xffffffff00000000
	s_delay_alu instid0(SALU_CYCLE_1) | instskip(NEXT) | instid1(SALU_CYCLE_1)
	s_or_b32 s24, s24, s22
	s_mul_u64 s[22:23], s[10:11], s[24:25]
	s_add_nc_u64 s[26:27], s[24:25], 1
	s_sub_co_u32 s3, s20, s22
	s_cselect_b32 s7, -1, 0
	s_sub_co_i32 s9, s21, s23
	s_cmp_lg_u32 s7, 0
	s_add_nc_u64 s[28:29], s[24:25], 2
	s_sub_co_ci_u32 s9, s9, s11
	s_sub_co_u32 s14, s3, s10
	s_cselect_b32 s20, -1, 0
	s_delay_alu instid0(SALU_CYCLE_1) | instskip(SKIP_1) | instid1(SALU_CYCLE_1)
	s_cmp_lg_u32 s20, 0
	s_sub_co_ci_u32 s9, s9, 0
	s_cmp_ge_u32 s9, s11
	s_cselect_b32 s20, -1, 0
	s_cmp_ge_u32 s14, s10
	s_cselect_b32 s14, -1, 0
	s_cmp_eq_u32 s9, s11
	s_cselect_b32 s9, s14, s20
	s_delay_alu instid0(SALU_CYCLE_1) | instskip(SKIP_4) | instid1(SALU_CYCLE_1)
	s_cmp_lg_u32 s9, 0
	s_cselect_b32 s9, s28, s26
	s_cselect_b32 s14, s29, s27
	s_cmp_lg_u32 s7, 0
	s_sub_co_ci_u32 s7, s21, s23
	s_cmp_ge_u32 s7, s11
	s_cselect_b32 s20, -1, 0
	s_cmp_ge_u32 s3, s10
	s_cselect_b32 s3, -1, 0
	s_cmp_eq_u32 s7, s11
	s_cselect_b32 s3, s3, s20
	s_delay_alu instid0(SALU_CYCLE_1) | instskip(SKIP_4) | instid1(SALU_CYCLE_1)
	s_cmp_lg_u32 s3, 0
	s_mov_b32 s3, s17
	s_cselect_b32 s11, s14, s25
	s_cselect_b32 s10, s9, s24
	s_xor_b64 s[12:13], s[12:13], 0
	s_xor_b64 s[10:11], s[10:11], s[12:13]
	s_delay_alu instid0(SALU_CYCLE_1)
	s_sub_nc_u64 s[20:21], s[10:11], s[12:13]
	s_and_not1_b32 vcc_lo, exec_lo, s3
	s_cbranch_vccnz .LBB64_3
.LBB64_2:
	v_cvt_f32_u32_e32 v1, s16
	s_sub_co_i32 s7, 0, s16
	s_mov_b32 s21, 0
	s_delay_alu instid0(VALU_DEP_1) | instskip(SKIP_1) | instid1(TRANS32_DEP_1)
	v_rcp_iflag_f32_e32 v1, v1
	v_nop
	v_mul_f32_e32 v1, 0x4f7ffffe, v1
	s_delay_alu instid0(VALU_DEP_1) | instskip(NEXT) | instid1(VALU_DEP_1)
	v_cvt_u32_f32_e32 v1, v1
	v_readfirstlane_b32 s3, v1
	s_mul_i32 s7, s7, s3
	s_delay_alu instid0(SALU_CYCLE_1) | instskip(NEXT) | instid1(SALU_CYCLE_1)
	s_mul_hi_u32 s7, s3, s7
	s_add_co_i32 s3, s3, s7
	s_delay_alu instid0(SALU_CYCLE_1) | instskip(NEXT) | instid1(SALU_CYCLE_1)
	s_mul_hi_u32 s3, s8, s3
	s_mul_i32 s7, s3, s16
	s_delay_alu instid0(SALU_CYCLE_1)
	s_sub_co_i32 s7, s8, s7
	s_add_co_i32 s8, s3, 1
	s_sub_co_i32 s9, s7, s16
	s_cmp_ge_u32 s7, s16
	s_cselect_b32 s3, s8, s3
	s_cselect_b32 s7, s9, s7
	s_add_co_i32 s8, s3, 1
	s_cmp_ge_u32 s7, s16
	s_cselect_b32 s20, s8, s3
.LBB64_3:
	s_add_co_i32 s8, s2, 1
	s_delay_alu instid0(SALU_CYCLE_1) | instskip(NEXT) | instid1(SALU_CYCLE_1)
	s_ashr_i32 s9, s8, 31
	s_mul_u64 s[8:9], s[18:19], s[8:9]
	s_delay_alu instid0(SALU_CYCLE_1) | instskip(NEXT) | instid1(SALU_CYCLE_1)
	s_and_b64 s[10:11], s[8:9], 0xffffffff00000000
	s_cmp_lg_u64 s[10:11], 0
	s_cbranch_scc0 .LBB64_22
; %bb.4:
	s_add_nc_u64 s[10:11], s[16:17], 0
	s_delay_alu instid0(SALU_CYCLE_1) | instskip(SKIP_4) | instid1(SALU_CYCLE_2)
	s_xor_b64 s[12:13], s[10:11], 0
	s_mov_b32 s11, 0
	s_cvt_f32_u32 s3, s12
	s_cvt_f32_u32 s7, s13
	s_sub_nc_u64 s[24:25], 0, s[12:13]
	s_fmamk_f32 s3, s7, 0x4f800000, s3
	s_delay_alu instid0(SALU_CYCLE_3) | instskip(NEXT) | instid1(TRANS32_DEP_1)
	v_s_rcp_f32 s3, s3
	s_mul_f32 s3, s3, 0x5f7ffffc
	s_delay_alu instid0(SALU_CYCLE_3) | instskip(NEXT) | instid1(SALU_CYCLE_3)
	s_mul_f32 s7, s3, 0x2f800000
	s_trunc_f32 s7, s7
	s_delay_alu instid0(SALU_CYCLE_3) | instskip(SKIP_1) | instid1(SALU_CYCLE_2)
	s_fmamk_f32 s3, s7, 0xcf800000, s3
	s_cvt_u32_f32 s23, s7
	s_cvt_u32_f32 s22, s3
	s_delay_alu instid0(SALU_CYCLE_3) | instskip(NEXT) | instid1(SALU_CYCLE_1)
	s_mul_u64 s[26:27], s[24:25], s[22:23]
	s_mul_hi_u32 s29, s22, s27
	s_mul_i32 s28, s22, s27
	s_mul_hi_u32 s10, s22, s26
	s_mul_i32 s7, s23, s26
	s_add_nc_u64 s[28:29], s[10:11], s[28:29]
	s_mul_hi_u32 s3, s23, s26
	s_mul_hi_u32 s14, s23, s27
	s_add_co_u32 s7, s28, s7
	s_add_co_ci_u32 s10, s29, s3
	s_mul_i32 s26, s23, s27
	s_add_co_ci_u32 s27, s14, 0
	s_delay_alu instid0(SALU_CYCLE_1) | instskip(NEXT) | instid1(SALU_CYCLE_1)
	s_add_nc_u64 s[26:27], s[10:11], s[26:27]
	s_add_co_u32 s22, s22, s26
	s_cselect_b32 s3, -1, 0
	s_delay_alu instid0(SALU_CYCLE_1) | instskip(SKIP_1) | instid1(SALU_CYCLE_1)
	s_cmp_lg_u32 s3, 0
	s_add_co_ci_u32 s23, s23, s27
	s_mul_u64 s[24:25], s[24:25], s[22:23]
	s_delay_alu instid0(SALU_CYCLE_1)
	s_mul_hi_u32 s27, s22, s25
	s_mul_i32 s26, s22, s25
	s_mul_hi_u32 s10, s22, s24
	s_mul_i32 s7, s23, s24
	s_add_nc_u64 s[26:27], s[10:11], s[26:27]
	s_mul_hi_u32 s3, s23, s24
	s_mul_hi_u32 s14, s23, s25
	s_add_co_u32 s7, s26, s7
	s_add_co_ci_u32 s10, s27, s3
	s_mul_i32 s24, s23, s25
	s_add_co_ci_u32 s25, s14, 0
	s_delay_alu instid0(SALU_CYCLE_1) | instskip(NEXT) | instid1(SALU_CYCLE_1)
	s_add_nc_u64 s[24:25], s[10:11], s[24:25]
	s_add_co_u32 s3, s22, s24
	s_cselect_b32 s7, -1, 0
	s_delay_alu instid0(SALU_CYCLE_1) | instskip(SKIP_2) | instid1(SALU_CYCLE_1)
	s_cmp_lg_u32 s7, 0
	s_add_co_ci_u32 s7, s23, s25
	s_ashr_i32 s22, s9, 31
	s_mov_b32 s23, s22
	s_delay_alu instid0(SALU_CYCLE_1) | instskip(NEXT) | instid1(SALU_CYCLE_1)
	s_add_nc_u64 s[24:25], s[8:9], s[22:23]
	s_xor_b64 s[24:25], s[24:25], s[22:23]
	s_delay_alu instid0(SALU_CYCLE_1)
	s_mul_hi_u32 s27, s24, s7
	s_mul_i32 s26, s24, s7
	s_mul_hi_u32 s10, s24, s3
	s_mul_hi_u32 s14, s25, s3
	s_mul_i32 s3, s25, s3
	s_add_nc_u64 s[26:27], s[10:11], s[26:27]
	s_mul_hi_u32 s9, s25, s7
	s_add_co_u32 s3, s26, s3
	s_add_co_ci_u32 s10, s27, s14
	s_mul_i32 s28, s25, s7
	s_add_co_ci_u32 s29, s9, 0
	s_delay_alu instid0(SALU_CYCLE_1) | instskip(NEXT) | instid1(SALU_CYCLE_1)
	s_add_nc_u64 s[26:27], s[10:11], s[28:29]
	s_and_b64 s[28:29], s[26:27], 0xffffffff00000000
	s_delay_alu instid0(SALU_CYCLE_1) | instskip(NEXT) | instid1(SALU_CYCLE_1)
	s_or_b32 s28, s28, s26
	s_mul_u64 s[26:27], s[12:13], s[28:29]
	s_add_nc_u64 s[30:31], s[28:29], 1
	s_sub_co_u32 s3, s24, s26
	s_cselect_b32 s7, -1, 0
	s_sub_co_i32 s9, s25, s27
	s_cmp_lg_u32 s7, 0
	s_add_nc_u64 s[34:35], s[28:29], 2
	s_sub_co_ci_u32 s9, s9, s13
	s_sub_co_u32 s10, s3, s12
	s_cselect_b32 s14, -1, 0
	s_delay_alu instid0(SALU_CYCLE_1) | instskip(SKIP_1) | instid1(SALU_CYCLE_1)
	s_cmp_lg_u32 s14, 0
	s_sub_co_ci_u32 s9, s9, 0
	s_cmp_ge_u32 s9, s13
	s_cselect_b32 s14, -1, 0
	s_cmp_ge_u32 s10, s12
	s_cselect_b32 s10, -1, 0
	s_cmp_eq_u32 s9, s13
	s_cselect_b32 s9, s10, s14
	s_delay_alu instid0(SALU_CYCLE_1) | instskip(SKIP_4) | instid1(SALU_CYCLE_1)
	s_cmp_lg_u32 s9, 0
	s_cselect_b32 s9, s34, s30
	s_cselect_b32 s10, s35, s31
	s_cmp_lg_u32 s7, 0
	s_sub_co_ci_u32 s7, s25, s27
	s_cmp_ge_u32 s7, s13
	s_cselect_b32 s14, -1, 0
	s_cmp_ge_u32 s3, s12
	s_cselect_b32 s3, -1, 0
	s_cmp_eq_u32 s7, s13
	s_cselect_b32 s3, s3, s14
	s_delay_alu instid0(SALU_CYCLE_1) | instskip(SKIP_3) | instid1(SALU_CYCLE_1)
	s_cmp_lg_u32 s3, 0
	s_cselect_b32 s13, s10, s29
	s_cselect_b32 s12, s9, s28
	s_xor_b64 s[22:23], s[22:23], 0
	s_xor_b64 s[12:13], s[12:13], s[22:23]
	s_delay_alu instid0(SALU_CYCLE_1)
	s_sub_nc_u64 s[24:25], s[12:13], s[22:23]
	s_load_b96 s[12:14], s[0:1], 0x44
	s_cbranch_execnz .LBB64_6
.LBB64_5:
	v_cvt_f32_u32_e32 v1, s16
	s_sub_co_i32 s7, 0, s16
	s_delay_alu instid0(VALU_DEP_1) | instskip(SKIP_1) | instid1(TRANS32_DEP_1)
	v_rcp_iflag_f32_e32 v1, v1
	v_nop
	v_mul_f32_e32 v1, 0x4f7ffffe, v1
	s_delay_alu instid0(VALU_DEP_1) | instskip(NEXT) | instid1(VALU_DEP_1)
	v_cvt_u32_f32_e32 v1, v1
	v_readfirstlane_b32 s3, v1
	s_mul_i32 s7, s7, s3
	s_delay_alu instid0(SALU_CYCLE_1) | instskip(NEXT) | instid1(SALU_CYCLE_1)
	s_mul_hi_u32 s7, s3, s7
	s_add_co_i32 s3, s3, s7
	s_delay_alu instid0(SALU_CYCLE_1) | instskip(NEXT) | instid1(SALU_CYCLE_1)
	s_mul_hi_u32 s3, s8, s3
	s_mul_i32 s7, s3, s16
	s_delay_alu instid0(SALU_CYCLE_1)
	s_sub_co_i32 s7, s8, s7
	s_add_co_i32 s8, s3, 1
	s_sub_co_i32 s9, s7, s16
	s_cmp_ge_u32 s7, s16
	s_cselect_b32 s3, s8, s3
	s_cselect_b32 s7, s9, s7
	s_add_co_i32 s8, s3, 1
	s_cmp_ge_u32 s7, s16
	s_cselect_b32 s24, s8, s3
.LBB64_6:
	s_delay_alu instid0(SALU_CYCLE_1)
	s_cmp_eq_u32 s20, s24
	s_mov_b64 s[8:9], 0xffffffff
	s_cselect_b32 s3, -1, 0
	s_and_b64 s[8:9], s[20:21], s[8:9]
	s_mov_b32 s23, 0
	s_wait_kmcnt 0x0
	s_mov_b32 s22, s12
	s_mov_b32 s25, s23
	s_mul_u64 s[10:11], s[8:9], s[22:23]
	s_delay_alu instid0(SALU_CYCLE_1) | instskip(SKIP_2) | instid1(SALU_CYCLE_1)
	s_add_co_i32 s7, s11, s20
	s_mul_u64 s[10:11], s[24:25], s[22:23]
	s_lshr_b32 s12, s7, s13
	s_mul_i32 s7, s12, s14
	s_delay_alu instid0(SALU_CYCLE_1) | instskip(SKIP_2) | instid1(SALU_CYCLE_1)
	s_cmp_eq_u32 s7, s20
	s_cselect_b32 s7, -1, 0
	s_add_co_i32 s10, s11, s24
	s_lshr_b32 s10, s10, s13
	s_delay_alu instid0(SALU_CYCLE_1)
	s_cmp_eq_u32 s12, s10
	s_mul_i32 s10, s10, s14
	s_cselect_b32 s11, -1, 0
	s_cmp_lg_u32 s10, s24
	s_cselect_b32 s10, -1, 0
	s_or_b32 s3, s3, s7
	s_and_b32 s10, s11, s10
	s_delay_alu instid0(SALU_CYCLE_1) | instskip(NEXT) | instid1(SALU_CYCLE_1)
	s_or_b32 s3, s3, s10
	s_and_b32 vcc_lo, exec_lo, s3
	s_cbranch_vccnz .LBB64_24
; %bb.7:
	s_load_b256 s[24:31], s[0:1], 0x20
	s_bfe_u32 s7, ttmp6, 0x40014
	s_bfe_u32 s33, ttmp6, 0x40010
	s_lshr_b32 s3, ttmp7, 16
	s_add_co_i32 s7, s7, 1
	s_and_b32 s21, ttmp7, 0xffff
	s_add_co_i32 s33, s33, 1
	s_bfe_u32 s10, ttmp6, 0x40008
	s_mul_i32 s7, s3, s7
	s_bfe_u32 s34, ttmp6, 0x40004
	s_mul_i32 s33, s21, s33
	s_mov_b32 s11, s23
	s_add_co_i32 s7, s10, s7
	s_add_co_i32 s34, s34, s33
	s_cmp_eq_u32 s15, 0
	s_cselect_b32 s15, s21, s34
	s_cselect_b32 s3, s3, s7
	s_wait_kmcnt 0x0
	s_mov_b32 s10, s24
	s_delay_alu instid0(SALU_CYCLE_1) | instskip(SKIP_2) | instid1(SALU_CYCLE_1)
	s_mul_u64 s[8:9], s[8:9], s[10:11]
	s_load_b32 s8, s[0:1], 0x40
	s_add_co_i32 s7, s9, s20
	s_lshr_b32 s7, s7, s25
	s_delay_alu instid0(SALU_CYCLE_1) | instskip(NEXT) | instid1(SALU_CYCLE_1)
	s_mul_i32 s9, s7, s26
	s_sub_co_i32 s9, s20, s9
	s_delay_alu instid0(SALU_CYCLE_1) | instskip(NEXT) | instid1(SALU_CYCLE_1)
	s_mul_hi_u32 s10, s9, s27
	s_add_co_i32 s10, s9, s10
	s_delay_alu instid0(SALU_CYCLE_1) | instskip(NEXT) | instid1(SALU_CYCLE_1)
	s_lshr_b32 s21, s10, s28
	s_mul_i32 s10, s21, s29
	s_delay_alu instid0(SALU_CYCLE_1) | instskip(NEXT) | instid1(SALU_CYCLE_1)
	s_sub_co_i32 s10, s9, s10
	s_mul_hi_u32 s9, s10, s30
	s_delay_alu instid0(SALU_CYCLE_1) | instskip(NEXT) | instid1(SALU_CYCLE_1)
	s_add_co_i32 s9, s10, s9
	s_lshr_b32 s24, s9, s31
	s_mov_b32 s9, s23
	s_wait_kmcnt 0x0
	s_mul_i32 s8, s24, s8
	s_delay_alu instid0(SALU_CYCLE_1) | instskip(NEXT) | instid1(SALU_CYCLE_1)
	s_sub_co_i32 s8, s10, s8
	s_mul_u64 s[10:11], s[8:9], s[22:23]
	s_delay_alu instid0(SALU_CYCLE_1) | instskip(NEXT) | instid1(SALU_CYCLE_1)
	s_add_co_i32 s8, s8, s11
	s_lshr_b32 s25, s8, s13
	s_delay_alu instid0(SALU_CYCLE_1) | instskip(NEXT) | instid1(SALU_CYCLE_1)
	s_lshl_b32 s8, s25, 3
	s_add_co_i32 s8, s8, s15
	s_delay_alu instid0(SALU_CYCLE_1) | instskip(SKIP_2) | instid1(SALU_CYCLE_1)
	s_cmp_lt_i32 s8, s4
	s_cselect_b32 s8, -1, 0
	s_add_co_i32 s9, s24, s3
	s_cmp_lt_i32 s9, s6
	s_cselect_b32 s9, -1, 0
	s_delay_alu instid0(SALU_CYCLE_1) | instskip(NEXT) | instid1(SALU_CYCLE_1)
	s_and_b32 s8, s8, s9
	s_and_not1_b32 vcc_lo, exec_lo, s8
	s_cbranch_vccnz .LBB64_24
; %bb.8:
	s_mul_i32 s4, s7, s4
	s_load_b128 s[8:11], s[0:1], 0x0
	s_wait_xcnt 0x0
	s_add_co_i32 s0, s4, s15
	s_mul_i32 s21, s21, s6
	s_mul_i32 s0, s0, s5
	;; [unrolled: 1-line block ×3, first 2 shown]
	s_add_co_i32 s0, s0, s3
	s_lshl_b32 s1, s1, 9
	s_add_co_i32 s0, s0, s21
	s_add_co_i32 s15, s15, s3
	;; [unrolled: 1-line block ×3, first 2 shown]
	v_lshl_or_b32 v6, s15, 6, v0
	s_lshl_b32 s0, s0, 6
	v_cvt_f32_u32_e32 v4, s16
	s_add_co_i32 s1, s1, s0
	s_lshl_b32 s24, s16, 5
	v_or_b32_e32 v2, s1, v0
	s_add_nc_u64 s[0:1], s[16:17], 0
	v_rcp_iflag_f32_e32 v4, v4
	s_xor_b64 s[6:7], s[0:1], 0
	s_lshl_b32 s0, s2, 3
	s_cvt_f32_u32 s3, s6
	s_add_co_i32 s0, s0, s15
	s_cvt_f32_u32 s4, s7
	s_ashr_i32 s1, s0, 31
	s_mov_b32 s25, 0
	s_lshl_b64 s[0:1], s[0:1], 3
	s_fmamk_f32 s3, s4, 0x4f800000, s3
	s_wait_kmcnt 0x0
	s_add_nc_u64 s[0:1], s[10:11], s[0:1]
	s_add_co_i32 s36, s2, -1
	s_load_b64 s[28:29], s[0:1], 0x0
	v_s_rcp_f32 s3, s3
	s_wait_xcnt 0x0
	s_lshl_b64 s[0:1], s[24:25], 2
	s_sub_nc_u64 s[34:35], 0, s[6:7]
	s_add_nc_u64 s[26:27], s[10:11], s[0:1]
	v_mul_f32_e32 v4, 0x4f7ffffe, v4
	s_delay_alu instid0(TRANS32_DEP_1) | instskip(NEXT) | instid1(VALU_DEP_1)
	s_mul_f32 s3, s3, 0x5f7ffffc
	v_cvt_u32_f32_e32 v7, v4
	s_delay_alu instid0(SALU_CYCLE_2) | instskip(NEXT) | instid1(SALU_CYCLE_3)
	s_mul_f32 s4, s3, 0x2f800000
	s_trunc_f32 s4, s4
	s_wait_kmcnt 0x0
	v_mov_b32_e32 v0, s29
	global_load_b32 v1, v2, s[8:9] scale_offset
	v_ashrrev_i32_e32 v3, 31, v2
	s_fmamk_f32 s0, s4, 0xcf800000, s3
	s_cvt_u32_f32 s31, s4
	s_wait_xcnt 0x0
	s_delay_alu instid0(VALU_DEP_1)
	v_lshl_add_u64 v[2:3], v[2:3], 2, s[8:9]
	s_cvt_u32_f32 s30, s0
	s_mov_b64 s[8:9], 0xffffffff
.LBB64_9:                               ; =>This Inner Loop Header: Depth=1
	s_ashr_i32 s37, s36, 31
                                        ; implicit-def: $sgpr40_sgpr41
	s_delay_alu instid0(SALU_CYCLE_1) | instskip(NEXT) | instid1(SALU_CYCLE_1)
	s_mul_u64 s[0:1], s[36:37], s[18:19]
	s_and_b64 s[2:3], s[0:1], 0xffffffff00000000
	s_delay_alu instid0(SALU_CYCLE_1)
	s_cmp_lg_u64 s[2:3], 0
	s_mov_b32 s2, -1
	s_cbranch_scc0 .LBB64_11
; %bb.10:                               ;   in Loop: Header=BB64_9 Depth=1
	s_mul_u64 s[2:3], s[34:35], s[30:31]
	s_delay_alu instid0(SALU_CYCLE_1)
	s_mul_hi_u32 s5, s30, s3
	s_mul_i32 s4, s30, s3
	s_mul_hi_u32 s24, s30, s2
	s_mul_hi_u32 s17, s31, s2
	s_add_nc_u64 s[4:5], s[24:25], s[4:5]
	s_mul_i32 s2, s31, s2
	s_mul_hi_u32 s21, s31, s3
	s_add_co_u32 s2, s4, s2
	s_add_co_ci_u32 s24, s5, s17
	s_add_co_ci_u32 s5, s21, 0
	s_mul_i32 s4, s31, s3
	s_delay_alu instid0(SALU_CYCLE_1) | instskip(NEXT) | instid1(SALU_CYCLE_1)
	s_add_nc_u64 s[2:3], s[24:25], s[4:5]
	s_add_co_u32 s2, s30, s2
	s_cselect_b32 s4, -1, 0
	s_delay_alu instid0(SALU_CYCLE_1) | instskip(SKIP_1) | instid1(SALU_CYCLE_1)
	s_cmp_lg_u32 s4, 0
	s_add_co_ci_u32 s3, s31, s3
	s_mul_u64 s[4:5], s[34:35], s[2:3]
	s_delay_alu instid0(SALU_CYCLE_1)
	s_mul_hi_u32 s39, s2, s5
	s_mul_i32 s38, s2, s5
	s_mul_hi_u32 s24, s2, s4
	s_mul_hi_u32 s17, s3, s4
	s_mul_i32 s4, s3, s4
	s_add_nc_u64 s[38:39], s[24:25], s[38:39]
	s_mul_hi_u32 s21, s3, s5
	s_add_co_u32 s4, s38, s4
	s_add_co_ci_u32 s24, s39, s17
	s_mul_i32 s4, s3, s5
	s_add_co_ci_u32 s5, s21, 0
	s_delay_alu instid0(SALU_CYCLE_1) | instskip(NEXT) | instid1(SALU_CYCLE_1)
	s_add_nc_u64 s[4:5], s[24:25], s[4:5]
	s_add_co_u32 s17, s2, s4
	s_cselect_b32 s2, -1, 0
	s_delay_alu instid0(SALU_CYCLE_1) | instskip(SKIP_2) | instid1(SALU_CYCLE_1)
	s_cmp_lg_u32 s2, 0
	s_add_co_ci_u32 s21, s3, s5
	s_ashr_i32 s2, s1, 31
	s_mov_b32 s3, s2
	s_delay_alu instid0(SALU_CYCLE_1) | instskip(NEXT) | instid1(SALU_CYCLE_1)
	s_add_nc_u64 s[4:5], s[0:1], s[2:3]
	s_xor_b64 s[4:5], s[4:5], s[2:3]
	s_delay_alu instid0(SALU_CYCLE_1)
	s_mul_hi_u32 s39, s4, s21
	s_mul_i32 s38, s4, s21
	s_mul_hi_u32 s24, s4, s17
	s_mul_hi_u32 s29, s5, s17
	s_mul_i32 s17, s5, s17
	s_add_nc_u64 s[38:39], s[24:25], s[38:39]
	s_mul_hi_u32 s1, s5, s21
	s_add_co_u32 s17, s38, s17
	s_add_co_ci_u32 s24, s39, s29
	s_mul_i32 s40, s5, s21
	s_add_co_ci_u32 s41, s1, 0
	s_delay_alu instid0(SALU_CYCLE_1) | instskip(NEXT) | instid1(SALU_CYCLE_1)
	s_add_nc_u64 s[38:39], s[24:25], s[40:41]
	s_and_b64 s[40:41], s[38:39], 0xffffffff00000000
	s_delay_alu instid0(SALU_CYCLE_1) | instskip(NEXT) | instid1(SALU_CYCLE_1)
	s_or_b32 s40, s40, s38
	s_mul_u64 s[38:39], s[6:7], s[40:41]
	s_add_nc_u64 s[42:43], s[40:41], 1
	s_sub_co_u32 s1, s4, s38
	s_cselect_b32 s4, -1, 0
	s_sub_co_i32 s17, s5, s39
	s_cmp_lg_u32 s4, 0
	s_add_nc_u64 s[44:45], s[40:41], 2
	s_sub_co_ci_u32 s17, s17, s7
	s_sub_co_u32 s21, s1, s6
	s_cselect_b32 s24, -1, 0
	s_delay_alu instid0(SALU_CYCLE_1) | instskip(SKIP_1) | instid1(SALU_CYCLE_1)
	s_cmp_lg_u32 s24, 0
	s_sub_co_ci_u32 s17, s17, 0
	s_cmp_ge_u32 s17, s7
	s_cselect_b32 s24, -1, 0
	s_cmp_ge_u32 s21, s6
	s_cselect_b32 s21, -1, 0
	s_cmp_eq_u32 s17, s7
	s_cselect_b32 s17, s21, s24
	s_delay_alu instid0(SALU_CYCLE_1) | instskip(SKIP_4) | instid1(SALU_CYCLE_1)
	s_cmp_lg_u32 s17, 0
	s_cselect_b32 s17, s44, s42
	s_cselect_b32 s21, s45, s43
	s_cmp_lg_u32 s4, 0
	s_sub_co_ci_u32 s4, s5, s39
	s_cmp_ge_u32 s4, s7
	s_cselect_b32 s5, -1, 0
	s_cmp_ge_u32 s1, s6
	s_cselect_b32 s1, -1, 0
	s_cmp_eq_u32 s4, s7
	s_cselect_b32 s1, s1, s5
	s_delay_alu instid0(SALU_CYCLE_1) | instskip(SKIP_3) | instid1(SALU_CYCLE_1)
	s_cmp_lg_u32 s1, 0
	s_cselect_b32 s5, s21, s41
	s_cselect_b32 s4, s17, s40
	s_xor_b64 s[2:3], s[2:3], 0
	s_xor_b64 s[4:5], s[4:5], s[2:3]
	s_delay_alu instid0(SALU_CYCLE_1)
	s_sub_nc_u64 s[40:41], s[4:5], s[2:3]
	s_mov_b32 s2, 0
.LBB64_11:                              ;   in Loop: Header=BB64_9 Depth=1
	s_delay_alu instid0(SALU_CYCLE_1)
	s_and_not1_b32 vcc_lo, exec_lo, s2
	s_cbranch_vccnz .LBB64_13
; %bb.12:                               ;   in Loop: Header=BB64_9 Depth=1
	v_readfirstlane_b32 s1, v7
	s_sub_co_i32 s2, 0, s16
	s_delay_alu instid0(SALU_CYCLE_1) | instskip(NEXT) | instid1(SALU_CYCLE_1)
	s_mul_i32 s2, s2, s1
	s_mul_hi_u32 s2, s1, s2
	s_delay_alu instid0(SALU_CYCLE_1) | instskip(NEXT) | instid1(SALU_CYCLE_1)
	s_add_co_i32 s1, s1, s2
	s_mul_hi_u32 s1, s0, s1
	s_delay_alu instid0(SALU_CYCLE_1) | instskip(NEXT) | instid1(SALU_CYCLE_1)
	s_mul_i32 s2, s1, s16
	s_sub_co_i32 s0, s0, s2
	s_add_co_i32 s2, s1, 1
	s_sub_co_i32 s3, s0, s16
	s_cmp_ge_u32 s0, s16
	s_cselect_b32 s1, s2, s1
	s_cselect_b32 s0, s3, s0
	s_add_co_i32 s2, s1, 1
	s_cmp_ge_u32 s0, s16
	s_cselect_b32 s24, s2, s1
	s_delay_alu instid0(SALU_CYCLE_1)
	s_mov_b64 s[40:41], s[24:25]
.LBB64_13:                              ;   in Loop: Header=BB64_9 Depth=1
	s_delay_alu instid0(SALU_CYCLE_1)
	s_cmp_lg_u32 s20, s40
	s_mov_b32 s0, -1
                                        ; implicit-def: $vgpr4_vgpr5
                                        ; implicit-def: $sgpr24
                                        ; implicit-def: $sgpr17
                                        ; implicit-def: $sgpr21
                                        ; implicit-def: $sgpr29
	s_cbranch_scc0 .LBB64_18
; %bb.14:                               ;   in Loop: Header=BB64_9 Depth=1
	s_add_co_i32 s0, s36, s16
	v_max_num_f32_e64 v4, s28, s28
	s_lshl_b32 s0, s0, 3
	s_mov_b32 s29, s20
	s_add_co_i32 s0, s0, s15
	s_load_b64 s[38:39], s[10:11], s0 offset:0x0 scale_offset
	s_wait_xcnt 0x0
	v_readfirstlane_b32 s0, v4
	s_wait_kmcnt 0x0
	v_max_num_f32_e64 v5, s38, s38
	s_delay_alu instid0(VALU_DEP_1) | instskip(SKIP_1) | instid1(SALU_CYCLE_3)
	v_readfirstlane_b32 s1, v5
	s_max_num_f32 s17, s0, s1
	s_sub_f32 s33, s28, s17
	s_sub_f32 s37, s38, s17
	s_delay_alu instid0(SALU_CYCLE_2)
	s_cmp_nlt_f32 s33, 0xc2ce8ed0
	s_cselect_b32 s1, -1, 0
	s_cmp_ngt_f32 s33, 0x42b17218
	s_cselect_b32 s2, -1, 0
	s_cmp_ge_f32 s33, 0xc1a00000
	s_cselect_b32 s0, -1, 0
	s_cmp_nlt_f32 s37, 0xc2ce8ed0
	s_cselect_b32 s3, -1, 0
	s_cmp_ngt_f32 s37, 0x42b17218
	s_cselect_b32 s4, -1, 0
	s_cmp_ge_f32 s37, 0xc1a00000
	s_cselect_b32 s5, -1, 0
	s_and_b64 s[42:43], s[40:41], s[8:9]
	s_delay_alu instid0(SALU_CYCLE_1) | instskip(NEXT) | instid1(SALU_CYCLE_1)
	s_mul_u64 s[42:43], s[42:43], s[22:23]
	s_add_co_i32 s21, s43, s40
	s_delay_alu instid0(SALU_CYCLE_1) | instskip(NEXT) | instid1(SALU_CYCLE_1)
	s_lshr_b32 s21, s21, s13
	s_mul_i32 s24, s21, s14
	s_delay_alu instid0(SALU_CYCLE_1) | instskip(SKIP_3) | instid1(SALU_CYCLE_1)
	s_cmp_eq_u32 s24, s40
	s_cselect_b32 s24, -1, 0
	s_cmp_lt_u32 s21, s12
	s_cselect_b32 s21, -1, 0
	s_or_b32 s21, s21, s24
	s_mov_b32 s24, -1
	s_and_b32 vcc_lo, exec_lo, s21
	s_mov_b32 s21, s36
	s_cbranch_vccnz .LBB64_16
; %bb.15:                               ;   in Loop: Header=BB64_9 Depth=1
	s_add_co_i32 s21, s36, -1
	s_mov_b32 s24, 0
	s_mov_b32 s29, s40
.LBB64_16:                              ;   in Loop: Header=BB64_9 Depth=1
	v_lshl_add_u32 v4, s36, 9, v6
	s_mul_f32 s40, s33, 0x3fb8aa3b
	s_mul_f32 s38, s37, 0x3fb8aa3b
	s_delay_alu instid0(SALU_CYCLE_2)
	s_xor_b32 s42, s40, 0x80000000
	global_load_b32 v5, v4, s[26:27] scale_offset
	s_fmamk_f32 s42, s33, 0x3fb8aa3b, s42
	s_rndne_f32 s44, s40
	s_xor_b32 s41, s38, 0x80000000
	s_rndne_f32 s43, s38
	s_fmamk_f32 s33, s33, 0x32a5705f, s42
	s_sub_f32 s40, s40, s44
	s_fmamk_f32 s41, s37, 0x3fb8aa3b, s41
	s_sub_f32 s38, s38, s43
	s_delay_alu instid0(SALU_CYCLE_1) | instskip(NEXT) | instid1(SALU_CYCLE_1)
	s_add_f32 s33, s40, s33
	s_fmamk_f32 s37, s37, 0x32a5705f, s41
	s_cvt_i32_f32 s40, s44
	s_delay_alu instid0(SALU_CYCLE_1) | instskip(NEXT) | instid1(SALU_CYCLE_1)
	v_s_exp_f32 s33, s33
	s_add_f32 s37, s38, s37
	s_cvt_i32_f32 s38, s43
	s_delay_alu instid0(SALU_CYCLE_2) | instskip(NEXT) | instid1(TRANS32_DEP_2)
	v_s_exp_f32 s37, s37
	v_ldexp_f32 v8, s33, s40
	s_wait_xcnt 0x0
	s_delay_alu instid0(TRANS32_DEP_1) | instskip(NEXT) | instid1(VALU_DEP_2)
	v_ldexp_f32 v4, s37, s38
	v_cndmask_b32_e64 v8, 0, v8, s1
	s_delay_alu instid0(VALU_DEP_1) | instskip(NEXT) | instid1(VALU_DEP_1)
	v_cndmask_b32_e64 v9, 0x7f800000, v8, s2
	v_dual_cndmask_b32 v4, 0, v4, s3 :: v_dual_cndmask_b32 v10, 0, v9, s0
	s_delay_alu instid0(VALU_DEP_1) | instskip(NEXT) | instid1(VALU_DEP_1)
	v_cndmask_b32_e64 v4, 0x7f800000, v4, s4
	v_dual_cndmask_b32 v8, 0, v4, s5 :: v_dual_mov_b32 v4, s39
	s_wait_loadcnt 0x0
	s_delay_alu instid0(VALU_DEP_1) | instskip(NEXT) | instid1(VALU_DEP_1)
	v_pk_mul_f32 v[4:5], v[4:5], v[8:9] op_sel_hi:[1,0]
	v_pk_fma_f32 v[4:5], v[0:1], v[10:11], v[4:5] op_sel_hi:[1,0,1]
	s_cbranch_execz .LBB64_19
.LBB64_17:                              ;   in Loop: Header=BB64_9 Depth=1
	s_and_not1_b32 vcc_lo, exec_lo, s24
	s_cbranch_vccnz .LBB64_20
	s_branch .LBB64_23
.LBB64_18:                              ;   in Loop: Header=BB64_9 Depth=1
	s_and_not1_b32 vcc_lo, exec_lo, s0
	s_cbranch_vccnz .LBB64_17
.LBB64_19:                              ;   in Loop: Header=BB64_9 Depth=1
	s_wait_loadcnt 0x0
	v_mov_b64_e32 v[4:5], v[0:1]
	s_add_co_i32 s21, s36, -1
	s_mov_b32 s29, s20
	s_mov_b32 s17, s28
	s_cbranch_execz .LBB64_23
.LBB64_20:                              ;   in Loop: Header=BB64_9 Depth=1
	s_wait_loadcnt 0x0
	s_delay_alu instid0(VALU_DEP_1)
	v_mov_b64_e32 v[0:1], v[4:5]
	s_mov_b32 s20, s29
	s_mov_b32 s36, s21
	;; [unrolled: 1-line block ×3, first 2 shown]
	s_branch .LBB64_9
.LBB64_21:
                                        ; implicit-def: $sgpr20_sgpr21
	s_branch .LBB64_2
.LBB64_22:
                                        ; implicit-def: $sgpr24_sgpr25
	s_load_b96 s[12:14], s[0:1], 0x44
	s_branch .LBB64_5
.LBB64_23:
	s_delay_alu instid0(VALU_DEP_1) | instskip(SKIP_1) | instid1(VALU_DEP_1)
	v_div_scale_f32 v0, null, v4, v4, v5
	s_wait_loadcnt 0x0
	v_rcp_f32_e32 v1, v0
	v_nop
	s_delay_alu instid0(TRANS32_DEP_1) | instskip(NEXT) | instid1(VALU_DEP_1)
	v_fma_f32 v6, -v0, v1, 1.0
	v_fmac_f32_e32 v1, v6, v1
	v_div_scale_f32 v6, vcc_lo, v5, v4, v5
	s_delay_alu instid0(VALU_DEP_1) | instskip(NEXT) | instid1(VALU_DEP_1)
	v_mul_f32_e32 v7, v6, v1
	v_fma_f32 v8, -v0, v7, v6
	s_delay_alu instid0(VALU_DEP_1) | instskip(NEXT) | instid1(VALU_DEP_1)
	v_fmac_f32_e32 v7, v8, v1
	v_fma_f32 v0, -v0, v7, v6
	s_delay_alu instid0(VALU_DEP_1) | instskip(NEXT) | instid1(VALU_DEP_1)
	v_div_fmas_f32 v0, v0, v1, v7
	v_div_fixup_f32 v0, v0, v4, v5
	global_store_b32 v[2:3], v0, off
.LBB64_24:
	s_endpgm
	.section	.rodata,"a",@progbits
	.p2align	6, 0x0
	.amdhsa_kernel _ZL33flash_attn_stream_k_fixup_generalILi64ELi8ELi1EEvPfPK15HIP_vector_typeIfLj2EEiiiiS1_IjLj3EES5_S5_S5_
		.amdhsa_group_segment_fixed_size 0
		.amdhsa_private_segment_fixed_size 0
		.amdhsa_kernarg_size 336
		.amdhsa_user_sgpr_count 2
		.amdhsa_user_sgpr_dispatch_ptr 0
		.amdhsa_user_sgpr_queue_ptr 0
		.amdhsa_user_sgpr_kernarg_segment_ptr 1
		.amdhsa_user_sgpr_dispatch_id 0
		.amdhsa_user_sgpr_kernarg_preload_length 0
		.amdhsa_user_sgpr_kernarg_preload_offset 0
		.amdhsa_user_sgpr_private_segment_size 0
		.amdhsa_wavefront_size32 1
		.amdhsa_uses_dynamic_stack 0
		.amdhsa_enable_private_segment 0
		.amdhsa_system_sgpr_workgroup_id_x 1
		.amdhsa_system_sgpr_workgroup_id_y 1
		.amdhsa_system_sgpr_workgroup_id_z 1
		.amdhsa_system_sgpr_workgroup_info 0
		.amdhsa_system_vgpr_workitem_id 0
		.amdhsa_next_free_vgpr 12
		.amdhsa_next_free_sgpr 46
		.amdhsa_named_barrier_count 0
		.amdhsa_reserve_vcc 1
		.amdhsa_float_round_mode_32 0
		.amdhsa_float_round_mode_16_64 0
		.amdhsa_float_denorm_mode_32 3
		.amdhsa_float_denorm_mode_16_64 3
		.amdhsa_fp16_overflow 0
		.amdhsa_memory_ordered 1
		.amdhsa_forward_progress 1
		.amdhsa_inst_pref_size 27
		.amdhsa_round_robin_scheduling 0
		.amdhsa_exception_fp_ieee_invalid_op 0
		.amdhsa_exception_fp_denorm_src 0
		.amdhsa_exception_fp_ieee_div_zero 0
		.amdhsa_exception_fp_ieee_overflow 0
		.amdhsa_exception_fp_ieee_underflow 0
		.amdhsa_exception_fp_ieee_inexact 0
		.amdhsa_exception_int_div_zero 0
	.end_amdhsa_kernel
	.section	.text._ZL33flash_attn_stream_k_fixup_generalILi64ELi8ELi1EEvPfPK15HIP_vector_typeIfLj2EEiiiiS1_IjLj3EES5_S5_S5_,"axG",@progbits,_ZL33flash_attn_stream_k_fixup_generalILi64ELi8ELi1EEvPfPK15HIP_vector_typeIfLj2EEiiiiS1_IjLj3EES5_S5_S5_,comdat
.Lfunc_end64:
	.size	_ZL33flash_attn_stream_k_fixup_generalILi64ELi8ELi1EEvPfPK15HIP_vector_typeIfLj2EEiiiiS1_IjLj3EES5_S5_S5_, .Lfunc_end64-_ZL33flash_attn_stream_k_fixup_generalILi64ELi8ELi1EEvPfPK15HIP_vector_typeIfLj2EEiiiiS1_IjLj3EES5_S5_S5_
                                        ; -- End function
	.set _ZL33flash_attn_stream_k_fixup_generalILi64ELi8ELi1EEvPfPK15HIP_vector_typeIfLj2EEiiiiS1_IjLj3EES5_S5_S5_.num_vgpr, 12
	.set _ZL33flash_attn_stream_k_fixup_generalILi64ELi8ELi1EEvPfPK15HIP_vector_typeIfLj2EEiiiiS1_IjLj3EES5_S5_S5_.num_agpr, 0
	.set _ZL33flash_attn_stream_k_fixup_generalILi64ELi8ELi1EEvPfPK15HIP_vector_typeIfLj2EEiiiiS1_IjLj3EES5_S5_S5_.numbered_sgpr, 46
	.set _ZL33flash_attn_stream_k_fixup_generalILi64ELi8ELi1EEvPfPK15HIP_vector_typeIfLj2EEiiiiS1_IjLj3EES5_S5_S5_.num_named_barrier, 0
	.set _ZL33flash_attn_stream_k_fixup_generalILi64ELi8ELi1EEvPfPK15HIP_vector_typeIfLj2EEiiiiS1_IjLj3EES5_S5_S5_.private_seg_size, 0
	.set _ZL33flash_attn_stream_k_fixup_generalILi64ELi8ELi1EEvPfPK15HIP_vector_typeIfLj2EEiiiiS1_IjLj3EES5_S5_S5_.uses_vcc, 1
	.set _ZL33flash_attn_stream_k_fixup_generalILi64ELi8ELi1EEvPfPK15HIP_vector_typeIfLj2EEiiiiS1_IjLj3EES5_S5_S5_.uses_flat_scratch, 0
	.set _ZL33flash_attn_stream_k_fixup_generalILi64ELi8ELi1EEvPfPK15HIP_vector_typeIfLj2EEiiiiS1_IjLj3EES5_S5_S5_.has_dyn_sized_stack, 0
	.set _ZL33flash_attn_stream_k_fixup_generalILi64ELi8ELi1EEvPfPK15HIP_vector_typeIfLj2EEiiiiS1_IjLj3EES5_S5_S5_.has_recursion, 0
	.set _ZL33flash_attn_stream_k_fixup_generalILi64ELi8ELi1EEvPfPK15HIP_vector_typeIfLj2EEiiiiS1_IjLj3EES5_S5_S5_.has_indirect_call, 0
	.section	.AMDGPU.csdata,"",@progbits
; Kernel info:
; codeLenInByte = 3352
; TotalNumSgprs: 48
; NumVgprs: 12
; ScratchSize: 0
; MemoryBound: 0
; FloatMode: 240
; IeeeMode: 1
; LDSByteSize: 0 bytes/workgroup (compile time only)
; SGPRBlocks: 0
; VGPRBlocks: 0
; NumSGPRsForWavesPerEU: 48
; NumVGPRsForWavesPerEU: 12
; NamedBarCnt: 0
; Occupancy: 16
; WaveLimiterHint : 0
; COMPUTE_PGM_RSRC2:SCRATCH_EN: 0
; COMPUTE_PGM_RSRC2:USER_SGPR: 2
; COMPUTE_PGM_RSRC2:TRAP_HANDLER: 0
; COMPUTE_PGM_RSRC2:TGID_X_EN: 1
; COMPUTE_PGM_RSRC2:TGID_Y_EN: 1
; COMPUTE_PGM_RSRC2:TGID_Z_EN: 1
; COMPUTE_PGM_RSRC2:TIDIG_COMP_CNT: 0
	.section	.text._ZL15flash_attn_tileILi64ELi64ELi4ELi1ELb0EEvPKcS1_S1_S1_S1_PKiPfP15HIP_vector_typeIfLj2EEffffjfiS5_IjLj3EEiiiiiiiiiiiliiliiiiil,"axG",@progbits,_ZL15flash_attn_tileILi64ELi64ELi4ELi1ELb0EEvPKcS1_S1_S1_S1_PKiPfP15HIP_vector_typeIfLj2EEffffjfiS5_IjLj3EEiiiiiiiiiiiliiliiiiil,comdat
	.globl	_ZL15flash_attn_tileILi64ELi64ELi4ELi1ELb0EEvPKcS1_S1_S1_S1_PKiPfP15HIP_vector_typeIfLj2EEffffjfiS5_IjLj3EEiiiiiiiiiiiliiliiiiil ; -- Begin function _ZL15flash_attn_tileILi64ELi64ELi4ELi1ELb0EEvPKcS1_S1_S1_S1_PKiPfP15HIP_vector_typeIfLj2EEffffjfiS5_IjLj3EEiiiiiiiiiiiliiliiiiil
	.p2align	8
	.type	_ZL15flash_attn_tileILi64ELi64ELi4ELi1ELb0EEvPKcS1_S1_S1_S1_PKiPfP15HIP_vector_typeIfLj2EEffffjfiS5_IjLj3EEiiiiiiiiiiiliiliiiiil,@function
_ZL15flash_attn_tileILi64ELi64ELi4ELi1ELb0EEvPKcS1_S1_S1_S1_PKiPfP15HIP_vector_typeIfLj2EEffffjfiS5_IjLj3EEiiiiiiiiiiiliiliiiiil: ; @_ZL15flash_attn_tileILi64ELi64ELi4ELi1ELb0EEvPKcS1_S1_S1_S1_PKiPfP15HIP_vector_typeIfLj2EEffffjfiS5_IjLj3EEiiiiiiiiiiiliiliiiiil
; %bb.0:
	s_clause 0x1
	s_load_b128 s[20:23], s[0:1], 0x5c
	s_load_b64 s[34:35], s[0:1], 0x80
	s_bfe_u32 s4, ttmp6, 0x40014
	s_lshr_b32 s3, ttmp7, 16
	s_add_co_i32 s4, s4, 1
	s_bfe_u32 s5, ttmp6, 0x40008
	s_mul_i32 s4, s3, s4
	s_getreg_b32 s41, hwreg(HW_REG_IB_STS2, 6, 4)
	s_add_co_i32 s5, s5, s4
	s_load_b64 s[38:39], s[0:1], 0xb8
	s_mov_b64 s[30:31], 0
	s_wait_kmcnt 0x0
	s_cvt_f32_u32 s2, s23
	s_sub_co_i32 s6, 0, s23
	s_delay_alu instid0(SALU_CYCLE_2) | instskip(SKIP_1) | instid1(TRANS32_DEP_1)
	v_rcp_iflag_f32_e32 v1, s2
	v_nop
	v_readfirstlane_b32 s2, v1
	s_mul_f32 s2, s2, 0x4f7ffffe
	s_delay_alu instid0(SALU_CYCLE_3) | instskip(NEXT) | instid1(SALU_CYCLE_3)
	s_cvt_u32_f32 s2, s2
	s_mul_i32 s6, s6, s2
	s_delay_alu instid0(SALU_CYCLE_1) | instskip(NEXT) | instid1(SALU_CYCLE_1)
	s_mul_hi_u32 s6, s2, s6
	s_add_co_i32 s2, s2, s6
	s_cmp_eq_u32 s41, 0
	s_cselect_b32 s3, s3, s5
	s_delay_alu instid0(SALU_CYCLE_1) | instskip(NEXT) | instid1(SALU_CYCLE_1)
	s_mul_hi_u32 s2, s3, s2
	s_mul_i32 s4, s2, s23
	s_add_co_i32 s5, s2, 1
	s_sub_co_i32 s4, s3, s4
	s_delay_alu instid0(SALU_CYCLE_1)
	s_sub_co_i32 s6, s4, s23
	s_cmp_ge_u32 s4, s23
	s_cselect_b32 s2, s5, s2
	s_cselect_b32 s4, s6, s4
	s_add_co_i32 s5, s2, 1
	s_cmp_ge_u32 s4, s23
	s_cselect_b32 s28, s5, s2
	s_abs_i32 s2, s35
	s_mul_i32 s6, s28, s23
	s_cvt_f32_u32 s4, s2
	s_sub_co_i32 s5, 0, s2
	s_abs_i32 s7, s23
	s_sub_co_i32 s33, s3, s6
	v_rcp_iflag_f32_e32 v1, s4
	v_nop
	s_delay_alu instid0(TRANS32_DEP_1) | instskip(SKIP_1) | instid1(SALU_CYCLE_3)
	v_readfirstlane_b32 s4, v1
	s_mul_f32 s4, s4, 0x4f7ffffe
	s_cvt_u32_f32 s4, s4
	s_delay_alu instid0(SALU_CYCLE_3) | instskip(NEXT) | instid1(SALU_CYCLE_1)
	s_mul_i32 s5, s5, s4
	s_mul_hi_u32 s5, s4, s5
	s_delay_alu instid0(SALU_CYCLE_1) | instskip(NEXT) | instid1(SALU_CYCLE_1)
	s_add_co_i32 s4, s4, s5
	s_mul_hi_u32 s3, s7, s4
	s_xor_b32 s4, s23, s35
	s_mul_i32 s5, s3, s2
	s_ashr_i32 s4, s4, 31
	s_sub_co_i32 s5, s7, s5
	s_add_co_i32 s6, s3, 1
	s_sub_co_i32 s7, s5, s2
	s_cmp_ge_u32 s5, s2
	s_cselect_b32 s3, s6, s3
	s_cselect_b32 s5, s7, s5
	s_add_co_i32 s6, s3, 1
	s_cmp_ge_u32 s5, s2
	s_cselect_b32 s2, s6, s3
	s_mov_b32 s3, 0
	s_xor_b32 s2, s2, s4
	s_delay_alu instid0(SALU_CYCLE_1) | instskip(SKIP_2) | instid1(SALU_CYCLE_1)
	s_sub_co_i32 s29, s2, s4
	s_load_b512 s[4:19], s[0:1], 0x0
	s_abs_i32 s42, s29
	s_cvt_f32_u32 s2, s42
	s_delay_alu instid0(SALU_CYCLE_3) | instskip(SKIP_1) | instid1(TRANS32_DEP_1)
	v_rcp_iflag_f32_e32 v1, s2
	v_nop
	v_readfirstlane_b32 s2, v1
	s_mul_f32 s2, s2, 0x4f7ffffe
	s_delay_alu instid0(SALU_CYCLE_3) | instskip(SKIP_1) | instid1(SALU_CYCLE_2)
	s_cvt_u32_f32 s24, s2
	s_sub_co_i32 s2, 0, s42
	s_mul_i32 s2, s2, s24
	s_delay_alu instid0(SALU_CYCLE_1)
	s_mul_hi_u32 s25, s24, s2
	s_abs_i32 s2, s33
	s_add_co_i32 s36, s24, s25
	s_wait_kmcnt 0x0
	s_cmp_eq_u64 s[10:11], 0
	s_cbranch_scc1 .LBB65_2
; %bb.1:
	s_abs_i32 s26, s38
	s_abs_i32 s27, s28
	s_cvt_f32_u32 s24, s26
	s_sub_co_i32 s25, 0, s26
	s_delay_alu instid0(SALU_CYCLE_2) | instskip(SKIP_1) | instid1(TRANS32_DEP_1)
	v_rcp_iflag_f32_e32 v1, s24
	v_nop
	v_readfirstlane_b32 s24, v1
	s_mul_f32 s24, s24, 0x4f7ffffe
	s_delay_alu instid0(SALU_CYCLE_3) | instskip(NEXT) | instid1(SALU_CYCLE_3)
	s_cvt_u32_f32 s24, s24
	s_mul_i32 s25, s25, s24
	s_delay_alu instid0(SALU_CYCLE_1) | instskip(NEXT) | instid1(SALU_CYCLE_1)
	s_mul_hi_u32 s25, s24, s25
	s_add_co_i32 s24, s24, s25
	s_delay_alu instid0(SALU_CYCLE_1) | instskip(SKIP_2) | instid1(SALU_CYCLE_1)
	s_mul_hi_u32 s30, s27, s24
	s_load_b64 s[24:25], s[0:1], 0xc8
	s_mul_i32 s30, s30, s26
	s_sub_co_i32 s27, s27, s30
	s_ashr_i32 s30, s28, 31
	s_sub_co_i32 s31, s27, s26
	s_cmp_ge_u32 s27, s26
	s_cselect_b32 s27, s31, s27
	s_delay_alu instid0(SALU_CYCLE_1) | instskip(SKIP_2) | instid1(SALU_CYCLE_1)
	s_sub_co_i32 s31, s27, s26
	s_cmp_ge_u32 s27, s26
	s_cselect_b32 s26, s31, s27
	s_xor_b32 s26, s26, s30
	s_delay_alu instid0(SALU_CYCLE_1) | instskip(NEXT) | instid1(SALU_CYCLE_1)
	s_sub_co_i32 s26, s26, s30
	s_ashr_i32 s27, s26, 31
	s_wait_kmcnt 0x0
	s_mul_u64 s[24:25], s[24:25], s[26:27]
	s_delay_alu instid0(SALU_CYCLE_1)
	s_add_nc_u64 s[30:31], s[10:11], s[24:25]
.LBB65_2:
	s_clause 0x1
	s_load_b128 s[24:27], s[0:1], 0x40
	s_load_b32 s10, s[0:1], 0x50
	v_mov_b32_e32 v75, 1.0
	s_mov_b32 s37, s3
	s_wait_kmcnt 0x0
	s_cmp_le_f32 s25, 0
	s_cbranch_scc1 .LBB65_4
; %bb.3:
	v_sub_co_u32 v1, s10, s33, s10
	s_and_b32 s25, s10, exec_lo
	s_cselect_b32 s25, s26, s27
	s_add_co_i32 s26, s33, 1
	v_readfirstlane_b32 s11, v1
	s_lshl_b32 s11, s11, 1
	s_delay_alu instid0(SALU_CYCLE_1) | instskip(SKIP_4) | instid1(SALU_CYCLE_3)
	s_or_b32 s11, s11, 1
	s_and_b32 s10, s10, exec_lo
	s_cselect_b32 s10, s26, s11
	s_cmp_neq_f32 s25, 1.0
	s_cvt_f32_i32 s10, s10
	s_cselect_b32 s11, s10, 1.0
	s_delay_alu instid0(SALU_CYCLE_1) | instskip(SKIP_1) | instid1(SALU_CYCLE_1)
	s_cmp_neq_f32 s11, 0
	s_cselect_b32 s10, s25, 1.0
	v_cvt_f64_f32_e64 v[2:3], |s10|
	s_delay_alu instid0(VALU_DEP_1) | instskip(SKIP_1) | instid1(VALU_DEP_1)
	v_frexp_exp_i32_f64_e32 v1, v[2:3]
	v_frexp_mant_f32_e64 v2, |s10|
	v_readfirstlane_b32 s25, v2
	s_cmp_lt_f32 s25, 0x3f2aaaab
	s_cselect_b32 vcc_lo, -1, 0
	s_delay_alu instid0(SALU_CYCLE_1) | instskip(SKIP_1) | instid1(SALU_CYCLE_1)
	s_and_b32 s26, vcc_lo, exec_lo
	s_cselect_b32 s26, 2.0, 1.0
	s_mul_f32 s25, s25, s26
	s_delay_alu instid0(SALU_CYCLE_3) | instskip(SKIP_1) | instid1(SALU_CYCLE_2)
	s_add_f32 s26, s25, 1.0
	s_add_f32 s35, s25, -1.0
	v_s_rcp_f32 s27, s26
	s_add_f32 s43, s26, -1.0
	v_subrev_co_ci_u32_e64 v1, null, 0, v1, vcc_lo
	s_delay_alu instid0(SALU_CYCLE_2) | instskip(NEXT) | instid1(TRANS32_DEP_1)
	s_sub_f32 s25, s25, s43
	s_mul_f32 s38, s35, s27
	v_cvt_f32_i32_e32 v1, v1
	s_delay_alu instid0(SALU_CYCLE_2) | instskip(NEXT) | instid1(SALU_CYCLE_3)
	s_mul_f32 s40, s26, s38
	v_dual_mov_b32 v3, s35 :: v_dual_mov_b32 v4, s40
	s_xor_b32 s44, s40, 0x80000000
	s_delay_alu instid0(SALU_CYCLE_1) | instskip(NEXT) | instid1(SALU_CYCLE_3)
	s_fmac_f32 s44, s38, s26
	s_fmac_f32 s44, s38, s25
	s_delay_alu instid0(SALU_CYCLE_3) | instskip(NEXT) | instid1(SALU_CYCLE_3)
	s_add_f32 s25, s40, s44
	v_dual_mov_b32 v6, s44 :: v_dual_mov_b32 v7, s25
	s_sub_f32 s26, s35, s25
	s_delay_alu instid0(SALU_CYCLE_3) | instskip(NEXT) | instid1(VALU_DEP_1)
	v_dual_mov_b32 v2, s25 :: v_dual_mov_b32 v5, s26
	v_pk_add_f32 v[2:3], v[2:3], v[4:5] neg_lo:[0,1] neg_hi:[0,1]
	s_delay_alu instid0(VALU_DEP_1) | instskip(NEXT) | instid1(VALU_DEP_1)
	v_pk_add_f32 v[2:3], v[2:3], v[6:7] neg_lo:[0,1] neg_hi:[0,1]
	v_readfirstlane_b32 s25, v3
	s_delay_alu instid0(VALU_DEP_2) | instskip(SKIP_1) | instid1(SALU_CYCLE_3)
	v_readfirstlane_b32 s35, v2
	s_add_f32 s25, s35, s25
	s_add_f32 s25, s26, s25
	s_delay_alu instid0(SALU_CYCLE_3) | instskip(NEXT) | instid1(SALU_CYCLE_3)
	s_mul_f32 s25, s27, s25
	s_add_f32 s26, s38, s25
	s_delay_alu instid0(SALU_CYCLE_3) | instskip(SKIP_1) | instid1(SALU_CYCLE_2)
	s_sub_f32 s27, s26, s38
	s_mul_f32 s35, s26, s26
	s_sub_f32 s25, s25, s27
	s_delay_alu instid0(SALU_CYCLE_2) | instskip(NEXT) | instid1(SALU_CYCLE_1)
	s_xor_b32 s27, s35, 0x80000000
	s_fmac_f32 s27, s26, s26
	s_delay_alu instid0(SALU_CYCLE_1) | instskip(NEXT) | instid1(SALU_CYCLE_3)
	s_add_f32 s38, s25, s25
	s_fmac_f32 s27, s26, s38
	s_mov_b32 s38, 0x3e76c4e1
	s_delay_alu instid0(SALU_CYCLE_2) | instskip(NEXT) | instid1(SALU_CYCLE_3)
	s_add_f32 s44, s35, s27
	s_fmaak_f32 s38, s44, s38, 0x3e91f4c4
	s_sub_f32 s35, s44, s35
	s_delay_alu instid0(SALU_CYCLE_2) | instskip(NEXT) | instid1(SALU_CYCLE_2)
	s_fmaak_f32 s38, s44, s38, 0x3ecccdef
	s_sub_f32 s35, s27, s35
	s_delay_alu instid0(SALU_CYCLE_2) | instskip(NEXT) | instid1(SALU_CYCLE_3)
	s_mul_f32 s40, s44, s38
	s_xor_b32 s43, s40, 0x80000000
	s_delay_alu instid0(SALU_CYCLE_1) | instskip(NEXT) | instid1(SALU_CYCLE_3)
	s_fmac_f32 s43, s44, s38
	s_fmac_f32 s43, s35, s38
	s_delay_alu instid0(SALU_CYCLE_3) | instskip(NEXT) | instid1(SALU_CYCLE_3)
	s_add_f32 s38, s40, s43
	s_sub_f32 s27, s38, s40
	s_add_f32 s40, s38, 0x3f2aaaaa
	s_delay_alu instid0(SALU_CYCLE_2) | instskip(NEXT) | instid1(SALU_CYCLE_2)
	s_sub_f32 s27, s43, s27
	s_add_f32 s43, s40, 0xbf2aaaaa
	s_delay_alu instid0(SALU_CYCLE_2) | instskip(NEXT) | instid1(SALU_CYCLE_2)
	s_add_f32 s27, s27, 0x31739010
	s_sub_f32 s45, s38, s43
	s_delay_alu instid0(SALU_CYCLE_2) | instskip(NEXT) | instid1(SALU_CYCLE_2)
	v_mov_b64_e32 v[2:3], s[26:27]
	v_mov_b64_e32 v[4:5], s[44:45]
	s_delay_alu instid0(VALU_DEP_1) | instskip(SKIP_2) | instid1(VALU_DEP_3)
	v_pk_mul_f32 v[6:7], v[2:3], v[4:5]
	v_pk_add_f32 v[2:3], v[2:3], v[4:5]
	v_mov_b32_e32 v9, s40
	v_xor_b32_e32 v8, 0x80000000, v6
	s_delay_alu instid0(VALU_DEP_3) | instskip(NEXT) | instid1(VALU_DEP_2)
	v_mov_b32_e32 v7, v3
	v_fmac_f32_e64 v8, s44, s26
	s_delay_alu instid0(VALU_DEP_1) | instskip(NEXT) | instid1(VALU_DEP_1)
	v_fmac_f32_e64 v8, s44, s25
	v_fmac_f32_e64 v8, s35, s26
	s_delay_alu instid0(VALU_DEP_1) | instskip(NEXT) | instid1(VALU_DEP_1)
	v_pk_add_f32 v[4:5], v[6:7], v[8:9]
	v_dual_mov_b32 v2, v5 :: v_dual_sub_f32 v7, s40, v5
	v_mul_f32_e32 v12, 0x3f317218, v1
	s_delay_alu instid0(VALU_DEP_2) | instskip(NEXT) | instid1(VALU_DEP_3)
	v_pk_mul_f32 v[10:11], v[4:5], v[2:3]
	v_add_f32_e32 v3, v3, v7
	s_delay_alu instid0(VALU_DEP_3) | instskip(NEXT) | instid1(VALU_DEP_3)
	v_xor_b32_e32 v7, 0x80000000, v12
	v_xor_b32_e32 v2, 0x80000000, v10
	s_delay_alu instid0(VALU_DEP_2) | instskip(NEXT) | instid1(VALU_DEP_2)
	v_dual_sub_f32 v6, v4, v6 :: v_dual_fmac_f32 v7, 0x3f317218, v1
	v_fmac_f32_e32 v2, v4, v5
	s_delay_alu instid0(VALU_DEP_2) | instskip(NEXT) | instid1(VALU_DEP_2)
	v_sub_f32_e32 v6, v8, v6
	v_fmac_f32_e32 v2, v4, v3
	s_delay_alu instid0(VALU_DEP_1) | instskip(SKIP_3) | instid1(VALU_DEP_2)
	v_fmac_f32_e32 v2, v6, v5
	v_fmamk_f32 v4, v1, 0xb102e308, v7
	v_ldexp_f32 v5, s26, 1
	v_ldexp_f32 v1, s25, 1
	v_dual_add_f32 v13, v10, v2 :: v_dual_mov_b32 v11, v5
	s_delay_alu instid0(VALU_DEP_1) | instskip(SKIP_1) | instid1(VALU_DEP_2)
	v_pk_add_f32 v[6:7], v[12:13], v[4:5]
	v_dual_mov_b32 v8, v13 :: v_dual_mov_b32 v3, v13
	v_dual_mov_b32 v9, v7 :: v_dual_mov_b32 v5, v6
	v_mov_b32_e32 v14, v7
	s_delay_alu instid0(VALU_DEP_2) | instskip(NEXT) | instid1(VALU_DEP_1)
	v_pk_add_f32 v[8:9], v[8:9], v[10:11] neg_lo:[0,1] neg_hi:[0,1]
	v_pk_add_f32 v[2:3], v[2:3], v[8:9] neg_lo:[0,1] neg_hi:[0,1]
	s_delay_alu instid0(VALU_DEP_1) | instskip(NEXT) | instid1(VALU_DEP_1)
	v_add_f32_e32 v1, v1, v2
	v_add_f32_e32 v13, v1, v3
	s_delay_alu instid0(VALU_DEP_1) | instskip(SKIP_1) | instid1(VALU_DEP_2)
	v_pk_add_f32 v[2:3], v[6:7], v[12:13]
	v_pk_add_f32 v[8:9], v[6:7], v[12:13] neg_lo:[0,1] neg_hi:[0,1]
	v_mov_b32_e32 v9, v3
	s_delay_alu instid0(VALU_DEP_1) | instskip(SKIP_2) | instid1(VALU_DEP_3)
	v_pk_add_f32 v[10:11], v[4:5], v[8:9]
	v_pk_add_f32 v[4:5], v[4:5], v[8:9] neg_lo:[0,1] neg_hi:[0,1]
	v_dual_mov_b32 v16, v3 :: v_dual_mov_b32 v5, v6
	v_dual_mov_b32 v12, v11 :: v_dual_mov_b32 v17, v11
	s_delay_alu instid0(VALU_DEP_3) | instskip(NEXT) | instid1(VALU_DEP_2)
	v_readfirstlane_b32 s25, v4
	v_pk_add_f32 v[8:9], v[12:13], v[6:7] neg_lo:[0,1] neg_hi:[0,1]
	s_delay_alu instid0(VALU_DEP_2) | instskip(NEXT) | instid1(VALU_DEP_2)
	v_dual_mov_b32 v4, v13 :: v_dual_mov_b32 v10, s25
	v_dual_mov_b32 v15, v8 :: v_dual_mov_b32 v1, v8
	s_delay_alu instid0(VALU_DEP_1) | instskip(NEXT) | instid1(VALU_DEP_2)
	v_pk_add_f32 v[6:7], v[16:17], v[14:15] neg_lo:[0,1] neg_hi:[0,1]
	v_pk_add_f32 v[2:3], v[2:3], v[0:1] neg_lo:[0,1] neg_hi:[0,1]
	v_mov_b32_e32 v2, s25
	s_delay_alu instid0(VALU_DEP_3) | instskip(NEXT) | instid1(VALU_DEP_1)
	v_pk_add_f32 v[4:5], v[4:5], v[6:7] neg_lo:[0,1] neg_hi:[0,1]
	v_pk_add_f32 v[2:3], v[2:3], v[4:5]
	s_delay_alu instid0(VALU_DEP_1) | instskip(NEXT) | instid1(VALU_DEP_2)
	v_readfirstlane_b32 s26, v2
	v_mov_b32_e32 v6, v3
	s_delay_alu instid0(VALU_DEP_1) | instskip(NEXT) | instid1(VALU_DEP_3)
	v_pk_add_f32 v[6:7], v[2:3], v[6:7]
	v_mov_b32_e32 v2, s26
	s_delay_alu instid0(VALU_DEP_2) | instskip(SKIP_1) | instid1(VALU_DEP_2)
	v_pk_add_f32 v[8:9], v[12:13], v[6:7]
	v_mov_b32_e32 v5, v6
	v_readfirstlane_b32 s27, v8
	s_delay_alu instid0(VALU_DEP_1) | instskip(NEXT) | instid1(VALU_DEP_1)
	v_mov_b32_e32 v3, s27
	v_pk_add_f32 v[2:3], v[2:3], v[10:11] neg_lo:[0,1] neg_hi:[0,1]
	s_delay_alu instid0(VALU_DEP_1) | instskip(NEXT) | instid1(VALU_DEP_2)
	v_readfirstlane_b32 s35, v2
	v_pk_add_f32 v[2:3], v[4:5], v[2:3] neg_lo:[0,1] neg_hi:[0,1]
	s_sub_f32 s26, s26, s35
	s_delay_alu instid0(VALU_DEP_1) | instskip(NEXT) | instid1(SALU_CYCLE_2)
	v_readfirstlane_b32 s35, v2
	s_sub_f32 s25, s25, s26
	v_readfirstlane_b32 s26, v3
	s_delay_alu instid0(SALU_CYCLE_2) | instskip(NEXT) | instid1(SALU_CYCLE_3)
	s_add_f32 s25, s35, s25
	s_add_f32 s25, s25, s26
	s_delay_alu instid0(SALU_CYCLE_3) | instskip(NEXT) | instid1(SALU_CYCLE_3)
	s_add_f32 s26, s27, s25
	s_mul_f32 s35, s11, s26
	s_sub_f32 s27, s26, s27
	s_delay_alu instid0(SALU_CYCLE_2) | instskip(NEXT) | instid1(SALU_CYCLE_2)
	s_xor_b32 s38, s35, 0x80000000
	s_sub_f32 s25, s25, s27
	s_fmac_f32 s38, s11, s26
	s_delay_alu instid0(SALU_CYCLE_3) | instskip(SKIP_1) | instid1(SALU_CYCLE_2)
	s_fmac_f32 s38, s11, s25
	v_cmp_class_f32_e64 s25, s35, 0x204
	s_add_f32 s26, s35, s38
	s_and_b32 s25, s25, exec_lo
	s_delay_alu instid0(SALU_CYCLE_2) | instskip(SKIP_1) | instid1(SALU_CYCLE_1)
	s_sub_f32 s25, s26, s35
	s_cselect_b32 s26, s35, s26
	s_and_b32 s27, s26, 0x7fffffff
	s_delay_alu instid0(SALU_CYCLE_1) | instskip(SKIP_1) | instid1(SALU_CYCLE_2)
	s_sub_f32 s25, s38, s25
	s_cmp_neq_f32 s27, 0x7f800000
	s_cselect_b32 s25, s25, 0
	s_cmp_eq_f32 s26, 0x42b17218
	s_cselect_b32 s27, 0x37000000, 0
	s_delay_alu instid0(SALU_CYCLE_1) | instskip(SKIP_1) | instid1(SALU_CYCLE_2)
	s_sub_f32 s26, s26, s27
	s_add_f32 s25, s27, s25
	s_mul_f32 s35, s26, 0x3fb8aa3b
	s_delay_alu instid0(SALU_CYCLE_3) | instskip(SKIP_3) | instid1(SALU_CYCLE_1)
	s_xor_b32 s38, s35, 0x80000000
	s_rndne_f32 s40, s35
	s_fmamk_f32 s38, s26, 0x3fb8aa3b, s38
	s_cmp_nlt_f32 s26, 0xc2ce8ed0
	s_sub_f32 s35, s35, s40
	s_delay_alu instid0(SALU_CYCLE_1)
	s_fmamk_f32 s38, s26, 0x32a5705f, s38
	s_cselect_b32 vcc_lo, -1, 0
	s_cmp_ngt_f32 s26, 0x42b17218
	s_trunc_f32 s26, s11
	s_add_f32 s35, s35, s38
	s_cvt_i32_f32 s38, s40
	s_delay_alu instid0(SALU_CYCLE_2)
	v_s_exp_f32 s35, s35
	v_nop
	s_delay_alu instid0(TRANS32_DEP_1) | instid1(SALU_CYCLE_1)
	v_ldexp_f32 v1, s35, s38
	s_mul_f32 s35, s11, 0.5
	s_delay_alu instid0(VALU_DEP_1) | instskip(SKIP_3) | instid1(VALU_DEP_1)
	v_cndmask_b32_e32 v1, 0, v1, vcc_lo
	s_cselect_b32 vcc_lo, -1, 0
	s_cmp_eq_f32 s26, s11
	s_trunc_f32 s38, s35
	v_cndmask_b32_e32 v1, 0x7f800000, v1, vcc_lo
	s_cselect_b32 s40, -1, 0
	s_delay_alu instid0(SALU_CYCLE_1) | instskip(NEXT) | instid1(VALU_DEP_1)
	s_cmp_neq_f32 s38, s35
	v_fma_f32 v2, s25, v1, v1
	v_cmp_class_f32_e64 vcc_lo, v1, 0x204
	s_cselect_b32 s27, -1, 0
	s_delay_alu instid0(SALU_CYCLE_1)
	s_and_b32 s25, s40, s27
	v_cndmask_b32_e32 v1, v2, v1, vcc_lo
	s_and_b32 s27, s25, exec_lo
	s_cselect_b32 s27, s10, 1.0
	s_cmp_eq_f32 s26, s11
	v_cmp_class_f32_e64 s26, s10, 0x204
	v_bfi_b32 v1, 0x7fffffff, v1, s27
	s_cselect_b32 vcc_lo, -1, 0
	s_cmp_lt_f32 s10, 0
	s_delay_alu instid0(VALU_DEP_1) | instskip(SKIP_2) | instid1(VALU_DEP_1)
	v_cndmask_b32_e32 v2, 0x7fc00000, v1, vcc_lo
	s_cselect_b32 vcc_lo, -1, 0
	s_cmp_eq_f32 s10, 0
	v_cndmask_b32_e32 v1, v1, v2, vcc_lo
	s_cselect_b32 s27, -1, 0
	s_delay_alu instid0(SALU_CYCLE_1) | instskip(SKIP_2) | instid1(SALU_CYCLE_1)
	s_or_b32 vcc_lo, s27, s26
	s_cmp_lt_f32 s11, 0
	s_cselect_b32 s11, -1, 0
	s_xor_b32 s11, s11, s27
	s_delay_alu instid0(SALU_CYCLE_1)
	s_and_b32 s11, s11, exec_lo
	s_cselect_b32 s11, 0, 0x7f800000
	s_and_b32 s25, s25, exec_lo
	s_cselect_b32 s25, s10, 0
	s_cmp_o_f32 s10, s10
	v_mov_b32_e32 v2, s25
	s_delay_alu instid0(VALU_DEP_1) | instskip(NEXT) | instid1(VALU_DEP_1)
	v_bfi_b32 v2, 0x7fffffff, s11, v2
	v_cndmask_b32_e32 v1, v1, v2, vcc_lo
	s_cselect_b32 vcc_lo, -1, 0
	s_delay_alu instid0(VALU_DEP_1)
	v_cndmask_b32_e32 v75, 0x7fc00000, v1, vcc_lo
.LBB65_4:
	s_bfe_u32 s25, ttmp6, 0x4000c
	s_and_b32 s26, ttmp6, 15
	s_add_co_i32 s25, s25, 1
	s_ashr_i32 s10, s33, 31
	s_mul_i32 s25, ttmp9, s25
	v_bfe_u32 v74, v0, 10, 10
	s_ashr_i32 s11, s29, 31
	s_add_co_i32 s26, s26, s25
	s_cmp_eq_u32 s41, 0
	s_load_b96 s[44:46], s[0:1], 0x70
	s_cselect_b32 s25, ttmp9, s26
	v_and_b32_e32 v71, 0x3ff, v0
	s_lshl_b32 s35, s25, 2
	v_dual_lshlrev_b32 v69, 1, v74 :: v_dual_mov_b32 v17, 0
	s_delay_alu instid0(VALU_DEP_1) | instskip(NEXT) | instid1(VALU_DEP_1)
	v_dual_lshlrev_b32 v16, 3, v71 :: v_dual_bitop2_b32 v68, 1, v69 bitop3:0x54
	v_dual_add_nc_u32 v70, s35, v68 :: v_dual_add_nc_u32 v72, s35, v69
	s_delay_alu instid0(VALU_DEP_1) | instskip(NEXT) | instid1(VALU_DEP_2)
	v_mul_hi_u32 v2, v70, s20
	v_mul_hi_u32 v1, v72, s20
	s_wait_kmcnt 0x0
	s_mul_i32 s26, s28, s46
	s_mul_i32 s46, s33, s45
	s_ashr_i32 s27, s26, 31
	s_ashr_i32 s47, s46, 31
	s_add_nc_u64 s[4:5], s[4:5], s[26:27]
	s_ashr_i32 s45, s44, 31
	s_add_nc_u64 s[4:5], s[4:5], s[46:47]
	s_delay_alu instid0(VALU_DEP_1) | instskip(NEXT) | instid1(VALU_DEP_1)
	v_dual_add_nc_u32 v2, v70, v2 :: v_dual_add_nc_u32 v1, v72, v1
	v_dual_lshrrev_b32 v0, s21, v2 :: v_dual_lshrrev_b32 v1, s21, v1
	s_delay_alu instid0(VALU_DEP_1) | instskip(NEXT) | instid1(VALU_DEP_2)
	v_mul_lo_u32 v2, v0, s22
	v_mul_lo_u32 v1, v1, s22
	s_delay_alu instid0(VALU_DEP_1) | instskip(SKIP_1) | instid1(VALU_DEP_4)
	v_dual_mov_b32 v19, v17 :: v_dual_sub_nc_u32 v18, v72, v1
	v_add_nc_u64_e32 v[0:1], s[4:5], v[16:17]
	v_sub_nc_u32_e32 v16, v70, v2
	s_lshr_b64 s[4:5], s[44:45], 2
	s_cmp_eq_u64 s[14:15], 0
	v_mul_u64_e32 v[2:3], s[4:5], v[18:19]
	s_delay_alu instid0(VALU_DEP_2) | instskip(SKIP_2) | instid1(VALU_DEP_2)
	v_mul_u64_e32 v[4:5], s[4:5], v[16:17]
	s_mul_u64 s[4:5], s[2:3], s[36:37]
	s_mov_b32 s37, 0
	v_lshl_add_u64 v[2:3], v[2:3], 2, v[0:1]
	s_delay_alu instid0(VALU_DEP_2)
	v_lshl_add_u64 v[0:1], v[4:5], 2, v[0:1]
	s_clause 0x1
	global_load_b64 v[4:5], v[2:3], off
	global_load_b64 v[6:7], v[0:1], off
	s_wait_xcnt 0x0
	v_lshl_add_u32 v0, v71, 2, 0x1200
	s_wait_loadcnt 0x1
	v_fma_mixlo_f16 v1, s24, v5, 0
	v_fma_mixlo_f16 v2, s24, v4, 0
	s_wait_loadcnt 0x0
	v_fma_mixlo_f16 v3, s24, v7, 0
	v_fma_mixlo_f16 v4, s24, v6, 0
	v_dual_lshlrev_b32 v76, 8, v74 :: v_dual_lshlrev_b32 v1, 16, v1
	v_and_b32_e32 v2, 0xffff, v2
	s_delay_alu instid0(VALU_DEP_4) | instskip(NEXT) | instid1(VALU_DEP_4)
	v_lshlrev_b32_e32 v3, 16, v3
	v_and_b32_e32 v4, 0xffff, v4
	s_delay_alu instid0(VALU_DEP_4) | instskip(SKIP_2) | instid1(VALU_DEP_4)
	v_add_nc_u32_e32 v5, v0, v76
	v_lshl_add_u32 v0, v68, 7, v0
	v_or_b32_e32 v1, v1, v2
	v_or_b32_e32 v2, v3, v4
	ds_store_b32 v5, v1
	ds_store_b32 v0, v2
	s_wait_dscnt 0x0
	s_barrier_signal -1
	s_barrier_wait -1
	s_cbranch_scc1 .LBB65_6
; %bb.5:
	s_load_b32 s3, s[0:1], 0xd0
	s_wait_kmcnt 0x0
	s_mul_i32 s3, s3, s28
	s_delay_alu instid0(SALU_CYCLE_1)
	s_add_co_i32 s3, s3, s25
	s_load_b32 s34, s[14:15], s3 offset:0x0 scale_offset
.LBB65_6:
	s_wait_xcnt 0x0
	s_clause 0x2
	s_load_b64 s[14:15], s[0:1], 0x8c
	s_load_b128 s[24:27], s[0:1], 0x98
	s_load_b64 s[44:45], s[0:1], 0xa8
	s_mul_i32 s3, s5, s42
	s_ashr_i32 s40, s39, 1
	s_sub_co_i32 s39, s2, s3
	s_mov_b32 s36, s20
	s_ashr_i32 s29, s28, 31
	s_xor_b32 s4, s10, s11
	s_add_co_i32 s20, s5, 1
	s_sub_co_i32 s43, s39, s42
	v_dual_lshrrev_b32 v78, 3, v71 :: v_dual_lshlrev_b32 v19, 2, v71
	v_mul_u32_u24_e32 v77, 0x90, v71
	v_mbcnt_lo_u32_b32 v73, -1, 0
	s_wait_kmcnt 0x0
	s_ashr_i32 s38, s14, 2
	s_ashr_i32 s14, s26, 2
	s_cmp_ge_u32 s39, s42
	s_mul_u64 s[2:3], s[24:25], s[28:29]
	s_cselect_b32 s5, s20, s5
	s_cselect_b32 s20, s43, s39
	s_add_co_i32 s24, s5, 1
	s_cmp_ge_u32 s20, s42
	s_add_nc_u64 s[2:3], s[6:7], s[2:3]
	s_cselect_b32 s5, s24, s5
	s_bfe_u32 s6, ttmp6, 0x40010
	s_xor_b32 s5, s5, s4
	s_and_b32 s20, ttmp7, 0xffff
	s_add_co_i32 s6, s6, 1
	s_sub_co_i32 s5, s5, s4
	s_bfe_u32 s7, ttmp6, 0x40004
	s_mul_i32 s6, s20, s6
	s_mul_i32 s4, s5, s15
	;; [unrolled: 1-line block ×3, first 2 shown]
	s_add_co_i32 s15, s7, s6
	s_ashr_i32 s5, s4, 31
	s_ashr_i32 s43, s42, 31
	s_cmp_eq_u32 s41, 0
	s_mul_u64 s[10:11], s[44:45], s[28:29]
	s_cselect_b32 s20, s20, s15
	s_add_nc_u64 s[6:7], s[2:3], s[4:5]
	s_sub_co_i32 s26, s34, 32
	s_lshl_b32 s24, s20, 5
	s_add_nc_u64 s[2:3], s[8:9], s[10:11]
	s_cmp_ge_i32 s24, s26
	s_add_nc_u64 s[10:11], s[2:3], s[42:43]
	s_cbranch_scc1 .LBB65_15
; %bb.7:
	v_dual_mov_b32 v23, 0 :: v_dual_bitop2_b32 v22, 1, v72 bitop3:0x54
	v_lshl_add_u32 v2, v74, 2, v78
	s_ashr_i32 s39, s38, 31
	s_lshl_b32 s2, s38, 3
	s_cmp_lg_u64 s[30:31], 0
	v_mul_u64_e32 v[0:1], s[36:37], v[22:23]
	v_and_b32_e32 v0, 28, v19
	v_mul_lo_u32 v24, s38, v2
	v_mul_lo_u32 v26, s14, v2
	s_cselect_b32 s27, -1, 0
	s_lshl_b32 s3, s14, 3
	v_mov_b32_e32 v41, 0xfeffffff
	v_mul_lo_u32 v80, v18, s40
	v_lshl_add_u32 v81, v74, 7, 0x1400
	v_dual_mov_b32 v60, v23 :: v_dual_add_nc_u32 v79, 0x1200, v76
	v_mbcnt_lo_u32_b32 v92, -1, 0
	v_mov_b32_e32 v40, 0xfeffffff
	v_dual_add_nc_u32 v28, s2, v24 :: v_dual_add_nc_u32 v30, s3, v26
	v_dual_ashrrev_i32 v25, 31, v24 :: v_dual_ashrrev_i32 v27, 31, v26
	s_ashr_i32 s15, s14, 31
	s_delay_alu instid0(VALU_DEP_2) | instskip(SKIP_2) | instid1(VALU_DEP_2)
	v_dual_add_nc_u32 v32, s2, v28 :: v_dual_add_nc_u32 v34, s3, v30
	v_dual_ashrrev_i32 v31, 31, v30 :: v_dual_ashrrev_i32 v29, 31, v28
	s_add_nc_u64 s[8:9], s[0:1], 0xd0
	v_dual_add_nc_u32 v36, s2, v32 :: v_dual_add_nc_u32 v38, s3, v34
	v_dual_mov_b32 v56, v23 :: v_dual_ashrrev_i32 v33, 31, v32
	s_delay_alu instid0(VALU_DEP_2) | instskip(NEXT) | instid1(VALU_DEP_3)
	v_dual_mov_b32 v16, v23 :: v_dual_ashrrev_i32 v37, 31, v36
	v_dual_ashrrev_i32 v39, 31, v38 :: v_dual_mov_b32 v17, v23
	v_dual_ashrrev_i32 v35, 31, v34 :: v_dual_add_nc_u32 v1, v22, v1
	v_dual_lshlrev_b32 v3, 2, v0 :: v_dual_add_nc_u32 v91, v81, v19
	s_delay_alu instid0(VALU_DEP_2) | instskip(NEXT) | instid1(VALU_DEP_2)
	v_lshrrev_b32_e32 v1, s21, v1
	v_mad_u32_u24 v82, 0x90, v2, v3
	v_lshl_or_b32 v83, v2, 7, v3
	s_delay_alu instid0(VALU_DEP_3) | instskip(NEXT) | instid1(VALU_DEP_3)
	v_mul_lo_u32 v1, v1, s22
	v_add_nc_u32_e32 v84, 0x480, v82
	v_add_nc_u32_e32 v85, 0x900, v82
	;; [unrolled: 1-line block ×6, first 2 shown]
	v_dual_sub_nc_u32 v1, v22, v1 :: v_dual_lshlrev_b32 v22, 2, v0
	s_delay_alu instid0(VALU_DEP_1)
	v_mul_lo_u32 v90, v1, s40
.LBB65_8:                               ; =>This Inner Loop Header: Depth=1
	s_ashr_i32 s25, s24, 31
	s_and_not1_b32 vcc_lo, exec_lo, s27
	s_mul_u64 s[2:3], s[24:25], s[38:39]
	v_mov_b32_e32 v49, 0
	s_lshl_b64 s[2:3], s[2:3], 2
	s_delay_alu instid0(SALU_CYCLE_1) | instskip(NEXT) | instid1(SALU_CYCLE_1)
	s_add_nc_u64 s[2:3], s[6:7], s[2:3]
	v_lshl_add_u64 v[0:1], v[24:25], 2, s[2:3]
	v_lshl_add_u64 v[2:3], v[28:29], 2, s[2:3]
	;; [unrolled: 1-line block ×4, first 2 shown]
	s_delay_alu instid0(VALU_DEP_4) | instskip(NEXT) | instid1(VALU_DEP_4)
	v_add_nc_u64_e32 v[0:1], v[0:1], v[22:23]
	v_add_nc_u64_e32 v[8:9], v[2:3], v[22:23]
	s_delay_alu instid0(VALU_DEP_4) | instskip(NEXT) | instid1(VALU_DEP_4)
	v_add_nc_u64_e32 v[10:11], v[4:5], v[22:23]
	v_add_nc_u64_e32 v[12:13], v[6:7], v[22:23]
	s_clause 0x3
	global_load_b128 v[0:3], v[0:1], off
	global_load_b128 v[4:7], v[8:9], off
	;; [unrolled: 1-line block ×4, first 2 shown]
	s_wait_loadcnt 0x3
	ds_store_b128 v82, v[0:3]
	s_wait_loadcnt 0x2
	ds_store_b128 v84, v[4:7]
	;; [unrolled: 2-line block ×4, first 2 shown]
	s_wait_dscnt 0x0
	s_barrier_signal -1
	s_barrier_wait -1
	ds_load_b128 v[2:5], v77
	ds_load_b128 v[6:9], v79
	ds_load_b128 v[10:13], v79 offset:128
	v_dual_mov_b32 v1, 0 :: v_dual_add_nc_u32 v0, s24, v71
	s_wait_dscnt 0x1
	;;#ASMSTART
	v_dot2_f32_f16 v1, v2, v6, v1
	;;#ASMEND
	;;#ASMSTART
	v_dot2_f32_f16 v1, v3, v7, v1
	;;#ASMEND
	;;#ASMSTART
	v_dot2_f32_f16 v1, v4, v8, v1
	;;#ASMEND
	;;#ASMSTART
	v_dot2_f32_f16 v1, v5, v9, v1
	;;#ASMEND
	s_wait_dscnt 0x0
	;;#ASMSTART
	v_dot2_f32_f16 v49, v2, v10, v49
	;;#ASMEND
	;;#ASMSTART
	v_dot2_f32_f16 v49, v3, v11, v49
	;;#ASMEND
	;;#ASMSTART
	v_dot2_f32_f16 v49, v4, v12, v49
	;;#ASMEND
	;;#ASMSTART
	v_dot2_f32_f16 v49, v5, v13, v49
	;;#ASMEND
	ds_load_b128 v[2:5], v77 offset:16
	ds_load_b128 v[6:9], v79 offset:16
	ds_load_b128 v[10:13], v79 offset:144
	s_wait_dscnt 0x1
	;;#ASMSTART
	v_dot2_f32_f16 v1, v2, v6, v1
	;;#ASMEND
	;;#ASMSTART
	v_dot2_f32_f16 v1, v3, v7, v1
	;;#ASMEND
	;;#ASMSTART
	v_dot2_f32_f16 v1, v4, v8, v1
	;;#ASMEND
	;;#ASMSTART
	v_dot2_f32_f16 v1, v5, v9, v1
	;;#ASMEND
	s_wait_dscnt 0x0
	;;#ASMSTART
	v_dot2_f32_f16 v49, v2, v10, v49
	;;#ASMEND
	;;#ASMSTART
	v_dot2_f32_f16 v49, v3, v11, v49
	;;#ASMEND
	;;#ASMSTART
	v_dot2_f32_f16 v49, v4, v12, v49
	;;#ASMEND
	;;#ASMSTART
	v_dot2_f32_f16 v49, v5, v13, v49
	;;#ASMEND
	ds_load_b128 v[2:5], v77 offset:32
	ds_load_b128 v[6:9], v79 offset:32
	ds_load_b128 v[10:13], v79 offset:160
	;; [unrolled: 29-line block ×7, first 2 shown]
	s_wait_dscnt 0x1
	;;#ASMSTART
	v_dot2_f32_f16 v1, v4, v8, v1
	;;#ASMEND
	v_mov_b32_e32 v2, 0
	;;#ASMSTART
	v_dot2_f32_f16 v1, v5, v9, v1
	;;#ASMEND
	;;#ASMSTART
	v_dot2_f32_f16 v1, v6, v10, v1
	;;#ASMEND
	;; [unrolled: 3-line block ×3, first 2 shown]
	s_wait_dscnt 0x0
	;;#ASMSTART
	v_dot2_f32_f16 v49, v4, v12, v49
	;;#ASMEND
	;;#ASMSTART
	v_dot2_f32_f16 v49, v5, v13, v49
	;;#ASMEND
	;; [unrolled: 3-line block ×4, first 2 shown]
	s_cbranch_vccnz .LBB65_10
; %bb.9:                                ;   in Loop: Header=BB65_8 Depth=1
	v_add_nc_u32_e32 v2, v0, v80
	global_load_u16 v2, v2, s[30:31] scale_offset
	s_wait_loadcnt 0x0
	v_cvt_f32_f16_e32 v2, v2
	s_delay_alu instid0(VALU_DEP_1)
	v_mul_f32_e32 v2, v75, v2
.LBB65_10:                              ;   in Loop: Header=BB65_8 Depth=1
	s_delay_alu instid0(VALU_DEP_1) | instskip(NEXT) | instid1(VALU_DEP_1)
	v_dual_add_f32 v21, v1, v2 :: v_dual_bitop2_b32 v3, 16, v92 bitop3:0x14
	v_cmp_gt_i32_e32 vcc_lo, 32, v3
	v_dual_max_num_f32 v1, v41, v41 :: v_dual_cndmask_b32 v2, v92, v3
	s_delay_alu instid0(VALU_DEP_1) | instskip(NEXT) | instid1(VALU_DEP_1)
	v_dual_add_f32 v3, 0x40051340, v21 :: v_dual_lshlrev_b32 v20, 2, v2
	v_dual_max_num_f32 v1, v1, v3 :: v_dual_bitop2_b32 v3, 8, v92 bitop3:0x14
	ds_bpermute_b32 v2, v20, v1
	v_cmp_gt_i32_e32 vcc_lo, 32, v3
	s_wait_dscnt 0x0
	v_dual_cndmask_b32 v3, v92, v3 :: v_dual_max_num_f32 v2, v2, v2
	s_delay_alu instid0(VALU_DEP_1) | instskip(SKIP_3) | instid1(VALU_DEP_1)
	v_dual_max_num_f32 v1, v1, v2 :: v_dual_lshlrev_b32 v42, 2, v3
	ds_bpermute_b32 v2, v42, v1
	s_wait_dscnt 0x0
	v_dual_max_num_f32 v2, v2, v2 :: v_dual_bitop2_b32 v3, 4, v92 bitop3:0x14
	v_cmp_gt_i32_e32 vcc_lo, 32, v3
	s_delay_alu instid0(VALU_DEP_2) | instskip(NEXT) | instid1(VALU_DEP_1)
	v_dual_max_num_f32 v1, v1, v2 :: v_dual_cndmask_b32 v3, v92, v3, vcc_lo
	v_dual_lshlrev_b32 v43, 2, v3 :: v_dual_bitop2_b32 v3, 2, v92 bitop3:0x14
	ds_bpermute_b32 v2, v43, v1
	v_cmp_gt_i32_e32 vcc_lo, 32, v3
	s_wait_dscnt 0x0
	v_dual_cndmask_b32 v3, v92, v3 :: v_dual_max_num_f32 v2, v2, v2
	s_delay_alu instid0(VALU_DEP_1) | instskip(SKIP_3) | instid1(VALU_DEP_1)
	v_dual_max_num_f32 v1, v1, v2 :: v_dual_lshlrev_b32 v44, 2, v3
	ds_bpermute_b32 v2, v44, v1
	s_wait_dscnt 0x0
	v_dual_max_num_f32 v2, v2, v2 :: v_dual_bitop2_b32 v3, 1, v92 bitop3:0x14
	v_cmp_gt_i32_e32 vcc_lo, 32, v3
	s_delay_alu instid0(VALU_DEP_2) | instskip(SKIP_1) | instid1(VALU_DEP_1)
	v_dual_max_num_f32 v45, v1, v2 :: v_dual_cndmask_b32 v3, v92, v3, vcc_lo
	s_and_not1_b32 vcc_lo, exec_lo, s27
	v_lshlrev_b32_e32 v46, 2, v3
	ds_bpermute_b32 v47, v46, v45
	s_cbranch_vccnz .LBB65_12
; %bb.11:                               ;   in Loop: Header=BB65_8 Depth=1
	v_add_nc_u32_e32 v0, v0, v90
	global_load_u16 v0, v0, s[30:31] scale_offset
	s_wait_loadcnt 0x0
	v_cvt_f32_f16_e32 v0, v0
	s_delay_alu instid0(VALU_DEP_1)
	v_mul_f32_e32 v48, v75, v0
	s_branch .LBB65_13
.LBB65_12:                              ;   in Loop: Header=BB65_8 Depth=1
	v_mov_b32_e32 v48, 0
.LBB65_13:                              ;   in Loop: Header=BB65_8 Depth=1
	s_mul_u64 s[2:3], s[24:25], s[14:15]
	s_wait_dscnt 0x0
	s_lshl_b64 s[2:3], s[2:3], 2
	s_barrier_signal -1
	s_add_nc_u64 s[2:3], s[10:11], s[2:3]
	s_barrier_wait -1
	v_lshl_add_u64 v[0:1], v[26:27], 2, s[2:3]
	v_lshl_add_u64 v[2:3], v[30:31], 2, s[2:3]
	;; [unrolled: 1-line block ×4, first 2 shown]
	s_delay_alu instid0(VALU_DEP_4) | instskip(NEXT) | instid1(VALU_DEP_4)
	v_add_nc_u64_e32 v[0:1], v[0:1], v[22:23]
	v_add_nc_u64_e32 v[8:9], v[2:3], v[22:23]
	s_delay_alu instid0(VALU_DEP_4) | instskip(NEXT) | instid1(VALU_DEP_4)
	v_add_nc_u64_e32 v[10:11], v[4:5], v[22:23]
	v_add_nc_u64_e32 v[12:13], v[6:7], v[22:23]
	v_add_f32_e32 v48, v49, v48
	v_max_num_f32_e32 v49, v40, v40
	v_add_nc_u32_e32 v61, 0x800, v19
	s_clause 0x3
	global_load_b128 v[0:3], v[0:1], off
	global_load_b128 v[4:7], v[8:9], off
	;; [unrolled: 1-line block ×4, first 2 shown]
	v_add_nc_u32_e32 v97, 0xc00, v19
	v_add_f32_e32 v50, 0x40051340, v48
	s_delay_alu instid0(VALU_DEP_1) | instskip(SKIP_3) | instid1(VALU_DEP_1)
	v_max_num_f32_e32 v49, v49, v50
	ds_bpermute_b32 v20, v20, v49
	s_wait_dscnt 0x0
	v_max_num_f32_e32 v20, v20, v20
	v_max_num_f32_e32 v20, v49, v20
	ds_bpermute_b32 v42, v42, v20
	s_wait_dscnt 0x0
	v_max_num_f32_e32 v42, v42, v42
	s_delay_alu instid0(VALU_DEP_1) | instskip(SKIP_3) | instid1(VALU_DEP_1)
	v_max_num_f32_e32 v20, v20, v42
	ds_bpermute_b32 v42, v43, v20
	s_wait_dscnt 0x0
	v_max_num_f32_e32 v42, v42, v42
	v_max_num_f32_e32 v20, v20, v42
	ds_bpermute_b32 v42, v44, v20
	s_wait_dscnt 0x0
	v_dual_max_num_f32 v44, v45, v45 :: v_dual_max_num_f32 v42, v42, v42
	s_delay_alu instid0(VALU_DEP_1) | instskip(SKIP_3) | instid1(VALU_DEP_1)
	v_dual_max_num_f32 v42, v20, v42 :: v_dual_max_num_f32 v20, v47, v47
	ds_bpermute_b32 v43, v46, v42
	v_max_num_f32_e32 v20, v44, v20
	s_wait_dscnt 0x0
	v_dual_sub_f32 v44, v21, v20 :: v_dual_max_num_f32 v21, v43, v43
	s_delay_alu instid0(VALU_DEP_1) | instskip(NEXT) | instid1(VALU_DEP_1)
	v_dual_max_num_f32 v21, v42, v21 :: v_dual_sub_f32 v41, v41, v20
	v_sub_f32_e32 v48, v48, v21
	s_delay_alu instid0(VALU_DEP_2) | instskip(NEXT) | instid1(VALU_DEP_4)
	v_mul_f32_e32 v45, 0x3fb8aa3b, v41
	v_dual_sub_f32 v50, v40, v21 :: v_dual_mul_f32 v43, 0x3fb8aa3b, v44
	v_cmp_ngt_f32_e64 s2, 0xc2ce8ed0, v44
	v_cmp_nlt_f32_e64 s3, 0x42b17218, v44
	s_delay_alu instid0(VALU_DEP_4) | instskip(SKIP_4) | instid1(VALU_DEP_4)
	v_fma_f32 v42, 0x3fb8aa3b, v41, -v45
	v_rndne_f32_e32 v46, v45
	v_fma_f32 v47, 0x3fb8aa3b, v44, -v43
	v_cmp_ngt_f32_e32 vcc_lo, 0xc2ce8ed0, v41
	v_cmp_nlt_f32_e64 s4, 0x42b17218, v41
	v_dual_fmac_f32 v42, 0x32a5705f, v41 :: v_dual_sub_f32 v45, v45, v46
	v_cvt_i32_f32_e32 v40, v46
	v_fmac_f32_e32 v47, 0x32a5705f, v44
	v_mul_f32_e32 v44, 0x3fb8aa3b, v50
	v_rndne_f32_e32 v49, v43
	v_mul_f32_e32 v46, 0x3fb8aa3b, v48
	v_add_f32_e32 v42, v45, v42
	v_cmp_nlt_f32_e64 s5, 0x42b17218, v48
	v_rndne_f32_e32 v52, v44
	v_sub_f32_e32 v43, v43, v49
	v_fma_f32 v45, 0x3fb8aa3b, v48, -v46
	v_rndne_f32_e32 v51, v46
	v_exp_f32_e32 v42, v42
	s_delay_alu instid0(VALU_DEP_3) | instskip(SKIP_1) | instid1(VALU_DEP_3)
	v_add_f32_e32 v43, v43, v47
	v_fma_f32 v47, 0x3fb8aa3b, v50, -v44
	v_dual_fmac_f32 v45, 0x32a5705f, v48 :: v_dual_sub_f32 v46, v46, v51
	v_sub_f32_e32 v44, v44, v52
	s_delay_alu instid0(VALU_DEP_4) | instskip(NEXT) | instid1(VALU_DEP_3)
	v_exp_f32_e32 v43, v43
	v_fmac_f32_e32 v47, 0x32a5705f, v50
	v_ldexp_f32 v40, v42, v40
	v_add_f32_e32 v45, v46, v45
	v_cvt_i32_f32_e32 v46, v49
	s_delay_alu instid0(VALU_DEP_4) | instskip(SKIP_1) | instid1(VALU_DEP_4)
	v_add_f32_e32 v41, v44, v47
	v_cvt_i32_f32_e32 v44, v51
	v_exp_f32_e32 v42, v45
	s_delay_alu instid0(VALU_DEP_3)
	v_ldexp_f32 v43, v43, v46
	v_cndmask_b32_e32 v45, 0, v40, vcc_lo
	v_exp_f32_e32 v40, v41
	v_cmp_ngt_f32_e32 vcc_lo, 0xc2ce8ed0, v48
	v_cvt_i32_f32_e32 v41, v52
	v_cndmask_b32_e64 v43, 0, v43, s2
	v_ldexp_f32 v42, v42, v44
	v_cmp_ngt_f32_e64 s2, 0xc2ce8ed0, v50
	s_delay_alu instid0(TRANS32_DEP_1) | instid1(VALU_DEP_4)
	v_ldexp_f32 v41, v40, v41
	s_delay_alu instid0(VALU_DEP_4) | instskip(NEXT) | instid1(VALU_DEP_4)
	v_cndmask_b32_e64 v40, 0x7f800000, v43, s3
	v_cndmask_b32_e32 v44, 0, v42, vcc_lo
	v_cndmask_b32_e64 v42, 0x7f800000, v45, s4
	v_cmp_nlt_f32_e32 vcc_lo, 0x42b17218, v50
	v_cndmask_b32_e64 v43, 0, v41, s2
	s_delay_alu instid0(VALU_DEP_4) | instskip(NEXT) | instid1(VALU_DEP_4)
	v_cndmask_b32_e64 v41, 0x7f800000, v44, s5
	v_cvt_f16_f32_e32 v44, v42
	s_delay_alu instid0(VALU_DEP_2) | instskip(NEXT) | instid1(VALU_DEP_2)
	v_cvt_pk_f16_f32 v45, v40, v41
	v_and_b32_e32 v44, 0xffff, v44
	ds_store_b32 v91, v45
	s_wait_loadcnt 0x3
	ds_store_b128 v83, v[0:3]
	s_wait_loadcnt 0x2
	ds_store_b128 v87, v[4:7]
	;; [unrolled: 2-line block ×4, first 2 shown]
	s_wait_dscnt 0x0
	s_barrier_signal -1
	s_barrier_wait -1
	ds_load_b128 v[0:3], v81
	v_cndmask_b32_e32 v43, 0x7f800000, v43, vcc_lo
	v_add_nc_u32_e32 v8, 0x400, v19
	v_mul_u32_u24_e32 v57, 0x10001, v44
	s_wait_dscnt 0x0
	v_lshrrev_b32_e32 v104, 16, v2
	v_cvt_f16_f32_e32 v46, v43
	v_lshrrev_b32_e32 v54, 16, v0
	v_and_b32_e32 v0, 0xffff, v0
	v_dual_lshrrev_b32 v103, 16, v1 :: v_dual_lshrrev_b32 v105, 16, v3
	s_delay_alu instid0(VALU_DEP_4) | instskip(SKIP_1) | instid1(VALU_DEP_4)
	v_and_b32_e32 v4, 0xffff, v46
	v_and_b32_e32 v1, 0xffff, v1
	v_mul_u32_u24_e32 v0, 0x10001, v0
	v_and_b32_e32 v2, 0xffff, v2
	v_and_b32_e32 v3, 0xffff, v3
	v_mul_u32_u24_e32 v102, 0x10001, v4
	ds_load_b128 v[4:7], v81 offset:16
	ds_load_2addr_b32 v[58:59], v19 offset1:32
	ds_load_b128 v[98:101], v81 offset:32
	ds_load_b128 v[12:15], v81 offset:48
	ds_load_2addr_b32 v[66:67], v19 offset0:64 offset1:96
	ds_load_2addr_b32 v[64:65], v19 offset0:128 offset1:160
	;; [unrolled: 1-line block ×3, first 2 shown]
	ds_load_2addr_b32 v[52:53], v8 offset1:32
	ds_load_2addr_b32 v[50:51], v8 offset0:64 offset1:96
	ds_load_2addr_b32 v[48:49], v8 offset0:128 offset1:160
	;; [unrolled: 1-line block ×3, first 2 shown]
	ds_load_2addr_b32 v[44:45], v61 offset1:32
	ds_load_b128 v[8:11], v81 offset:64
	v_mul_u32_u24_e32 v1, 0x10001, v1
	v_pk_fma_f32 v[16:17], v[16:17], v[42:43], v[40:41]
	v_mul_u32_u24_e32 v3, 0x10001, v3
	s_wait_dscnt 0xc
	v_dual_lshrrev_b32 v106, 16, v4 :: v_dual_lshrrev_b32 v108, 16, v5
	v_and_b32_e32 v107, 0xffff, v4
	v_mul_u32_u24_e32 v4, 0x10001, v54
	s_wait_dscnt 0xb
	v_pk_mul_f16 v0, v58, v0
	s_wait_dscnt 0xa
	v_dual_lshrrev_b32 v95, 16, v100 :: v_dual_lshrrev_b32 v93, 16, v101
	v_and_b32_e32 v96, 0xffff, v100
	v_pk_mul_f16 v4, v58, v4
	v_pk_fma_f16 v0, v56, v57, v0
	v_mul_u32_u24_e32 v58, 0x10001, v103
	v_and_b32_e32 v94, 0xffff, v101
	v_mul_u32_u24_e32 v101, 0x10001, v104
	v_pk_fma_f16 v100, v60, v102, v4
	v_pk_fma_f16 v0, v59, v1, v0
	v_mul_u32_u24_e32 v1, 0x10001, v2
	v_and_b32_e32 v109, 0xffff, v5
	v_dual_lshrrev_b32 v110, 16, v6 :: v_dual_lshrrev_b32 v112, 16, v7
	v_pk_fma_f16 v2, v59, v58, v100
	s_wait_dscnt 0x8
	v_pk_fma_f16 v0, v66, v1, v0
	v_mul_u32_u24_e32 v1, 0x10001, v105
	v_and_b32_e32 v111, 0xffff, v6
	v_lshrrev_b32_e32 v100, 16, v12
	v_pk_fma_f16 v2, v66, v101, v2
	v_pk_fma_f16 v0, v67, v3, v0
	v_mul_u32_u24_e32 v3, 0x10001, v106
	v_and_b32_e32 v105, 0xffff, v12
	v_lshrrev_b32_e32 v101, 16, v13
	v_pk_fma_f16 v1, v67, v1, v2
	v_mul_u32_u24_e32 v2, 0x10001, v107
	v_and_b32_e32 v104, 0xffff, v13
	v_dual_lshrrev_b32 v67, 16, v14 :: v_dual_lshrrev_b32 v66, 16, v15
	v_and_b32_e32 v102, 0xffff, v14
	v_mul_u32_u24_e32 v12, 0x10001, v109
	s_wait_dscnt 0x7
	v_pk_fma_f16 v13, v64, v2, v0
	v_and_b32_e32 v103, 0xffff, v15
	v_mul_u32_u24_e32 v14, 0x10001, v108
	v_pk_fma_f16 v15, v64, v3, v1
	v_and_b32_e32 v113, 0xffff, v7
	v_pk_fma_f16 v64, v65, v12, v13
	v_mul_u32_u24_e32 v106, 0x10001, v111
	v_mul_u32_u24_e32 v107, 0x10001, v110
	v_pk_fma_f16 v65, v65, v14, v15
	v_lshrrev_b32_e32 v114, 16, v98
	v_and_b32_e32 v115, 0xffff, v98
	v_mul_u32_u24_e32 v109, 0x10001, v113
	s_wait_dscnt 0x6
	v_pk_fma_f16 v64, v62, v106, v64
	v_mul_u32_u24_e32 v106, 0x10001, v112
	v_pk_fma_f16 v62, v62, v107, v65
	v_lshrrev_b32_e32 v98, 16, v99
	v_and_b32_e32 v99, 0xffff, v99
	s_wait_dscnt 0x0
	v_dual_lshrrev_b32 v108, 16, v8 :: v_dual_lshrrev_b32 v107, 16, v9
	v_and_b32_e32 v65, 0xffff, v8
	v_pk_fma_f16 v8, v63, v109, v64
	v_and_b32_e32 v64, 0xffff, v9
	v_pk_fma_f16 v62, v63, v106, v62
	v_mul_u32_u24_e32 v9, 0x10001, v115
	v_mul_u32_u24_e32 v63, 0x10001, v114
	ds_load_2addr_b32 v[58:59], v97 offset1:32
	ds_load_2addr_b32 v[12:13], v97 offset0:64 offset1:96
	ds_load_2addr_b32 v[14:15], v97 offset0:128 offset1:160
	v_pk_fma_f16 v112, v52, v9, v8
	v_pk_fma_f16 v52, v52, v63, v62
	ds_load_2addr_b32 v[62:63], v97 offset0:192 offset1:224
	v_mul_u32_u24_e32 v97, 0x10001, v99
	v_mul_u32_u24_e32 v98, 0x10001, v98
	;; [unrolled: 1-line block ×5, first 2 shown]
	v_pk_fma_f16 v97, v53, v97, v112
	v_pk_fma_f16 v52, v53, v98, v52
	v_mul_u32_u24_e32 v93, 0x10001, v93
	v_mul_u32_u24_e32 v67, 0x10001, v67
	ds_load_2addr_b32 v[54:55], v61 offset0:64 offset1:96
	v_pk_fma_f16 v96, v50, v96, v97
	v_pk_fma_f16 v50, v50, v95, v52
	v_mul_u32_u24_e32 v52, 0x10001, v105
	v_mul_u32_u24_e32 v95, 0x10001, v100
	ds_load_b128 v[4:7], v81 offset:80
	ds_load_b128 v[0:3], v81 offset:96
	v_pk_fma_f16 v94, v51, v94, v96
	v_pk_fma_f16 v50, v51, v93, v50
	v_mul_u32_u24_e32 v93, 0x10001, v104
	v_mul_u32_u24_e32 v96, 0x10001, v101
	;; [unrolled: 1-line block ×3, first 2 shown]
	v_pk_fma_f16 v52, v48, v52, v94
	v_pk_fma_f16 v48, v48, v95, v50
	v_mul_u32_u24_e32 v50, 0x10001, v102
	ds_load_2addr_b32 v[56:57], v61 offset0:128 offset1:160
	v_dual_lshrrev_b32 v106, 16, v10 :: v_dual_lshrrev_b32 v110, 16, v11
	v_pk_fma_f16 v52, v49, v93, v52
	v_pk_fma_f16 v48, v49, v96, v48
	v_mul_u32_u24_e32 v93, 0x10001, v103
	v_and_b32_e32 v109, 0xffff, v10
	v_mul_u32_u24_e32 v64, 0x10001, v64
	v_pk_fma_f16 v50, v46, v50, v52
	v_pk_fma_f16 v46, v46, v67, v48
	v_mul_u32_u24_e32 v48, 0x10001, v65
	v_mul_u32_u24_e32 v52, 0x10001, v108
	;; [unrolled: 1-line block ×3, first 2 shown]
	v_pk_fma_f16 v50, v47, v93, v50
	v_pk_fma_f16 v46, v47, v66, v46
	v_and_b32_e32 v111, 0xffff, v11
	ds_load_2addr_b32 v[60:61], v61 offset0:192 offset1:224
	s_wait_dscnt 0x3
	v_dual_lshrrev_b32 v99, 16, v4 :: v_dual_lshrrev_b32 v53, 16, v5
	v_pk_fma_f16 v48, v44, v48, v50
	v_pk_fma_f16 v44, v44, v52, v46
	v_mul_u32_u24_e32 v46, 0x10001, v109
	v_mul_u32_u24_e32 v50, 0x10001, v106
	v_and_b32_e32 v4, 0xffff, v4
	v_pk_fma_f16 v48, v45, v64, v48
	v_pk_fma_f16 v44, v45, v65, v44
	v_mul_u32_u24_e32 v52, 0x10001, v111
	v_mul_u32_u24_e32 v64, 0x10001, v110
	ds_load_b128 v[8:11], v81 offset:112
	v_pk_fma_f16 v46, v54, v46, v48
	v_pk_fma_f16 v44, v54, v50, v44
	v_and_b32_e32 v5, 0xffff, v5
	v_mul_u32_u24_e32 v4, 0x10001, v4
	v_mul_u32_u24_e32 v48, 0x10001, v99
	v_pk_fma_f16 v46, v55, v52, v46
	v_pk_fma_f16 v44, v55, v64, v44
	v_dual_lshrrev_b32 v97, 16, v6 :: v_dual_lshrrev_b32 v51, 16, v7
	v_and_b32_e32 v6, 0xffff, v6
	v_mul_u32_u24_e32 v5, 0x10001, v5
	v_mul_u32_u24_e32 v52, 0x10001, v53
	s_wait_dscnt 0x2
	v_pk_fma_f16 v4, v56, v4, v46
	v_pk_fma_f16 v44, v56, v48, v44
	v_and_b32_e32 v7, 0xffff, v7
	v_mul_u32_u24_e32 v6, 0x10001, v6
	v_mul_u32_u24_e32 v46, 0x10001, v97
	v_pk_fma_f16 v4, v57, v5, v4
	v_pk_fma_f16 v5, v57, v52, v44
	v_dual_lshrrev_b32 v49, 16, v0 :: v_dual_lshrrev_b32 v47, 16, v1
	v_and_b32_e32 v0, 0xffff, v0
	v_mul_u32_u24_e32 v7, 0x10001, v7
	v_mul_u32_u24_e32 v48, 0x10001, v51
	s_wait_dscnt 0x1
	v_pk_fma_f16 v4, v60, v6, v4
	v_pk_fma_f16 v5, v60, v46, v5
	v_and_b32_e32 v1, 0xffff, v1
	s_wait_dscnt 0x0
	v_lshrrev_b32_e32 v44, 16, v8
	v_and_b32_e32 v6, 0xffff, v8
	v_mul_u32_u24_e32 v0, 0x10001, v0
	v_mul_u32_u24_e32 v8, 0x10001, v49
	v_pk_fma_f16 v4, v61, v7, v4
	v_pk_fma_f16 v5, v61, v48, v5
	v_dual_lshrrev_b32 v45, 16, v2 :: v_dual_lshrrev_b32 v50, 16, v3
	v_and_b32_e32 v2, 0xffff, v2
	v_mul_u32_u24_e32 v1, 0x10001, v1
	v_mul_u32_u24_e32 v46, 0x10001, v47
	v_pk_fma_f16 v0, v58, v0, v4
	v_pk_fma_f16 v4, v58, v8, v5
	v_and_b32_e32 v3, 0xffff, v3
	v_mul_u32_u24_e32 v2, 0x10001, v2
	v_mul_u32_u24_e32 v8, 0x10001, v45
	v_pk_fma_f16 v0, v59, v1, v0
	v_pk_fma_f16 v1, v59, v46, v4
	v_lshrrev_b32_e32 v7, 16, v9
	v_and_b32_e32 v5, 0xffff, v9
	v_mul_u32_u24_e32 v3, 0x10001, v3
	v_mul_u32_u24_e32 v9, 0x10001, v50
	v_pk_fma_f16 v0, v12, v2, v0
	v_pk_fma_f16 v1, v12, v8, v1
	s_barrier_signal -1
	s_barrier_wait -1
	s_load_b32 s2, s[8:9], 0x4
	v_mul_u32_u24_e32 v6, 0x10001, v6
	v_mul_u32_u24_e32 v8, 0x10001, v44
	v_pk_fma_f16 v0, v13, v3, v0
	v_pk_fma_f16 v1, v13, v9, v1
	v_dual_lshrrev_b32 v4, 16, v10 :: v_dual_lshrrev_b32 v3, 16, v11
	v_and_b32_e32 v2, 0xffff, v10
	v_mul_u32_u24_e32 v5, 0x10001, v5
	v_mul_u32_u24_e32 v7, 0x10001, v7
	v_pk_fma_f16 v0, v14, v6, v0
	v_pk_fma_f16 v1, v14, v8, v1
	v_and_b32_e32 v6, 0xffff, v11
	v_mul_u32_u24_e32 v2, 0x10001, v2
	v_mul_u32_u24_e32 v4, 0x10001, v4
	v_pk_fma_f16 v0, v15, v5, v0
	v_pk_fma_f16 v1, v15, v7, v1
	v_mul_u32_u24_e32 v5, 0x10001, v6
	v_mul_u32_u24_e32 v3, 0x10001, v3
	s_delay_alu instid0(VALU_DEP_4) | instskip(NEXT) | instid1(VALU_DEP_4)
	v_pk_fma_f16 v0, v62, v2, v0
	v_pk_fma_f16 v1, v62, v4, v1
	s_wait_kmcnt 0x0
	s_lshl_b32 s2, s2, 5
	s_delay_alu instid0(SALU_CYCLE_1)
	s_add_co_i32 s24, s2, s24
	v_pk_fma_f16 v56, v63, v5, v0
	v_pk_fma_f16 v60, v63, v3, v1
	s_cmp_lt_i32 s24, s26
	s_cbranch_scc0 .LBB65_16
; %bb.14:                               ;   in Loop: Header=BB65_8 Depth=1
	v_dual_mov_b32 v41, v20 :: v_dual_mov_b32 v40, v21
	s_branch .LBB65_8
.LBB65_15:
	v_mov_b64_e32 v[20:21], 0xfefffffffeffffff
	v_dual_mov_b32 v56, 0 :: v_dual_mov_b32 v16, 0
	v_mov_b32_e32 v60, 0
.LBB65_16:
	v_lshlrev_b32_e32 v42, 1, v71
	s_cmp_gt_i32 s34, s24
	s_cbranch_scc1 .LBB65_19
; %bb.17:
	v_mbcnt_lo_u32_b32 v0, -1, 0
	v_mov_b32_e32 v46, 32
	s_delay_alu instid0(VALU_DEP_2)
	v_xor_b32_e32 v43, 16, v0
	v_xor_b32_e32 v44, 8, v0
	;; [unrolled: 1-line block ×5, first 2 shown]
	s_cbranch_execz .LBB65_20
; %bb.18:
	v_mov_b32_e32 v73, v0
	s_branch .LBB65_30
.LBB65_19:
                                        ; implicit-def: $vgpr0
                                        ; implicit-def: $vgpr46
                                        ; implicit-def: $vgpr43
                                        ; implicit-def: $vgpr44
                                        ; implicit-def: $vgpr45
                                        ; implicit-def: $vgpr47
                                        ; implicit-def: $vgpr48
.LBB65_20:
	v_lshl_add_u32 v2, v74, 2, v78
	s_ashr_i32 s25, s24, 31
	s_ashr_i32 s39, s38, 31
	v_dual_mov_b32 v6, 0 :: v_dual_lshlrev_b32 v7, 20, v73
	s_delay_alu instid0(VALU_DEP_2)
	v_mul_lo_u32 v0, s38, v2
	s_mul_u64 s[2:3], s[24:25], s[38:39]
	v_and_b32_e32 v3, 28, v19
	s_lshl_b64 s[2:3], s[2:3], 2
	v_add_nc_u64_e32 v[14:15], src_flat_scratch_base_lo, v[6:7]
	s_add_nc_u64 s[8:9], s[6:7], s[2:3]
	s_sub_co_i32 s7, s34, s24
	s_mov_b32 s4, 0
	v_cmp_gt_i32_e64 s2, s7, v2
	s_mov_b32 s6, s4
	s_mov_b32 s5, s4
	v_dual_ashrrev_i32 v1, 31, v0 :: v_dual_mov_b32 v5, 0
	v_dual_lshlrev_b32 v4, 2, v3 :: v_dual_mov_b32 v24, s6
	v_mov_b32_e32 v23, s5
	s_delay_alu instid0(VALU_DEP_3) | instskip(NEXT) | instid1(VALU_DEP_3)
	v_lshl_add_u64 v[8:9], v[0:1], 2, s[8:9]
	v_mad_u32_u24 v3, 0x90, v2, v4
	s_delay_alu instid0(VALU_DEP_2) | instskip(SKIP_4) | instid1(VALU_DEP_3)
	v_add_nc_u64_e32 v[6:7], v[8:9], v[4:5]
	v_mov_b32_e32 v22, s4
	s_lshl_b32 s5, s38, 3
	s_cmp_lg_u64 s[30:31], 0
	v_cmp_gt_i32_e64 s6, s7, v71
	v_dual_add_nc_u32 v0, s5, v0 :: v_dual_cndmask_b32 v6, v14, v6, s2
	s_delay_alu instid0(VALU_DEP_4)
	v_cndmask_b32_e64 v7, v15, v7, s2
	s_clause 0x1
	scratch_store_b32 off, v5, off
	scratch_store_b96 off, v[22:24], off offset:4
	v_ashrrev_i32_e32 v1, 31, v0
	flat_load_b128 v[8:11], v[6:7]
	s_wait_xcnt 0x0
	v_add_nc_u32_e32 v7, 8, v2
	s_clause 0x1
	scratch_store_b32 off, v5, off
	scratch_store_b96 off, v[22:24], off offset:4
	v_lshl_add_u64 v[12:13], v[0:1], 2, s[8:9]
	v_dual_add_nc_u32 v0, s5, v0 :: v_dual_add_nc_u32 v6, 24, v2
	v_cmp_gt_i32_e64 s3, s7, v7
	s_delay_alu instid0(VALU_DEP_3) | instskip(NEXT) | instid1(VALU_DEP_1)
	v_add_nc_u64_e32 v[12:13], v[12:13], v[4:5]
	v_dual_cndmask_b32 v13, v15, v13, s3 :: v_dual_cndmask_b32 v12, v14, v12, s3
	s_wait_loadcnt_dscnt 0x0
	ds_store_b128 v3, v[8:11]
	flat_load_b128 v[10:13], v[12:13]
	v_add_nc_u32_e32 v8, 16, v2
	s_clause 0x1
	scratch_store_b32 off, v5, off
	scratch_store_b96 off, v[22:24], off offset:4
	v_add_nc_u32_e32 v9, s24, v71
	v_cmp_gt_i32_e64 s4, s7, v8
	v_ashrrev_i32_e32 v1, 31, v0
	s_delay_alu instid0(VALU_DEP_1) | instskip(SKIP_2) | instid1(VALU_DEP_3)
	v_lshl_add_u64 v[26:27], v[0:1], 2, s[8:9]
	v_add_nc_u32_e32 v0, s5, v0
	v_cmp_gt_i32_e64 s5, s7, v6
	v_add_nc_u64_e32 v[26:27], v[26:27], v[4:5]
	s_delay_alu instid0(VALU_DEP_3) | instskip(NEXT) | instid1(VALU_DEP_1)
	v_ashrrev_i32_e32 v1, 31, v0
	v_lshl_add_u64 v[0:1], v[0:1], 2, s[8:9]
	s_delay_alu instid0(VALU_DEP_3) | instskip(SKIP_1) | instid1(VALU_DEP_2)
	v_dual_cndmask_b32 v27, v15, v27, s4 :: v_dual_cndmask_b32 v26, v14, v26, s4
	s_cselect_b32 s9, -1, 0
	v_add_nc_u64_e32 v[0:1], v[0:1], v[4:5]
	s_delay_alu instid0(VALU_DEP_1)
	v_dual_cndmask_b32 v1, v15, v1, s5 :: v_dual_cndmask_b32 v0, v14, v0, s5
	s_wait_loadcnt_dscnt 0x0
	ds_store_b128 v3, v[10:13] offset:1152
	flat_load_b128 v[10:13], v[26:27]
	s_clause 0x1
	scratch_store_b32 off, v5, off
	scratch_store_b96 off, v[22:24], off offset:4
	s_wait_loadcnt_dscnt 0x0
	ds_store_b128 v3, v[10:13] offset:2304
	flat_load_b128 v[10:13], v[0:1]
	s_wait_xcnt 0x0
	v_dual_mov_b32 v0, v5 :: v_dual_mov_b32 v1, v5
	s_wait_loadcnt_dscnt 0x0
	ds_store_b128 v3, v[10:13] offset:3456
	s_wait_storecnt_dscnt 0x0
	s_barrier_signal -1
	s_barrier_wait -1
	ds_load_b128 v[10:13], v77
	ds_load_b128 v[22:25], v76 offset:4608
	ds_load_b128 v[26:29], v76 offset:4736
	v_mov_b32_e32 v3, v20
	s_wait_dscnt 0x1
	;;#ASMSTART
	v_dot2_f32_f16 v0, v10, v22, v0
	;;#ASMEND
	;;#ASMSTART
	v_dot2_f32_f16 v0, v11, v23, v0
	;;#ASMEND
	;;#ASMSTART
	v_dot2_f32_f16 v0, v12, v24, v0
	;;#ASMEND
	;;#ASMSTART
	v_dot2_f32_f16 v0, v13, v25, v0
	;;#ASMEND
	s_wait_dscnt 0x0
	;;#ASMSTART
	v_dot2_f32_f16 v1, v10, v26, v1
	;;#ASMEND
	;;#ASMSTART
	v_dot2_f32_f16 v1, v11, v27, v1
	;;#ASMEND
	;;#ASMSTART
	v_dot2_f32_f16 v1, v12, v28, v1
	;;#ASMEND
	;;#ASMSTART
	v_dot2_f32_f16 v1, v13, v29, v1
	;;#ASMEND
	ds_load_b128 v[10:13], v77 offset:16
	ds_load_b128 v[22:25], v76 offset:4624
	ds_load_b128 v[26:29], v76 offset:4752
	s_wait_dscnt 0x1
	;;#ASMSTART
	v_dot2_f32_f16 v0, v10, v22, v0
	;;#ASMEND
	;;#ASMSTART
	v_dot2_f32_f16 v0, v11, v23, v0
	;;#ASMEND
	;;#ASMSTART
	v_dot2_f32_f16 v0, v12, v24, v0
	;;#ASMEND
	;;#ASMSTART
	v_dot2_f32_f16 v0, v13, v25, v0
	;;#ASMEND
	s_wait_dscnt 0x0
	;;#ASMSTART
	v_dot2_f32_f16 v1, v10, v26, v1
	;;#ASMEND
	;;#ASMSTART
	v_dot2_f32_f16 v1, v11, v27, v1
	;;#ASMEND
	;;#ASMSTART
	v_dot2_f32_f16 v1, v12, v28, v1
	;;#ASMEND
	;;#ASMSTART
	v_dot2_f32_f16 v1, v13, v29, v1
	;;#ASMEND
	ds_load_b128 v[10:13], v77 offset:32
	ds_load_b128 v[22:25], v76 offset:4640
	ds_load_b128 v[26:29], v76 offset:4768
	;; [unrolled: 29-line block ×7, first 2 shown]
	s_wait_dscnt 0x1
	;;#ASMSTART
	v_dot2_f32_f16 v0, v12, v22, v0
	;;#ASMEND
	v_cndmask_b32_e64 v10, 0, 1, s9
	;;#ASMSTART
	v_dot2_f32_f16 v0, v13, v23, v0
	;;#ASMEND
	;;#ASMSTART
	v_dot2_f32_f16 v0, v14, v24, v0
	;;#ASMEND
	;; [unrolled: 3-line block ×3, first 2 shown]
	s_wait_dscnt 0x0
	;;#ASMSTART
	v_dot2_f32_f16 v1, v12, v26, v1
	;;#ASMEND
	;;#ASMSTART
	v_dot2_f32_f16 v1, v13, v27, v1
	;;#ASMEND
	;; [unrolled: 3-line block ×4, first 2 shown]
	s_and_saveexec_b32 s8, s6
	s_cbranch_execz .LBB65_24
; %bb.21:
	s_and_not1_b32 vcc_lo, exec_lo, s9
	s_cbranch_vccnz .LBB65_23
; %bb.22:
	v_mad_u32 v3, v18, s40, v9
	global_load_u16 v3, v3, s[30:31] scale_offset
	s_wait_loadcnt 0x0
	v_cvt_f32_f16_e32 v3, v3
	s_delay_alu instid0(VALU_DEP_1)
	v_mul_f32_e32 v5, v75, v3
.LBB65_23:
	s_delay_alu instid0(VALU_DEP_1) | instskip(SKIP_1) | instid1(VALU_DEP_2)
	v_add_f32_e32 v0, v0, v5
	v_max_num_f32_e32 v5, v20, v20
	v_add_f32_e32 v3, 0x40051340, v0
	s_delay_alu instid0(VALU_DEP_1)
	v_max_num_f32_e32 v3, v5, v3
.LBB65_24:
	s_or_b32 exec_lo, exec_lo, s8
	v_xor_b32_e32 v43, 16, v73
	v_xor_b32_e32 v47, 2, v73
	v_xor_b32_e32 v44, 8, v73
	v_dual_mov_b32 v46, 32 :: v_dual_bitop2_b32 v48, 1, v73 bitop3:0x14
	s_delay_alu instid0(VALU_DEP_4) | instskip(SKIP_1) | instid1(VALU_DEP_4)
	v_cmp_gt_i32_e32 vcc_lo, 32, v43
	v_cndmask_b32_e32 v5, v73, v43, vcc_lo
	v_cmp_gt_i32_e32 vcc_lo, 32, v44
	s_delay_alu instid0(VALU_DEP_2) | instskip(SKIP_4) | instid1(VALU_DEP_1)
	v_dual_cndmask_b32 v12, v73, v44 :: v_dual_lshlrev_b32 v5, 2, v5
	ds_bpermute_b32 v11, v5, v3
	v_max_num_f32_e32 v3, v3, v3
	s_wait_dscnt 0x0
	v_dual_max_num_f32 v13, v11, v11 :: v_dual_lshlrev_b32 v11, 2, v12
	v_max_num_f32_e32 v3, v3, v13
	ds_bpermute_b32 v12, v11, v3
	s_wait_dscnt 0x0
	v_dual_max_num_f32 v12, v12, v12 :: v_dual_bitop2_b32 v45, 4, v73 bitop3:0x14
	s_delay_alu instid0(VALU_DEP_1) | instskip(NEXT) | instid1(VALU_DEP_2)
	v_max_num_f32_e32 v3, v3, v12
	v_cmp_gt_i32_e32 vcc_lo, 32, v45
	v_cndmask_b32_e32 v13, v73, v45, vcc_lo
	v_cmp_gt_i32_e32 vcc_lo, 32, v47
	s_delay_alu instid0(VALU_DEP_2) | instskip(SKIP_1) | instid1(VALU_DEP_2)
	v_dual_cndmask_b32 v14, v73, v47 :: v_dual_lshlrev_b32 v13, 2, v13
	v_cmp_gt_i32_e32 vcc_lo, 32, v48
	v_lshlrev_b32_e32 v14, 2, v14
	ds_bpermute_b32 v12, v13, v3
	v_cndmask_b32_e32 v15, v73, v48, vcc_lo
	s_wait_dscnt 0x0
	s_delay_alu instid0(VALU_DEP_1) | instskip(NEXT) | instid1(VALU_DEP_1)
	v_dual_max_num_f32 v12, v12, v12 :: v_dual_lshlrev_b32 v15, 2, v15
	v_max_num_f32_e32 v3, v3, v12
	ds_bpermute_b32 v12, v14, v3
	s_wait_dscnt 0x0
	v_max_num_f32_e32 v12, v12, v12
	s_delay_alu instid0(VALU_DEP_1) | instskip(SKIP_3) | instid1(VALU_DEP_1)
	v_max_num_f32_e32 v3, v3, v12
	ds_bpermute_b32 v12, v15, v3
	s_wait_dscnt 0x0
	v_max_num_f32_e32 v12, v12, v12
	v_dual_max_num_f32 v12, v3, v12 :: v_dual_mov_b32 v3, v21
	s_and_saveexec_b32 s8, s6
	s_cbranch_execz .LBB65_29
; %bb.25:
	v_cmp_ne_u32_e32 vcc_lo, 1, v10
	s_cbranch_vccnz .LBB65_27
; %bb.26:
	v_dual_mov_b32 v23, 0 :: v_dual_bitop2_b32 v22, 1, v72 bitop3:0x54
	s_delay_alu instid0(VALU_DEP_1) | instskip(NEXT) | instid1(VALU_DEP_1)
	v_mul_u64_e32 v[24:25], s[36:37], v[22:23]
	v_add_nc_u32_e32 v3, v22, v25
	s_delay_alu instid0(VALU_DEP_1) | instskip(NEXT) | instid1(VALU_DEP_1)
	v_lshrrev_b32_e32 v3, s21, v3
	v_mul_lo_u32 v3, v3, s22
	s_delay_alu instid0(VALU_DEP_1) | instskip(NEXT) | instid1(VALU_DEP_1)
	v_sub_nc_u32_e32 v3, v22, v3
	v_mad_u32 v3, v3, s40, v9
	global_load_u16 v3, v3, s[30:31] scale_offset
	s_wait_loadcnt 0x0
	v_cvt_f32_f16_e32 v3, v3
	s_delay_alu instid0(VALU_DEP_1)
	v_mul_f32_e32 v3, v75, v3
	s_branch .LBB65_28
.LBB65_27:
	v_mov_b32_e32 v3, 0
.LBB65_28:
	s_delay_alu instid0(VALU_DEP_1) | instskip(SKIP_1) | instid1(VALU_DEP_2)
	v_add_f32_e32 v1, v1, v3
	v_max_num_f32_e32 v9, v21, v21
	v_add_f32_e32 v3, 0x40051340, v1
	s_delay_alu instid0(VALU_DEP_1)
	v_max_num_f32_e32 v3, v9, v3
.LBB65_29:
	s_or_b32 exec_lo, exec_lo, s8
	ds_bpermute_b32 v5, v5, v3
	v_max_num_f32_e32 v3, v3, v3
	v_mbcnt_lo_u32_b32 v18, -1, 0
	s_ashr_i32 s15, s14, 31
	s_mov_b32 s8, 0
	s_mul_u64 s[24:25], s[24:25], s[14:15]
	s_mov_b32 s9, s8
	s_lshl_b64 s[24:25], s[24:25], 2
	s_wait_dscnt 0x0
	s_add_nc_u64 s[24:25], s[10:11], s[24:25]
	s_mov_b32 s10, s8
	s_barrier_signal -1
	v_dual_mov_b32 v32, s10 :: v_dual_mov_b32 v31, s9
	s_barrier_wait -1
	v_lshl_or_b32 v7, v7, 7, v4
	v_add_nc_u32_e32 v25, 0xc00, v19
	v_max_num_f32_e32 v5, v5, v5
	s_delay_alu instid0(VALU_DEP_1) | instskip(SKIP_3) | instid1(VALU_DEP_1)
	v_max_num_f32_e32 v3, v3, v5
	ds_bpermute_b32 v5, v11, v3
	s_wait_dscnt 0x0
	v_max_num_f32_e32 v5, v5, v5
	v_max_num_f32_e32 v3, v3, v5
	ds_bpermute_b32 v5, v13, v3
	s_wait_dscnt 0x0
	v_max_num_f32_e32 v5, v5, v5
	s_delay_alu instid0(VALU_DEP_1) | instskip(SKIP_3) | instid1(VALU_DEP_1)
	v_max_num_f32_e32 v3, v3, v5
	ds_bpermute_b32 v5, v14, v3
	s_wait_dscnt 0x0
	v_max_num_f32_e32 v5, v5, v5
	v_max_num_f32_e32 v3, v3, v5
	ds_bpermute_b32 v5, v15, v3
	s_wait_dscnt 0x0
	v_max_num_f32_e32 v5, v5, v5
	s_delay_alu instid0(VALU_DEP_1) | instskip(NEXT) | instid1(VALU_DEP_1)
	v_dual_max_num_f32 v13, v3, v5 :: v_dual_sub_f32 v3, v0, v12
	v_dual_sub_f32 v9, v1, v13 :: v_dual_mul_f32 v0, 0x3fb8aa3b, v3
	v_lshlrev_b32_e32 v24, 7, v74
	v_cmp_ngt_f32_e32 vcc_lo, 0xc2ce8ed0, v3
	s_delay_alu instid0(VALU_DEP_3) | instskip(NEXT) | instid1(VALU_DEP_4)
	v_mul_f32_e32 v1, 0x3fb8aa3b, v9
	v_fma_f32 v5, 0x3fb8aa3b, v3, -v0
	v_rndne_f32_e32 v11, v0
	v_cmp_nlt_f32_e64 s6, 0x42b17218, v9
	s_delay_alu instid0(VALU_DEP_4) | instskip(SKIP_3) | instid1(VALU_DEP_3)
	v_fma_f32 v14, 0x3fb8aa3b, v9, -v1
	v_rndne_f32_e32 v15, v1
	v_fmac_f32_e32 v5, 0x32a5705f, v3
	v_dual_sub_f32 v10, v0, v11 :: v_dual_mov_b32 v0, 0
	v_dual_fmac_f32 v14, 0x32a5705f, v9 :: v_dual_sub_f32 v1, v1, v15
	v_cvt_i32_f32_e32 v11, v11
	s_delay_alu instid0(VALU_DEP_3) | instskip(SKIP_1) | instid1(VALU_DEP_4)
	v_dual_add_f32 v22, v10, v5 :: v_dual_mov_b32 v5, 0
	v_mul_lo_u32 v10, s14, v2
	v_add_f32_e32 v1, v1, v14
	v_cvt_i32_f32_e32 v15, v15
	s_delay_alu instid0(VALU_DEP_4) | instskip(SKIP_1) | instid1(VALU_DEP_3)
	v_exp_f32_e32 v14, v22
	v_lshl_or_b32 v2, v2, 7, v4
	v_exp_f32_e32 v22, v1
	v_nop
	v_lshlrev_b32_e32 v1, 20, v18
	s_delay_alu instid0(TRANS32_DEP_2) | instskip(SKIP_1) | instid1(TRANS32_DEP_1)
	v_ldexp_f32 v14, v14, v11
	v_ashrrev_i32_e32 v11, 31, v10
	v_ldexp_f32 v18, v22, v15
	s_delay_alu instid0(VALU_DEP_3) | instskip(SKIP_1) | instid1(VALU_DEP_4)
	v_cndmask_b32_e32 v22, 0, v14, vcc_lo
	v_cmp_ngt_f32_e32 vcc_lo, 0xc2ce8ed0, v9
	v_lshl_add_u64 v[14:15], v[10:11], 2, s[24:25]
	s_delay_alu instid0(VALU_DEP_4) | instskip(SKIP_1) | instid1(VALU_DEP_2)
	v_cndmask_b32_e32 v11, 0, v18, vcc_lo
	v_cmp_nlt_f32_e32 vcc_lo, 0x42b17218, v3
	v_cndmask_b32_e64 v9, 0x7f800000, v11, s6
	v_cndmask_b32_e32 v3, 0x7f800000, v22, vcc_lo
	v_cmp_gt_u32_e32 vcc_lo, s7, v71
	v_add_nc_u64_e32 v[22:23], src_flat_scratch_base_lo, v[0:1]
	v_add_nc_u64_e32 v[0:1], v[14:15], v[4:5]
	s_delay_alu instid0(VALU_DEP_4) | instskip(SKIP_2) | instid1(VALU_DEP_4)
	v_dual_mov_b32 v30, s8 :: v_dual_cndmask_b32 v49, 0, v3
	v_cndmask_b32_e32 v50, 0, v9, vcc_lo
	v_add3_u32 v3, 0x1400, v24, v19
	v_dual_cndmask_b32 v1, v23, v1, s2 :: v_dual_cndmask_b32 v0, v22, v0, s2
	s_delay_alu instid0(VALU_DEP_3)
	v_cvt_pk_f16_f32 v9, v49, v50
	s_lshl_b32 s2, s14, 3
	s_clause 0x1
	scratch_store_b32 off, v5, off
	scratch_store_b96 off, v[30:32], off offset:4
	v_add_nc_u32_e32 v10, s2, v10
	ds_store_b32 v3, v9
	flat_load_b128 v[26:29], v[0:1]
	s_clause 0x1
	scratch_store_b32 off, v5, off
	scratch_store_b96 off, v[30:32], off offset:4
	v_ashrrev_i32_e32 v11, 31, v10
	s_wait_xcnt 0x2
	s_delay_alu instid0(VALU_DEP_1) | instskip(SKIP_1) | instid1(VALU_DEP_2)
	v_lshl_add_u64 v[0:1], v[10:11], 2, s[24:25]
	v_add_nc_u32_e32 v10, s2, v10
	v_add_nc_u64_e32 v[0:1], v[0:1], v[4:5]
	s_delay_alu instid0(VALU_DEP_2) | instskip(NEXT) | instid1(VALU_DEP_1)
	v_ashrrev_i32_e32 v11, 31, v10
	v_lshl_add_u64 v[14:15], v[10:11], 2, s[24:25]
	s_delay_alu instid0(VALU_DEP_3) | instskip(SKIP_1) | instid1(VALU_DEP_3)
	v_dual_cndmask_b32 v1, v23, v1, s3 :: v_dual_cndmask_b32 v0, v22, v0, s3
	v_add_nc_u32_e32 v10, s2, v10
	v_add_nc_u64_e32 v[14:15], v[14:15], v[4:5]
	s_delay_alu instid0(VALU_DEP_1) | instskip(NEXT) | instid1(VALU_DEP_1)
	v_dual_ashrrev_i32 v11, 31, v10 :: v_dual_cndmask_b32 v15, v23, v15, s4
	v_lshl_add_u64 v[10:11], v[10:11], 2, s[24:25]
	s_delay_alu instid0(VALU_DEP_1) | instskip(NEXT) | instid1(VALU_DEP_1)
	v_add_nc_u64_e32 v[10:11], v[10:11], v[4:5]
	v_dual_cndmask_b32 v14, v22, v14, s4 :: v_dual_cndmask_b32 v9, v23, v11, s5
	s_wait_loadcnt_dscnt 0x0
	ds_store_b128 v2, v[26:29]
	flat_load_b128 v[0:3], v[0:1]
	s_clause 0x1
	scratch_store_b32 off, v5, off
	scratch_store_b96 off, v[30:32], off offset:4
	s_wait_loadcnt_dscnt 0x0
	ds_store_b128 v7, v[0:3]
	flat_load_b128 v[0:3], v[14:15]
	v_lshl_or_b32 v7, v8, 7, v4
	v_cndmask_b32_e64 v8, v22, v10, s5
	s_clause 0x1
	scratch_store_b32 off, v5, off
	scratch_store_b96 off, v[30:32], off offset:4
	s_wait_xcnt 0x1
	v_sub_f32_e32 v5, v20, v12
	v_lshl_or_b32 v4, v6, 7, v4
	s_delay_alu instid0(VALU_DEP_2)
	v_cmp_ngt_f32_e32 vcc_lo, 0xc2ce8ed0, v5
	s_wait_loadcnt_dscnt 0x0
	ds_store_b128 v7, v[0:3]
	flat_load_b128 v[0:3], v[8:9]
	s_wait_xcnt 0x0
	v_mul_f32_e32 v8, 0x3fb8aa3b, v5
	s_delay_alu instid0(VALU_DEP_1) | instskip(SKIP_1) | instid1(VALU_DEP_2)
	v_fma_f32 v10, 0x3fb8aa3b, v5, -v8
	v_rndne_f32_e32 v11, v8
	v_fmac_f32_e32 v10, 0x32a5705f, v5
	s_delay_alu instid0(VALU_DEP_2) | instskip(NEXT) | instid1(VALU_DEP_1)
	v_dual_sub_f32 v8, v8, v11 :: v_dual_sub_f32 v7, v21, v13
	v_dual_add_f32 v8, v8, v10 :: v_dual_mul_f32 v9, 0x3fb8aa3b, v7
	v_cvt_i32_f32_e32 v10, v11
	s_delay_alu instid0(VALU_DEP_2) | instskip(NEXT) | instid1(VALU_DEP_2)
	v_exp_f32_e32 v8, v8
	v_fma_f32 v14, 0x3fb8aa3b, v7, -v9
	v_rndne_f32_e32 v15, v9
	s_delay_alu instid0(TRANS32_DEP_1) | instskip(NEXT) | instid1(VALU_DEP_2)
	v_ldexp_f32 v8, v8, v10
	v_sub_f32_e32 v9, v9, v15
	v_cvt_i32_f32_e32 v11, v15
	s_delay_alu instid0(VALU_DEP_3) | instskip(SKIP_2) | instid1(VALU_DEP_1)
	v_cndmask_b32_e32 v8, 0, v8, vcc_lo
	v_cmp_ngt_f32_e32 vcc_lo, 0xc2ce8ed0, v7
	v_fmac_f32_e32 v14, 0x32a5705f, v7
	v_dual_add_f32 v9, v9, v14 :: v_dual_add_nc_u32 v14, 0x800, v19
	s_delay_alu instid0(VALU_DEP_1) | instskip(SKIP_1) | instid1(TRANS32_DEP_1)
	v_exp_f32_e32 v9, v9
	v_nop
	v_ldexp_f32 v9, v9, v11
	s_delay_alu instid0(VALU_DEP_1) | instskip(SKIP_3) | instid1(VALU_DEP_2)
	v_cndmask_b32_e32 v9, 0, v9, vcc_lo
	v_cmp_nlt_f32_e32 vcc_lo, 0x42b17218, v5
	v_cndmask_b32_e32 v51, 0x7f800000, v8, vcc_lo
	v_cmp_nlt_f32_e32 vcc_lo, 0x42b17218, v7
	v_cvt_f16_f32_e32 v5, v51
	v_cndmask_b32_e32 v52, 0x7f800000, v9, vcc_lo
	s_delay_alu instid0(VALU_DEP_2) | instskip(NEXT) | instid1(VALU_DEP_2)
	v_and_b32_e32 v5, 0xffff, v5
	v_cvt_f16_f32_e32 v7, v52
	s_delay_alu instid0(VALU_DEP_2) | instskip(NEXT) | instid1(VALU_DEP_2)
	v_mul_u32_u24_e32 v53, 0x10001, v5
	v_and_b32_e32 v6, 0xffff, v7
	v_add_nc_u32_e32 v7, 0x400, v19
	s_delay_alu instid0(VALU_DEP_2)
	v_mul_u32_u24_e32 v57, 0x10001, v6
	s_wait_loadcnt_dscnt 0x0
	ds_store_b128 v4, v[0:3]
	s_wait_storecnt_dscnt 0x0
	s_barrier_signal -1
	s_barrier_wait -1
	ds_load_2addr_b32 v[54:55], v19 offset1:32
	ds_load_b128 v[62:65], v24 offset:5120
	ds_load_b128 v[74:77], v24 offset:5136
	;; [unrolled: 1-line block ×4, first 2 shown]
	ds_load_2addr_b32 v[58:59], v19 offset0:64 offset1:96
	ds_load_2addr_b32 v[66:67], v19 offset0:128 offset1:160
	;; [unrolled: 1-line block ×3, first 2 shown]
	ds_load_2addr_b32 v[38:39], v7 offset1:32
	ds_load_2addr_b32 v[36:37], v7 offset0:64 offset1:96
	ds_load_2addr_b32 v[34:35], v7 offset0:128 offset1:160
	ds_load_2addr_b32 v[32:33], v7 offset0:192 offset1:224
	ds_load_2addr_b32 v[30:31], v14 offset1:32
	ds_load_2addr_b32 v[28:29], v14 offset0:64 offset1:96
	ds_load_2addr_b32 v[26:27], v14 offset0:128 offset1:160
	ds_load_b128 v[86:89], v24 offset:5184
	ds_load_b128 v[8:11], v24 offset:5200
	ds_load_2addr_b32 v[22:23], v14 offset0:192 offset1:224
	ds_load_2addr_b32 v[14:15], v25 offset1:32
	ds_load_2addr_b32 v[20:21], v25 offset0:64 offset1:96
	ds_load_2addr_b32 v[18:19], v25 offset0:128 offset1:160
	ds_load_b128 v[4:7], v24 offset:5216
	ds_load_b128 v[0:3], v24 offset:5232
	ds_load_2addr_b32 v[24:25], v25 offset0:192 offset1:224
	s_wait_dscnt 0x16
	v_lshrrev_b32_e32 v61, 16, v62
	v_and_b32_e32 v62, 0xffff, v62
	v_lshrrev_b32_e32 v90, 16, v63
	v_and_b32_e32 v63, 0xffff, v63
	v_dual_lshrrev_b32 v91, 16, v64 :: v_dual_lshrrev_b32 v92, 16, v65
	s_delay_alu instid0(VALU_DEP_4)
	v_mul_u32_u24_e32 v62, 0x10001, v62
	v_mul_u32_u24_e32 v61, 0x10001, v61
	v_and_b32_e32 v64, 0xffff, v64
	v_mul_u32_u24_e32 v63, 0x10001, v63
	v_mul_u32_u24_e32 v90, 0x10001, v90
	v_pk_mul_f16 v62, v54, v62
	v_pk_mul_f16 v54, v54, v61
	v_and_b32_e32 v65, 0xffff, v65
	s_wait_dscnt 0x15
	v_dual_lshrrev_b32 v93, 16, v74 :: v_dual_lshrrev_b32 v94, 16, v75
	v_pk_fma_f16 v53, v56, v53, v62
	v_pk_fma_f16 v54, v60, v57, v54
	v_mul_u32_u24_e32 v57, 0x10001, v64
	v_mul_u32_u24_e32 v60, 0x10001, v91
	v_and_b32_e32 v74, 0xffff, v74
	v_pk_fma_f16 v53, v55, v63, v53
	v_pk_fma_f16 v54, v55, v90, v54
	v_mul_u32_u24_e32 v62, 0x10001, v65
	v_mul_u32_u24_e32 v63, 0x10001, v92
	v_and_b32_e32 v75, 0xffff, v75
	s_wait_dscnt 0x12
	v_pk_fma_f16 v53, v58, v57, v53
	v_pk_fma_f16 v54, v58, v60, v54
	v_mul_u32_u24_e32 v58, 0x10001, v74
	v_mul_u32_u24_e32 v60, 0x10001, v93
	v_dual_lshrrev_b32 v95, 16, v76 :: v_dual_lshrrev_b32 v96, 16, v77
	v_pk_fma_f16 v53, v59, v62, v53
	v_pk_fma_f16 v54, v59, v63, v54
	v_and_b32_e32 v76, 0xffff, v76
	v_mul_u32_u24_e32 v62, 0x10001, v75
	v_mul_u32_u24_e32 v63, 0x10001, v94
	s_wait_dscnt 0x11
	v_pk_fma_f16 v53, v66, v58, v53
	v_pk_fma_f16 v54, v66, v60, v54
	v_and_b32_e32 v77, 0xffff, v77
	v_mul_u32_u24_e32 v60, 0x10001, v76
	v_mul_u32_u24_e32 v64, 0x10001, v95
	v_pk_fma_f16 v53, v67, v62, v53
	v_pk_fma_f16 v54, v67, v63, v54
	v_dual_lshrrev_b32 v97, 16, v78 :: v_dual_lshrrev_b32 v98, 16, v79
	v_and_b32_e32 v78, 0xffff, v78
	v_mul_u32_u24_e32 v63, 0x10001, v77
	v_mul_u32_u24_e32 v65, 0x10001, v96
	s_wait_dscnt 0x10
	v_pk_fma_f16 v53, v40, v60, v53
	v_pk_fma_f16 v40, v40, v64, v54
	v_and_b32_e32 v79, 0xffff, v79
	v_mul_u32_u24_e32 v54, 0x10001, v78
	v_mul_u32_u24_e32 v60, 0x10001, v97
	v_pk_fma_f16 v53, v41, v63, v53
	v_pk_fma_f16 v40, v41, v65, v40
	v_dual_lshrrev_b32 v99, 16, v80 :: v_dual_lshrrev_b32 v100, 16, v81
	;; [unrolled: 12-line block ×4, first 2 shown]
	v_and_b32_e32 v84, 0xffff, v84
	v_mul_u32_u24_e32 v54, 0x10001, v83
	v_mul_u32_u24_e32 v60, 0x10001, v102
	s_wait_dscnt 0xd
	v_pk_fma_f16 v38, v34, v38, v40
	v_pk_fma_f16 v34, v34, v53, v36
	v_and_b32_e32 v85, 0xffff, v85
	v_mul_u32_u24_e32 v36, 0x10001, v84
	v_mul_u32_u24_e32 v40, 0x10001, v103
	v_pk_fma_f16 v38, v35, v54, v38
	v_pk_fma_f16 v34, v35, v60, v34
	s_wait_dscnt 0x8
	v_dual_lshrrev_b32 v105, 16, v86 :: v_dual_lshrrev_b32 v61, 16, v87
	v_and_b32_e32 v86, 0xffff, v86
	v_mul_u32_u24_e32 v53, 0x10001, v85
	v_mul_u32_u24_e32 v54, 0x10001, v104
	v_pk_fma_f16 v36, v32, v36, v38
	v_pk_fma_f16 v32, v32, v40, v34
	v_and_b32_e32 v56, 0xffff, v87
	v_mul_u32_u24_e32 v34, 0x10001, v86
	v_mul_u32_u24_e32 v38, 0x10001, v105
	v_pk_fma_f16 v36, v33, v53, v36
	v_pk_fma_f16 v32, v33, v54, v32
	v_dual_lshrrev_b32 v55, 16, v88 :: v_dual_lshrrev_b32 v59, 16, v89
	v_and_b32_e32 v57, 0xffff, v88
	v_mul_u32_u24_e32 v40, 0x10001, v56
	v_mul_u32_u24_e32 v53, 0x10001, v61
	v_pk_fma_f16 v34, v30, v34, v36
	v_pk_fma_f16 v30, v30, v38, v32
	v_and_b32_e32 v58, 0xffff, v89
	v_mul_u32_u24_e32 v32, 0x10001, v57
	v_mul_u32_u24_e32 v36, 0x10001, v55
	v_pk_fma_f16 v34, v31, v40, v34
	v_pk_fma_f16 v30, v31, v53, v30
	s_wait_dscnt 0x7
	v_dual_lshrrev_b32 v62, 16, v8 :: v_dual_lshrrev_b32 v41, 16, v9
	v_and_b32_e32 v8, 0xffff, v8
	v_mul_u32_u24_e32 v38, 0x10001, v58
	v_mul_u32_u24_e32 v40, 0x10001, v59
	v_pk_fma_f16 v32, v28, v32, v34
	v_pk_fma_f16 v28, v28, v36, v30
	v_and_b32_e32 v9, 0xffff, v9
	v_mul_u32_u24_e32 v8, 0x10001, v8
	v_mul_u32_u24_e32 v30, 0x10001, v62
	v_pk_fma_f16 v32, v29, v38, v32
	v_pk_fma_f16 v28, v29, v40, v28
	v_dual_lshrrev_b32 v39, 16, v10 :: v_dual_lshrrev_b32 v37, 16, v11
	v_and_b32_e32 v10, 0xffff, v10
	v_mul_u32_u24_e32 v9, 0x10001, v9
	v_mul_u32_u24_e32 v34, 0x10001, v41
	;; [unrolled: 23-line block ×4, first 2 shown]
	v_pk_fma_f16 v0, v18, v0, v4
	v_pk_fma_f16 v4, v18, v6, v5
	v_and_b32_e32 v3, 0xffff, v3
	v_mul_u32_u24_e32 v2, 0x10001, v2
	v_mul_u32_u24_e32 v5, 0x10001, v8
	v_pk_fma_f16 v0, v19, v1, v0
	v_pk_fma_f16 v1, v19, v9, v4
	v_mul_u32_u24_e32 v3, 0x10001, v3
	v_mul_u32_u24_e32 v4, 0x10001, v7
	v_mov_b64_e32 v[20:21], v[12:13]
	s_wait_dscnt 0x0
	v_pk_fma_f16 v0, v24, v2, v0
	v_pk_fma_f16 v1, v24, v5, v1
	v_dual_fma_f32 v16, v16, v51, v49 :: v_dual_fma_f32 v17, v17, v52, v50
	s_delay_alu instid0(VALU_DEP_3) | instskip(NEXT) | instid1(VALU_DEP_3)
	v_pk_fma_f16 v56, v25, v3, v0
	v_pk_fma_f16 v60, v25, v4, v1
	s_barrier_signal -1
	s_barrier_wait -1
.LBB65_30:
	v_cmp_lt_i32_e32 vcc_lo, v43, v46
	s_cmp_eq_u64 s[12:13], 0
	s_cselect_b32 s2, -1, 0
	s_cmp_lg_u32 s20, 0
	v_cndmask_b32_e32 v0, v73, v43, vcc_lo
	v_cmp_lt_i32_e32 vcc_lo, v44, v46
	s_cselect_b32 s3, -1, 0
	s_delay_alu instid0(SALU_CYCLE_1) | instskip(SKIP_3) | instid1(VALU_DEP_3)
	s_or_b32 s2, s3, s2
	v_cndmask_b32_e32 v2, v73, v44, vcc_lo
	v_lshlrev_b32_e32 v1, 2, v0
	v_cmp_lt_i32_e32 vcc_lo, v45, v46
	v_lshlrev_b32_e32 v3, 2, v2
	ds_bpermute_b32 v0, v1, v16
	ds_bpermute_b32 v1, v1, v17
	v_cndmask_b32_e32 v4, v73, v45, vcc_lo
	v_cmp_lt_i32_e32 vcc_lo, v47, v46
	s_delay_alu instid0(VALU_DEP_2)
	v_lshlrev_b32_e32 v4, 2, v4
	s_wait_dscnt 0x0
	v_pk_add_f32 v[0:1], v[16:17], v[0:1]
	ds_bpermute_b32 v2, v3, v0
	ds_bpermute_b32 v3, v3, v1
	s_wait_dscnt 0x0
	v_pk_add_f32 v[0:1], v[0:1], v[2:3]
	ds_bpermute_b32 v2, v4, v0
	ds_bpermute_b32 v3, v4, v1
	v_cndmask_b32_e32 v4, v73, v47, vcc_lo
	v_cmp_lt_i32_e32 vcc_lo, v48, v46
	s_delay_alu instid0(VALU_DEP_2)
	v_lshlrev_b32_e32 v4, 2, v4
	s_wait_dscnt 0x0
	v_pk_add_f32 v[0:1], v[0:1], v[2:3]
	ds_bpermute_b32 v2, v4, v0
	ds_bpermute_b32 v3, v4, v1
	v_cndmask_b32_e32 v4, v73, v48, vcc_lo
	s_and_b32 vcc_lo, exec_lo, s2
	s_delay_alu instid0(VALU_DEP_1)
	v_lshlrev_b32_e32 v4, 2, v4
	s_wait_dscnt 0x0
	v_pk_add_f32 v[0:1], v[0:1], v[2:3]
	ds_bpermute_b32 v2, v4, v0
	ds_bpermute_b32 v3, v4, v1
	s_wait_dscnt 0x0
	v_pk_add_f32 v[0:1], v[0:1], v[2:3]
	s_cbranch_vccnz .LBB65_32
; %bb.31:
	v_dual_mov_b32 v2, s33 :: v_dual_max_num_f32 v5, v21, v21
	global_load_b32 v4, v2, s[12:13] scale_offset
	s_wait_xcnt 0x0
	v_max_num_f32_e32 v2, v20, v20
	s_wait_loadcnt 0x0
	v_max_num_f32_e32 v3, v4, v4
	s_delay_alu instid0(VALU_DEP_1) | instskip(NEXT) | instid1(VALU_DEP_1)
	v_dual_max_num_f32 v2, v2, v3 :: v_dual_max_num_f32 v3, v5, v3
	v_dual_sub_f32 v5, v20, v2 :: v_dual_sub_f32 v7, v21, v3
	v_dual_sub_f32 v6, v4, v2 :: v_dual_sub_f32 v8, v4, v3
	v_mov_b64_e32 v[20:21], v[2:3]
	s_delay_alu instid0(VALU_DEP_3) | instskip(NEXT) | instid1(VALU_DEP_3)
	v_mul_f32_e32 v4, 0x3fb8aa3b, v5
	v_dual_mul_f32 v10, 0x3fb8aa3b, v7 :: v_dual_mul_f32 v9, 0x3fb8aa3b, v6
	s_delay_alu instid0(VALU_DEP_4) | instskip(SKIP_1) | instid1(VALU_DEP_4)
	v_mul_f32_e32 v11, 0x3fb8aa3b, v8
	v_cmp_ngt_f32_e32 vcc_lo, 0xc2ce8ed0, v5
	v_fma_f32 v12, 0x3fb8aa3b, v5, -v4
	v_rndne_f32_e32 v13, v4
	v_fma_f32 v14, 0x3fb8aa3b, v6, -v9
	v_rndne_f32_e32 v15, v9
	;; [unrolled: 2-line block ×3, first 2 shown]
	v_fmac_f32_e32 v12, 0x32a5705f, v5
	v_rndne_f32_e32 v19, v11
	v_dual_fmac_f32 v14, 0x32a5705f, v6 :: v_dual_sub_f32 v9, v9, v15
	v_fma_f32 v18, 0x3fb8aa3b, v8, -v11
	s_delay_alu instid0(VALU_DEP_3) | instskip(NEXT) | instid1(VALU_DEP_3)
	v_dual_sub_f32 v10, v10, v17 :: v_dual_sub_f32 v11, v11, v19
	v_dual_fmac_f32 v16, 0x32a5705f, v7 :: v_dual_add_f32 v9, v9, v14
	v_sub_f32_e32 v4, v4, v13
	v_cvt_i32_f32_e32 v13, v13
	v_cvt_i32_f32_e32 v14, v19
	s_delay_alu instid0(VALU_DEP_4)
	v_add_f32_e32 v10, v10, v16
	v_exp_f32_e32 v9, v9
	v_add_f32_e32 v4, v4, v12
	v_cvt_i32_f32_e32 v12, v15
	v_cvt_i32_f32_e32 v15, v17
	v_exp_f32_e32 v10, v10
	s_delay_alu instid0(VALU_DEP_3) | instskip(NEXT) | instid1(TRANS32_DEP_2)
	v_exp_f32_e32 v4, v4
	v_ldexp_f32 v10, v10, v15
	s_delay_alu instid0(TRANS32_DEP_1) | instskip(NEXT) | instid1(VALU_DEP_1)
	v_ldexp_f32 v4, v4, v13
	v_cndmask_b32_e32 v4, 0, v4, vcc_lo
	v_cmp_ngt_f32_e32 vcc_lo, 0xc2ce8ed0, v7
	s_delay_alu instid0(VALU_DEP_4) | instskip(SKIP_1) | instid1(VALU_DEP_4)
	v_cndmask_b32_e32 v10, 0, v10, vcc_lo
	v_cmp_nlt_f32_e32 vcc_lo, 0x42b17218, v5
	v_cndmask_b32_e32 v4, 0x7f800000, v4, vcc_lo
	v_cmp_nlt_f32_e32 vcc_lo, 0x42b17218, v7
	v_ldexp_f32 v7, v9, v12
	v_cndmask_b32_e32 v5, 0x7f800000, v10, vcc_lo
	v_cmp_ngt_f32_e32 vcc_lo, 0xc2ce8ed0, v6
	v_fmac_f32_e32 v18, 0x32a5705f, v8
	v_cvt_f16_f32_e32 v10, v4
	v_cndmask_b32_e32 v7, 0, v7, vcc_lo
	v_cmp_ngt_f32_e32 vcc_lo, 0xc2ce8ed0, v8
	s_delay_alu instid0(VALU_DEP_4) | instskip(NEXT) | instid1(VALU_DEP_4)
	v_add_f32_e32 v11, v11, v18
	v_and_b32_e32 v10, 0xffff, v10
	s_delay_alu instid0(VALU_DEP_2) | instskip(SKIP_1) | instid1(TRANS32_DEP_1)
	v_exp_f32_e32 v11, v11
	v_nop
	v_ldexp_f32 v9, v11, v14
	v_cvt_f16_f32_e32 v11, v5
	s_delay_alu instid0(VALU_DEP_2) | instskip(SKIP_1) | instid1(VALU_DEP_3)
	v_cndmask_b32_e32 v9, 0, v9, vcc_lo
	v_cmp_nlt_f32_e32 vcc_lo, 0x42b17218, v6
	v_and_b32_e32 v11, 0xffff, v11
	v_cndmask_b32_e32 v6, 0x7f800000, v7, vcc_lo
	v_cmp_nlt_f32_e32 vcc_lo, 0x42b17218, v8
	v_mul_u32_u24_e32 v8, 0x10001, v10
	v_cndmask_b32_e32 v7, 0x7f800000, v9, vcc_lo
	v_mul_u32_u24_e32 v9, 0x10001, v11
	s_delay_alu instid0(VALU_DEP_3) | instskip(NEXT) | instid1(VALU_DEP_3)
	v_pk_mul_f16 v56, v56, v8
	v_pk_fma_f32 v[0:1], v[0:1], v[4:5], v[6:7]
	s_delay_alu instid0(VALU_DEP_3)
	v_pk_mul_f16 v60, v60, v9
.LBB65_32:
	s_mov_b32 s2, exec_lo
	v_cmpx_gt_i32_e64 s22, v72
	s_cbranch_execz .LBB65_42
; %bb.33:
	s_load_b32 s0, s[0:1], 0xd4
	v_mov_b32_e32 v2, 1.0
	s_wait_kmcnt 0x0
	s_cmp_lg_u32 s0, 1
	s_cselect_b32 s3, -1, 0
	s_cmp_eq_u32 s0, 1
	s_cselect_b32 s1, -1, 0
	s_and_b32 vcc_lo, exec_lo, s3
	s_cbranch_vccnz .LBB65_35
; %bb.34:
	v_div_scale_f32 v2, null, v0, v0, 1.0
	s_delay_alu instid0(VALU_DEP_1) | instskip(SKIP_1) | instid1(TRANS32_DEP_1)
	v_rcp_f32_e32 v3, v2
	v_nop
	v_fma_f32 v4, -v2, v3, 1.0
	s_delay_alu instid0(VALU_DEP_1) | instskip(SKIP_1) | instid1(VALU_DEP_1)
	v_fmac_f32_e32 v3, v4, v3
	v_div_scale_f32 v4, vcc_lo, 1.0, v0, 1.0
	v_mul_f32_e32 v5, v4, v3
	s_delay_alu instid0(VALU_DEP_1) | instskip(NEXT) | instid1(VALU_DEP_1)
	v_fma_f32 v6, -v2, v5, v4
	v_fmac_f32_e32 v5, v6, v3
	s_delay_alu instid0(VALU_DEP_1) | instskip(NEXT) | instid1(VALU_DEP_1)
	v_fma_f32 v2, -v2, v5, v4
	v_div_fmas_f32 v2, v2, v3, v5
	s_delay_alu instid0(VALU_DEP_1)
	v_div_fixup_f32 v2, v2, v0, 1.0
.LBB65_35:
	s_mul_i32 s2, s28, s22
	v_mov_b32_e32 v5, 0
	s_add_co_i32 s2, s2, s35
	v_cvt_f32_f16_e32 v6, v56
	v_dual_add_nc_u32 v3, s2, v69 :: v_dual_lshrrev_b32 v7, 16, v56
	v_cmp_eq_u32_e32 vcc_lo, 0, v71
	s_delay_alu instid0(VALU_DEP_2) | instskip(NEXT) | instid1(VALU_DEP_3)
	v_mad_u32 v3, v3, s23, s33
	v_cvt_f32_f16_e32 v7, v7
	s_and_b32 s3, vcc_lo, s3
	s_delay_alu instid0(VALU_DEP_2) | instskip(NEXT) | instid1(VALU_DEP_1)
	v_mad_u32 v3, s0, v3, s20
	v_lshl_add_u32 v4, v3, 6, v42
	s_delay_alu instid0(VALU_DEP_3) | instskip(NEXT) | instid1(VALU_DEP_2)
	v_pk_mul_f32 v[6:7], v[2:3], v[6:7] op_sel_hi:[0,1]
	v_lshl_add_u64 v[4:5], v[4:5], 2, s[16:17]
	global_store_b64 v[4:5], v[6:7], off
	s_wait_xcnt 0x0
	s_and_saveexec_b32 s4, s3
	s_cbranch_execz .LBB65_37
; %bb.36:
	v_dual_mov_b32 v4, v20 :: v_dual_mov_b32 v5, v0
	global_store_b64 v3, v[4:5], s[18:19] scale_offset
.LBB65_37:
	s_wait_xcnt 0x0
	s_or_b32 exec_lo, exec_lo, s4
	v_cmp_gt_i32_e32 vcc_lo, s22, v70
	s_and_b32 exec_lo, exec_lo, vcc_lo
	s_cbranch_execz .LBB65_42
; %bb.38:
	v_mov_b32_e32 v0, 1.0
	s_and_not1_b32 vcc_lo, exec_lo, s1
	s_cbranch_vccnz .LBB65_40
; %bb.39:
	v_div_scale_f32 v0, null, v1, v1, 1.0
	s_delay_alu instid0(VALU_DEP_1) | instskip(SKIP_1) | instid1(TRANS32_DEP_1)
	v_rcp_f32_e32 v2, v0
	v_nop
	v_fma_f32 v3, -v0, v2, 1.0
	s_delay_alu instid0(VALU_DEP_1) | instskip(SKIP_1) | instid1(VALU_DEP_1)
	v_fmac_f32_e32 v2, v3, v2
	v_div_scale_f32 v3, vcc_lo, 1.0, v1, 1.0
	v_mul_f32_e32 v4, v3, v2
	s_delay_alu instid0(VALU_DEP_1) | instskip(NEXT) | instid1(VALU_DEP_1)
	v_fma_f32 v5, -v0, v4, v3
	v_fmac_f32_e32 v4, v5, v2
	s_delay_alu instid0(VALU_DEP_1) | instskip(NEXT) | instid1(VALU_DEP_1)
	v_fma_f32 v0, -v0, v4, v3
	v_div_fmas_f32 v0, v0, v2, v4
	s_delay_alu instid0(VALU_DEP_1)
	v_div_fixup_f32 v0, v0, v1, 1.0
.LBB65_40:
	v_dual_mov_b32 v5, 0 :: v_dual_add_nc_u32 v2, s2, v68
	v_lshrrev_b32_e32 v3, 16, v60
	v_cvt_f32_f16_e32 v6, v60
	s_delay_alu instid0(VALU_DEP_3) | instskip(NEXT) | instid1(VALU_DEP_3)
	v_mad_u32 v2, v2, s23, s33
	v_cvt_f32_f16_e32 v7, v3
	s_delay_alu instid0(VALU_DEP_1) | instskip(NEXT) | instid1(VALU_DEP_3)
	v_pk_mul_f32 v[6:7], v[0:1], v[6:7] op_sel_hi:[0,1]
	v_mad_u32 v2, s0, v2, s20
	s_delay_alu instid0(VALU_DEP_1) | instskip(NEXT) | instid1(VALU_DEP_1)
	v_lshl_add_u32 v4, v2, 6, v42
	v_lshl_add_u64 v[4:5], v[4:5], 2, s[16:17]
	global_store_b64 v[4:5], v[6:7], off
	s_wait_xcnt 0x0
	s_and_b32 exec_lo, exec_lo, s3
	s_cbranch_execz .LBB65_42
; %bb.41:
	v_mov_b32_e32 v0, v21
	global_store_b64 v2, v[0:1], s[18:19] scale_offset
.LBB65_42:
	s_sendmsg sendmsg(MSG_DEALLOC_VGPRS)
	s_endpgm
	.section	.rodata,"a",@progbits
	.p2align	6, 0x0
	.amdhsa_kernel _ZL15flash_attn_tileILi64ELi64ELi4ELi1ELb0EEvPKcS1_S1_S1_S1_PKiPfP15HIP_vector_typeIfLj2EEffffjfiS5_IjLj3EEiiiiiiiiiiiliiliiiiil
		.amdhsa_group_segment_fixed_size 5376
		.amdhsa_private_segment_fixed_size 32
		.amdhsa_kernarg_size 464
		.amdhsa_user_sgpr_count 2
		.amdhsa_user_sgpr_dispatch_ptr 0
		.amdhsa_user_sgpr_queue_ptr 0
		.amdhsa_user_sgpr_kernarg_segment_ptr 1
		.amdhsa_user_sgpr_dispatch_id 0
		.amdhsa_user_sgpr_kernarg_preload_length 0
		.amdhsa_user_sgpr_kernarg_preload_offset 0
		.amdhsa_user_sgpr_private_segment_size 0
		.amdhsa_wavefront_size32 1
		.amdhsa_uses_dynamic_stack 0
		.amdhsa_enable_private_segment 1
		.amdhsa_system_sgpr_workgroup_id_x 1
		.amdhsa_system_sgpr_workgroup_id_y 1
		.amdhsa_system_sgpr_workgroup_id_z 1
		.amdhsa_system_sgpr_workgroup_info 0
		.amdhsa_system_vgpr_workitem_id 1
		.amdhsa_next_free_vgpr 116
		.amdhsa_next_free_sgpr 48
		.amdhsa_named_barrier_count 0
		.amdhsa_reserve_vcc 1
		.amdhsa_float_round_mode_32 0
		.amdhsa_float_round_mode_16_64 0
		.amdhsa_float_denorm_mode_32 3
		.amdhsa_float_denorm_mode_16_64 3
		.amdhsa_fp16_overflow 0
		.amdhsa_memory_ordered 1
		.amdhsa_forward_progress 1
		.amdhsa_inst_pref_size 96
		.amdhsa_round_robin_scheduling 0
		.amdhsa_exception_fp_ieee_invalid_op 0
		.amdhsa_exception_fp_denorm_src 0
		.amdhsa_exception_fp_ieee_div_zero 0
		.amdhsa_exception_fp_ieee_overflow 0
		.amdhsa_exception_fp_ieee_underflow 0
		.amdhsa_exception_fp_ieee_inexact 0
		.amdhsa_exception_int_div_zero 0
	.end_amdhsa_kernel
	.section	.text._ZL15flash_attn_tileILi64ELi64ELi4ELi1ELb0EEvPKcS1_S1_S1_S1_PKiPfP15HIP_vector_typeIfLj2EEffffjfiS5_IjLj3EEiiiiiiiiiiiliiliiiiil,"axG",@progbits,_ZL15flash_attn_tileILi64ELi64ELi4ELi1ELb0EEvPKcS1_S1_S1_S1_PKiPfP15HIP_vector_typeIfLj2EEffffjfiS5_IjLj3EEiiiiiiiiiiiliiliiiiil,comdat
.Lfunc_end65:
	.size	_ZL15flash_attn_tileILi64ELi64ELi4ELi1ELb0EEvPKcS1_S1_S1_S1_PKiPfP15HIP_vector_typeIfLj2EEffffjfiS5_IjLj3EEiiiiiiiiiiiliiliiiiil, .Lfunc_end65-_ZL15flash_attn_tileILi64ELi64ELi4ELi1ELb0EEvPKcS1_S1_S1_S1_PKiPfP15HIP_vector_typeIfLj2EEffffjfiS5_IjLj3EEiiiiiiiiiiiliiliiiiil
                                        ; -- End function
	.set _ZL15flash_attn_tileILi64ELi64ELi4ELi1ELb0EEvPKcS1_S1_S1_S1_PKiPfP15HIP_vector_typeIfLj2EEffffjfiS5_IjLj3EEiiiiiiiiiiiliiliiiiil.num_vgpr, 116
	.set _ZL15flash_attn_tileILi64ELi64ELi4ELi1ELb0EEvPKcS1_S1_S1_S1_PKiPfP15HIP_vector_typeIfLj2EEffffjfiS5_IjLj3EEiiiiiiiiiiiliiliiiiil.num_agpr, 0
	.set _ZL15flash_attn_tileILi64ELi64ELi4ELi1ELb0EEvPKcS1_S1_S1_S1_PKiPfP15HIP_vector_typeIfLj2EEffffjfiS5_IjLj3EEiiiiiiiiiiiliiliiiiil.numbered_sgpr, 48
	.set _ZL15flash_attn_tileILi64ELi64ELi4ELi1ELb0EEvPKcS1_S1_S1_S1_PKiPfP15HIP_vector_typeIfLj2EEffffjfiS5_IjLj3EEiiiiiiiiiiiliiliiiiil.num_named_barrier, 0
	.set _ZL15flash_attn_tileILi64ELi64ELi4ELi1ELb0EEvPKcS1_S1_S1_S1_PKiPfP15HIP_vector_typeIfLj2EEffffjfiS5_IjLj3EEiiiiiiiiiiiliiliiiiil.private_seg_size, 32
	.set _ZL15flash_attn_tileILi64ELi64ELi4ELi1ELb0EEvPKcS1_S1_S1_S1_PKiPfP15HIP_vector_typeIfLj2EEffffjfiS5_IjLj3EEiiiiiiiiiiiliiliiiiil.uses_vcc, 1
	.set _ZL15flash_attn_tileILi64ELi64ELi4ELi1ELb0EEvPKcS1_S1_S1_S1_PKiPfP15HIP_vector_typeIfLj2EEffffjfiS5_IjLj3EEiiiiiiiiiiiliiliiiiil.uses_flat_scratch, 1
	.set _ZL15flash_attn_tileILi64ELi64ELi4ELi1ELb0EEvPKcS1_S1_S1_S1_PKiPfP15HIP_vector_typeIfLj2EEffffjfiS5_IjLj3EEiiiiiiiiiiiliiliiiiil.has_dyn_sized_stack, 0
	.set _ZL15flash_attn_tileILi64ELi64ELi4ELi1ELb0EEvPKcS1_S1_S1_S1_PKiPfP15HIP_vector_typeIfLj2EEffffjfiS5_IjLj3EEiiiiiiiiiiiliiliiiiil.has_recursion, 0
	.set _ZL15flash_attn_tileILi64ELi64ELi4ELi1ELb0EEvPKcS1_S1_S1_S1_PKiPfP15HIP_vector_typeIfLj2EEffffjfiS5_IjLj3EEiiiiiiiiiiiliiliiiiil.has_indirect_call, 0
	.section	.AMDGPU.csdata,"",@progbits
; Kernel info:
; codeLenInByte = 12236
; TotalNumSgprs: 50
; NumVgprs: 116
; ScratchSize: 32
; MemoryBound: 0
; FloatMode: 240
; IeeeMode: 1
; LDSByteSize: 5376 bytes/workgroup (compile time only)
; SGPRBlocks: 0
; VGPRBlocks: 7
; NumSGPRsForWavesPerEU: 50
; NumVGPRsForWavesPerEU: 116
; NamedBarCnt: 0
; Occupancy: 8
; WaveLimiterHint : 1
; COMPUTE_PGM_RSRC2:SCRATCH_EN: 1
; COMPUTE_PGM_RSRC2:USER_SGPR: 2
; COMPUTE_PGM_RSRC2:TRAP_HANDLER: 0
; COMPUTE_PGM_RSRC2:TGID_X_EN: 1
; COMPUTE_PGM_RSRC2:TGID_Y_EN: 1
; COMPUTE_PGM_RSRC2:TGID_Z_EN: 1
; COMPUTE_PGM_RSRC2:TIDIG_COMP_CNT: 1
	.section	.text._ZL33flash_attn_stream_k_fixup_uniformILi64ELi4ELi1EEvPfPK15HIP_vector_typeIfLj2EEiiiiiiS1_IjLj3EES5_S5_,"axG",@progbits,_ZL33flash_attn_stream_k_fixup_uniformILi64ELi4ELi1EEvPfPK15HIP_vector_typeIfLj2EEiiiiiiS1_IjLj3EES5_S5_,comdat
	.globl	_ZL33flash_attn_stream_k_fixup_uniformILi64ELi4ELi1EEvPfPK15HIP_vector_typeIfLj2EEiiiiiiS1_IjLj3EES5_S5_ ; -- Begin function _ZL33flash_attn_stream_k_fixup_uniformILi64ELi4ELi1EEvPfPK15HIP_vector_typeIfLj2EEiiiiiiS1_IjLj3EES5_S5_
	.p2align	8
	.type	_ZL33flash_attn_stream_k_fixup_uniformILi64ELi4ELi1EEvPfPK15HIP_vector_typeIfLj2EEiiiiiiS1_IjLj3EES5_S5_,@function
_ZL33flash_attn_stream_k_fixup_uniformILi64ELi4ELi1EEvPfPK15HIP_vector_typeIfLj2EEiiiiiiS1_IjLj3EES5_S5_: ; @_ZL33flash_attn_stream_k_fixup_uniformILi64ELi4ELi1EEvPfPK15HIP_vector_typeIfLj2EEiiiiiiS1_IjLj3EES5_S5_
; %bb.0:
	s_load_b256 s[4:11], s[0:1], 0x1c
	s_bfe_u32 s2, ttmp6, 0x40014
	s_lshr_b32 s3, ttmp7, 16
	s_add_co_i32 s2, s2, 1
	s_bfe_u32 s13, ttmp6, 0x40010
	s_mul_i32 s2, s3, s2
	s_bfe_u32 s12, ttmp6, 0x40008
	s_and_b32 s14, ttmp7, 0xffff
	s_add_co_i32 s13, s13, 1
	s_bfe_u32 s15, ttmp6, 0x4000c
	s_add_co_i32 s2, s12, s2
	s_mul_i32 s12, s14, s13
	s_bfe_u32 s13, ttmp6, 0x40004
	s_add_co_i32 s15, s15, 1
	s_add_co_i32 s13, s13, s12
	s_and_b32 s12, ttmp6, 15
	s_mul_i32 s15, ttmp9, s15
	s_getreg_b32 s20, hwreg(HW_REG_IB_STS2, 6, 4)
	s_add_co_i32 s12, s12, s15
	s_load_b128 s[16:19], s[0:1], 0x3c
	s_cmp_eq_u32 s20, 0
	s_cselect_b32 s12, ttmp9, s12
	s_cselect_b32 s13, s14, s13
	s_wait_kmcnt 0x0
	s_mul_hi_u32 s7, s7, s12
	s_cselect_b32 s14, s3, s2
	s_add_co_i32 s2, s12, s7
	s_delay_alu instid0(SALU_CYCLE_1) | instskip(NEXT) | instid1(SALU_CYCLE_1)
	s_lshr_b32 s7, s2, s8
	s_mul_i32 s2, s7, s9
	s_delay_alu instid0(SALU_CYCLE_1) | instskip(NEXT) | instid1(SALU_CYCLE_1)
	s_sub_co_i32 s8, s12, s2
	s_mul_hi_u32 s2, s8, s10
	s_delay_alu instid0(SALU_CYCLE_1) | instskip(SKIP_2) | instid1(SALU_CYCLE_1)
	s_add_co_i32 s9, s8, s2
	s_load_b64 s[2:3], s[0:1], 0x10
	s_lshr_b32 s15, s9, s11
	s_mul_i32 s9, s15, s16
	s_delay_alu instid0(SALU_CYCLE_1) | instskip(NEXT) | instid1(SALU_CYCLE_1)
	s_sub_co_i32 s8, s8, s9
	s_mul_hi_u32 s9, s8, s17
	s_delay_alu instid0(SALU_CYCLE_1) | instskip(NEXT) | instid1(SALU_CYCLE_1)
	s_add_co_i32 s9, s8, s9
	s_lshr_b32 s16, s9, s18
	s_delay_alu instid0(SALU_CYCLE_1) | instskip(NEXT) | instid1(SALU_CYCLE_1)
	s_mul_i32 s9, s16, s19
	s_sub_co_i32 s17, s8, s9
	s_delay_alu instid0(SALU_CYCLE_1) | instskip(NEXT) | instid1(SALU_CYCLE_1)
	s_lshl_b32 s8, s17, 2
	s_add_co_i32 s8, s8, s13
	s_wait_kmcnt 0x0
	s_cmp_lt_i32 s8, s2
	s_cselect_b32 s8, -1, 0
	s_add_co_i32 s9, s16, s14
	s_delay_alu instid0(SALU_CYCLE_1) | instskip(SKIP_1) | instid1(SALU_CYCLE_1)
	s_cmp_lt_i32 s9, s5
	s_cselect_b32 s9, -1, 0
	s_and_b32 s8, s8, s9
	s_delay_alu instid0(SALU_CYCLE_1)
	s_and_not1_b32 vcc_lo, exec_lo, s8
	s_cbranch_vccnz .LBB66_6
; %bb.1:
	s_mul_i32 s2, s7, s2
	s_load_b128 s[8:11], s[0:1], 0x0
	s_wait_xcnt 0x0
	s_add_co_i32 s0, s2, s13
	s_mul_i32 s15, s15, s5
	s_mul_i32 s0, s0, s3
	;; [unrolled: 1-line block ×3, first 2 shown]
	s_add_co_i32 s0, s0, s14
	s_lshl_b32 s1, s1, 8
	s_add_co_i32 s0, s0, s15
	s_mul_i32 s7, s6, s12
	s_add_co_i32 s0, s0, s16
	s_add_co_i32 s5, s7, s6
	s_lshl_b32 s0, s0, 6
	s_add_co_i32 s13, s13, s14
	s_add_co_i32 s1, s1, s0
	s_lshl_b32 s0, s5, 2
	v_or_b32_e32 v4, s1, v0
	s_add_co_i32 s0, s13, s0
	s_add_co_i32 s2, s5, -2
	s_add_co_i32 s0, s0, -4
	s_delay_alu instid0(SALU_CYCLE_1)
	s_ashr_i32 s1, s0, 31
	s_wait_kmcnt 0x0
	global_load_b32 v3, v4, s[8:9] scale_offset
	s_lshl_b64 s[0:1], s[0:1], 3
	v_ashrrev_i32_e32 v5, 31, v4
	s_add_nc_u64 s[0:1], s[10:11], s[0:1]
	s_cmp_lt_i32 s2, s7
	s_load_b32 s14, s[0:1], 0x4
	s_cbranch_scc1 .LBB66_4
; %bb.2:
	s_wait_xcnt 0x0
	s_load_b32 s0, s[0:1], 0x0
	s_add_co_i32 s12, s12, 1
	s_lshl_b32 s3, s13, 6
	s_wait_xcnt 0x0
	s_mul_i32 s1, s6, s12
	s_lshl_b32 s2, s4, 4
	s_lshl_b32 s6, s1, 8
	;; [unrolled: 1-line block ×3, first 2 shown]
	s_add_co_i32 s6, s3, s6
	s_ashr_i32 s3, s2, 31
	s_wait_kmcnt 0x0
	v_dual_mov_b32 v2, s14 :: v_dual_bitop2_b32 v0, s6, v0 bitop3:0x54
	s_add_co_i32 s1, s13, s1
	s_lshl_b32 s4, s4, 2
	s_lshl_b64 s[2:3], s[2:3], 2
	s_delay_alu instid0(VALU_DEP_1)
	v_add_nc_u32_e32 v0, 0xfffffe00, v0
	s_add_co_i32 s4, s1, s4
	s_add_nc_u64 s[2:3], s[10:11], s[2:3]
	s_add_co_i32 s1, s5, -1
	s_add_co_i32 s4, s4, -8
.LBB66_3:                               ; =>This Inner Loop Header: Depth=1
	global_load_b32 v7, v0, s[2:3] scale_offset
	s_ashr_i32 s5, s4, 31
	v_max_num_f32_e64 v1, s0, s0
	s_lshl_b64 s[12:13], s[4:5], 3
	s_delay_alu instid0(SALU_CYCLE_1) | instskip(SKIP_1) | instid1(VALU_DEP_1)
	s_add_nc_u64 s[12:13], s[10:11], s[12:13]
	s_load_b64 s[12:13], s[12:13], 0x0
	v_readfirstlane_b32 s5, v1
	v_add_nc_u32_e32 v0, 0xffffff00, v0
	s_wait_kmcnt 0x0
	v_max_num_f32_e64 v1, s12, s12
	s_delay_alu instid0(VALU_DEP_1) | instskip(SKIP_1) | instid1(SALU_CYCLE_3)
	v_readfirstlane_b32 s6, v1
	s_max_num_f32 s5, s5, s6
	s_sub_f32 s0, s0, s5
	s_sub_f32 s6, s12, s5
	s_delay_alu instid0(SALU_CYCLE_2) | instskip(NEXT) | instid1(SALU_CYCLE_2)
	s_mul_f32 s12, s0, 0x3fb8aa3b
	s_mul_f32 s14, s6, 0x3fb8aa3b
	s_delay_alu instid0(SALU_CYCLE_2)
	s_xor_b32 s15, s12, 0x80000000
	s_rndne_f32 s16, s12
	s_fmamk_f32 s15, s0, 0x3fb8aa3b, s15
	s_cmp_nlt_f32 s0, 0xc2ce8ed0
	s_rndne_f32 s17, s14
	s_sub_f32 s12, s12, s16
	s_fmamk_f32 s15, s0, 0x32a5705f, s15
	s_cselect_b32 vcc_lo, -1, 0
	s_cmp_ngt_f32 s0, 0x42b17218
	s_delay_alu instid0(SALU_CYCLE_1) | instskip(SKIP_2) | instid1(SALU_CYCLE_1)
	s_add_f32 s12, s12, s15
	s_cvt_i32_f32 s15, s16
	s_sub_f32 s16, s14, s17
	v_s_exp_f32 s12, s12
	v_nop
	s_delay_alu instid0(TRANS32_DEP_1) | instskip(SKIP_1) | instid1(VALU_DEP_1)
	v_ldexp_f32 v1, s12, s15
	s_cvt_i32_f32 s12, s17
	v_cndmask_b32_e32 v1, 0, v1, vcc_lo
	s_cselect_b32 vcc_lo, -1, 0
	s_cmp_ge_f32 s0, 0xc1a00000
	s_delay_alu instid0(VALU_DEP_1)
	v_cndmask_b32_e32 v1, 0x7f800000, v1, vcc_lo
	s_cselect_b32 vcc_lo, -1, 0
	s_xor_b32 s0, s14, 0x80000000
	s_cmp_nlt_f32 s6, 0xc2ce8ed0
	s_fmamk_f32 s0, s6, 0x3fb8aa3b, s0
	v_cndmask_b32_e32 v10, 0, v1, vcc_lo
	s_delay_alu instid0(SALU_CYCLE_2) | instskip(NEXT) | instid1(SALU_CYCLE_3)
	s_fmamk_f32 s0, s6, 0x32a5705f, s0
	s_add_f32 s0, s16, s0
	s_delay_alu instid0(SALU_CYCLE_3) | instskip(SKIP_1) | instid1(TRANS32_DEP_1)
	v_s_exp_f32 s0, s0
	v_nop
	v_ldexp_f32 v6, s0, s12
	s_cselect_b32 s0, -1, 0
	s_cmp_ngt_f32 s6, 0x42b17218
	s_delay_alu instid0(VALU_DEP_1) | instskip(SKIP_2) | instid1(VALU_DEP_1)
	v_cndmask_b32_e64 v6, 0, v6, s0
	s_cselect_b32 s0, -1, 0
	s_cmp_ge_f32 s6, 0xc1a00000
	v_cndmask_b32_e64 v8, 0x7f800000, v6, s0
	s_cselect_b32 s0, -1, 0
	v_mov_b32_e32 v6, s13
	s_add_co_i32 s1, s1, -1
	s_add_co_i32 s4, s4, -4
	v_cndmask_b32_e64 v8, 0, v8, s0
	s_cmp_le_i32 s1, s7
	s_mov_b32 s0, s5
	s_wait_loadcnt 0x0
	s_delay_alu instid0(VALU_DEP_1) | instskip(NEXT) | instid1(VALU_DEP_1)
	v_pk_mul_f32 v[6:7], v[6:7], v[8:9] op_sel_hi:[1,0]
	v_pk_fma_f32 v[2:3], v[2:3], v[10:11], v[6:7] op_sel_hi:[1,0,1]
	s_cbranch_scc0 .LBB66_3
	s_branch .LBB66_5
.LBB66_4:
	s_wait_kmcnt 0x0
	v_mov_b32_e32 v2, s14
.LBB66_5:
	v_lshl_add_u64 v[0:1], v[4:5], 2, s[8:9]
	s_wait_loadcnt 0x0
	s_delay_alu instid0(VALU_DEP_2) | instskip(NEXT) | instid1(VALU_DEP_1)
	v_div_scale_f32 v4, null, v2, v2, v3
	v_rcp_f32_e32 v5, v4
	v_nop
	s_delay_alu instid0(TRANS32_DEP_1) | instskip(NEXT) | instid1(VALU_DEP_1)
	v_fma_f32 v6, -v4, v5, 1.0
	v_fmac_f32_e32 v5, v6, v5
	v_div_scale_f32 v6, vcc_lo, v3, v2, v3
	s_delay_alu instid0(VALU_DEP_1) | instskip(NEXT) | instid1(VALU_DEP_1)
	v_mul_f32_e32 v7, v6, v5
	v_fma_f32 v8, -v4, v7, v6
	s_delay_alu instid0(VALU_DEP_1) | instskip(NEXT) | instid1(VALU_DEP_1)
	v_fmac_f32_e32 v7, v8, v5
	v_fma_f32 v4, -v4, v7, v6
	s_delay_alu instid0(VALU_DEP_1) | instskip(NEXT) | instid1(VALU_DEP_1)
	v_div_fmas_f32 v4, v4, v5, v7
	v_div_fixup_f32 v2, v4, v2, v3
	global_store_b32 v[0:1], v2, off
.LBB66_6:
	s_endpgm
	.section	.rodata,"a",@progbits
	.p2align	6, 0x0
	.amdhsa_kernel _ZL33flash_attn_stream_k_fixup_uniformILi64ELi4ELi1EEvPfPK15HIP_vector_typeIfLj2EEiiiiiiS1_IjLj3EES5_S5_
		.amdhsa_group_segment_fixed_size 0
		.amdhsa_private_segment_fixed_size 0
		.amdhsa_kernarg_size 76
		.amdhsa_user_sgpr_count 2
		.amdhsa_user_sgpr_dispatch_ptr 0
		.amdhsa_user_sgpr_queue_ptr 0
		.amdhsa_user_sgpr_kernarg_segment_ptr 1
		.amdhsa_user_sgpr_dispatch_id 0
		.amdhsa_user_sgpr_kernarg_preload_length 0
		.amdhsa_user_sgpr_kernarg_preload_offset 0
		.amdhsa_user_sgpr_private_segment_size 0
		.amdhsa_wavefront_size32 1
		.amdhsa_uses_dynamic_stack 0
		.amdhsa_enable_private_segment 0
		.amdhsa_system_sgpr_workgroup_id_x 1
		.amdhsa_system_sgpr_workgroup_id_y 1
		.amdhsa_system_sgpr_workgroup_id_z 1
		.amdhsa_system_sgpr_workgroup_info 0
		.amdhsa_system_vgpr_workitem_id 0
		.amdhsa_next_free_vgpr 12
		.amdhsa_next_free_sgpr 21
		.amdhsa_named_barrier_count 0
		.amdhsa_reserve_vcc 1
		.amdhsa_float_round_mode_32 0
		.amdhsa_float_round_mode_16_64 0
		.amdhsa_float_denorm_mode_32 3
		.amdhsa_float_denorm_mode_16_64 3
		.amdhsa_fp16_overflow 0
		.amdhsa_memory_ordered 1
		.amdhsa_forward_progress 1
		.amdhsa_inst_pref_size 9
		.amdhsa_round_robin_scheduling 0
		.amdhsa_exception_fp_ieee_invalid_op 0
		.amdhsa_exception_fp_denorm_src 0
		.amdhsa_exception_fp_ieee_div_zero 0
		.amdhsa_exception_fp_ieee_overflow 0
		.amdhsa_exception_fp_ieee_underflow 0
		.amdhsa_exception_fp_ieee_inexact 0
		.amdhsa_exception_int_div_zero 0
	.end_amdhsa_kernel
	.section	.text._ZL33flash_attn_stream_k_fixup_uniformILi64ELi4ELi1EEvPfPK15HIP_vector_typeIfLj2EEiiiiiiS1_IjLj3EES5_S5_,"axG",@progbits,_ZL33flash_attn_stream_k_fixup_uniformILi64ELi4ELi1EEvPfPK15HIP_vector_typeIfLj2EEiiiiiiS1_IjLj3EES5_S5_,comdat
.Lfunc_end66:
	.size	_ZL33flash_attn_stream_k_fixup_uniformILi64ELi4ELi1EEvPfPK15HIP_vector_typeIfLj2EEiiiiiiS1_IjLj3EES5_S5_, .Lfunc_end66-_ZL33flash_attn_stream_k_fixup_uniformILi64ELi4ELi1EEvPfPK15HIP_vector_typeIfLj2EEiiiiiiS1_IjLj3EES5_S5_
                                        ; -- End function
	.set _ZL33flash_attn_stream_k_fixup_uniformILi64ELi4ELi1EEvPfPK15HIP_vector_typeIfLj2EEiiiiiiS1_IjLj3EES5_S5_.num_vgpr, 12
	.set _ZL33flash_attn_stream_k_fixup_uniformILi64ELi4ELi1EEvPfPK15HIP_vector_typeIfLj2EEiiiiiiS1_IjLj3EES5_S5_.num_agpr, 0
	.set _ZL33flash_attn_stream_k_fixup_uniformILi64ELi4ELi1EEvPfPK15HIP_vector_typeIfLj2EEiiiiiiS1_IjLj3EES5_S5_.numbered_sgpr, 21
	.set _ZL33flash_attn_stream_k_fixup_uniformILi64ELi4ELi1EEvPfPK15HIP_vector_typeIfLj2EEiiiiiiS1_IjLj3EES5_S5_.num_named_barrier, 0
	.set _ZL33flash_attn_stream_k_fixup_uniformILi64ELi4ELi1EEvPfPK15HIP_vector_typeIfLj2EEiiiiiiS1_IjLj3EES5_S5_.private_seg_size, 0
	.set _ZL33flash_attn_stream_k_fixup_uniformILi64ELi4ELi1EEvPfPK15HIP_vector_typeIfLj2EEiiiiiiS1_IjLj3EES5_S5_.uses_vcc, 1
	.set _ZL33flash_attn_stream_k_fixup_uniformILi64ELi4ELi1EEvPfPK15HIP_vector_typeIfLj2EEiiiiiiS1_IjLj3EES5_S5_.uses_flat_scratch, 0
	.set _ZL33flash_attn_stream_k_fixup_uniformILi64ELi4ELi1EEvPfPK15HIP_vector_typeIfLj2EEiiiiiiS1_IjLj3EES5_S5_.has_dyn_sized_stack, 0
	.set _ZL33flash_attn_stream_k_fixup_uniformILi64ELi4ELi1EEvPfPK15HIP_vector_typeIfLj2EEiiiiiiS1_IjLj3EES5_S5_.has_recursion, 0
	.set _ZL33flash_attn_stream_k_fixup_uniformILi64ELi4ELi1EEvPfPK15HIP_vector_typeIfLj2EEiiiiiiS1_IjLj3EES5_S5_.has_indirect_call, 0
	.section	.AMDGPU.csdata,"",@progbits
; Kernel info:
; codeLenInByte = 1080
; TotalNumSgprs: 23
; NumVgprs: 12
; ScratchSize: 0
; MemoryBound: 0
; FloatMode: 240
; IeeeMode: 1
; LDSByteSize: 0 bytes/workgroup (compile time only)
; SGPRBlocks: 0
; VGPRBlocks: 0
; NumSGPRsForWavesPerEU: 23
; NumVGPRsForWavesPerEU: 12
; NamedBarCnt: 0
; Occupancy: 16
; WaveLimiterHint : 0
; COMPUTE_PGM_RSRC2:SCRATCH_EN: 0
; COMPUTE_PGM_RSRC2:USER_SGPR: 2
; COMPUTE_PGM_RSRC2:TRAP_HANDLER: 0
; COMPUTE_PGM_RSRC2:TGID_X_EN: 1
; COMPUTE_PGM_RSRC2:TGID_Y_EN: 1
; COMPUTE_PGM_RSRC2:TGID_Z_EN: 1
; COMPUTE_PGM_RSRC2:TIDIG_COMP_CNT: 0
	.section	.text._ZL33flash_attn_stream_k_fixup_generalILi64ELi4ELi1EEvPfPK15HIP_vector_typeIfLj2EEiiiiS1_IjLj3EES5_S5_S5_,"axG",@progbits,_ZL33flash_attn_stream_k_fixup_generalILi64ELi4ELi1EEvPfPK15HIP_vector_typeIfLj2EEiiiiS1_IjLj3EES5_S5_S5_,comdat
	.globl	_ZL33flash_attn_stream_k_fixup_generalILi64ELi4ELi1EEvPfPK15HIP_vector_typeIfLj2EEiiiiS1_IjLj3EES5_S5_S5_ ; -- Begin function _ZL33flash_attn_stream_k_fixup_generalILi64ELi4ELi1EEvPfPK15HIP_vector_typeIfLj2EEiiiiS1_IjLj3EES5_S5_S5_
	.p2align	8
	.type	_ZL33flash_attn_stream_k_fixup_generalILi64ELi4ELi1EEvPfPK15HIP_vector_typeIfLj2EEiiiiS1_IjLj3EES5_S5_S5_,@function
_ZL33flash_attn_stream_k_fixup_generalILi64ELi4ELi1EEvPfPK15HIP_vector_typeIfLj2EEiiiiS1_IjLj3EES5_S5_S5_: ; @_ZL33flash_attn_stream_k_fixup_generalILi64ELi4ELi1EEvPfPK15HIP_vector_typeIfLj2EEiiiiS1_IjLj3EES5_S5_S5_
; %bb.0:
	s_clause 0x1
	s_load_b128 s[4:7], s[0:1], 0x10
	s_load_b32 s16, s[0:1], 0x50
	s_bfe_u32 s2, ttmp6, 0x4000c
	s_and_b32 s3, ttmp6, 15
	s_add_co_i32 s2, s2, 1
	s_getreg_b32 s15, hwreg(HW_REG_IB_STS2, 6, 4)
	s_mul_i32 s2, ttmp9, s2
	s_mov_b32 s17, 0
	s_add_co_i32 s3, s3, s2
	s_cmp_eq_u32 s15, 0
	s_cselect_b32 s2, ttmp9, s3
	s_delay_alu instid0(SALU_CYCLE_1) | instskip(SKIP_3) | instid1(SALU_CYCLE_1)
	s_ashr_i32 s3, s2, 31
	s_wait_kmcnt 0x0
	s_ashr_i32 s19, s7, 31
	s_mov_b32 s18, s7
	s_mul_u64 s[8:9], s[18:19], s[2:3]
	s_delay_alu instid0(SALU_CYCLE_1) | instskip(NEXT) | instid1(SALU_CYCLE_1)
	s_and_b64 s[10:11], s[8:9], 0xffffffff00000000
	s_cmp_lg_u64 s[10:11], 0
	s_cbranch_scc0 .LBB67_21
; %bb.1:
	s_add_nc_u64 s[10:11], s[16:17], 0
	s_mov_b32 s23, s17
	s_xor_b64 s[10:11], s[10:11], 0
	s_mov_b32 s27, s17
	s_cvt_f32_u32 s3, s10
	s_cvt_f32_u32 s7, s11
	s_sub_nc_u64 s[20:21], 0, s[10:11]
	s_delay_alu instid0(SALU_CYCLE_2) | instskip(NEXT) | instid1(SALU_CYCLE_3)
	s_fmamk_f32 s3, s7, 0x4f800000, s3
	v_s_rcp_f32 s3, s3
	s_delay_alu instid0(TRANS32_DEP_1) | instskip(NEXT) | instid1(SALU_CYCLE_3)
	s_mul_f32 s3, s3, 0x5f7ffffc
	s_mul_f32 s7, s3, 0x2f800000
	s_delay_alu instid0(SALU_CYCLE_3) | instskip(NEXT) | instid1(SALU_CYCLE_3)
	s_trunc_f32 s7, s7
	s_fmamk_f32 s3, s7, 0xcf800000, s3
	s_cvt_u32_f32 s13, s7
	s_delay_alu instid0(SALU_CYCLE_2) | instskip(NEXT) | instid1(SALU_CYCLE_3)
	s_cvt_u32_f32 s12, s3
	s_mul_u64 s[24:25], s[20:21], s[12:13]
	s_delay_alu instid0(SALU_CYCLE_1)
	s_mul_hi_u32 s29, s12, s25
	s_mul_i32 s28, s12, s25
	s_mul_hi_u32 s22, s12, s24
	s_mul_i32 s7, s13, s24
	s_add_nc_u64 s[22:23], s[22:23], s[28:29]
	s_mul_hi_u32 s3, s13, s24
	s_mul_hi_u32 s14, s13, s25
	s_add_co_u32 s7, s22, s7
	s_add_co_ci_u32 s26, s23, s3
	s_mul_i32 s24, s13, s25
	s_add_co_ci_u32 s25, s14, 0
	s_delay_alu instid0(SALU_CYCLE_1) | instskip(SKIP_3) | instid1(SALU_CYCLE_1)
	s_add_nc_u64 s[22:23], s[26:27], s[24:25]
	s_mov_b32 s25, s17
	s_add_co_u32 s12, s12, s22
	s_cselect_b32 s3, -1, 0
	s_cmp_lg_u32 s3, 0
	s_add_co_ci_u32 s13, s13, s23
	s_mov_b32 s23, s17
	s_mul_u64 s[20:21], s[20:21], s[12:13]
	s_delay_alu instid0(SALU_CYCLE_1)
	s_mul_hi_u32 s27, s12, s21
	s_mul_i32 s26, s12, s21
	s_mul_hi_u32 s22, s12, s20
	s_mul_i32 s7, s13, s20
	s_add_nc_u64 s[22:23], s[22:23], s[26:27]
	s_mul_hi_u32 s3, s13, s20
	s_mul_hi_u32 s14, s13, s21
	s_add_co_u32 s7, s22, s7
	s_add_co_ci_u32 s24, s23, s3
	s_mul_i32 s20, s13, s21
	s_add_co_ci_u32 s21, s14, 0
	s_mov_b32 s23, s17
	s_add_nc_u64 s[20:21], s[24:25], s[20:21]
	s_delay_alu instid0(SALU_CYCLE_1) | instskip(SKIP_1) | instid1(SALU_CYCLE_1)
	s_add_co_u32 s3, s12, s20
	s_cselect_b32 s7, -1, 0
	s_cmp_lg_u32 s7, 0
	s_add_co_ci_u32 s7, s13, s21
	s_ashr_i32 s12, s9, 31
	s_delay_alu instid0(SALU_CYCLE_1) | instskip(NEXT) | instid1(SALU_CYCLE_1)
	s_mov_b32 s13, s12
	s_add_nc_u64 s[20:21], s[8:9], s[12:13]
	s_delay_alu instid0(SALU_CYCLE_1) | instskip(NEXT) | instid1(SALU_CYCLE_1)
	s_xor_b64 s[20:21], s[20:21], s[12:13]
	s_mul_hi_u32 s27, s20, s7
	s_mul_i32 s26, s20, s7
	s_mul_hi_u32 s22, s20, s3
	s_mul_hi_u32 s14, s21, s3
	s_mul_i32 s3, s21, s3
	s_add_nc_u64 s[22:23], s[22:23], s[26:27]
	s_mul_hi_u32 s9, s21, s7
	s_add_co_u32 s3, s22, s3
	s_add_co_ci_u32 s24, s23, s14
	s_mul_i32 s26, s21, s7
	s_add_co_ci_u32 s27, s9, 0
	s_delay_alu instid0(SALU_CYCLE_1) | instskip(NEXT) | instid1(SALU_CYCLE_1)
	s_add_nc_u64 s[22:23], s[24:25], s[26:27]
	s_and_b64 s[24:25], s[22:23], 0xffffffff00000000
	s_delay_alu instid0(SALU_CYCLE_1) | instskip(NEXT) | instid1(SALU_CYCLE_1)
	s_or_b32 s24, s24, s22
	s_mul_u64 s[22:23], s[10:11], s[24:25]
	s_add_nc_u64 s[26:27], s[24:25], 1
	s_sub_co_u32 s3, s20, s22
	s_cselect_b32 s7, -1, 0
	s_sub_co_i32 s9, s21, s23
	s_cmp_lg_u32 s7, 0
	s_add_nc_u64 s[28:29], s[24:25], 2
	s_sub_co_ci_u32 s9, s9, s11
	s_sub_co_u32 s14, s3, s10
	s_cselect_b32 s20, -1, 0
	s_delay_alu instid0(SALU_CYCLE_1) | instskip(SKIP_1) | instid1(SALU_CYCLE_1)
	s_cmp_lg_u32 s20, 0
	s_sub_co_ci_u32 s9, s9, 0
	s_cmp_ge_u32 s9, s11
	s_cselect_b32 s20, -1, 0
	s_cmp_ge_u32 s14, s10
	s_cselect_b32 s14, -1, 0
	s_cmp_eq_u32 s9, s11
	s_cselect_b32 s9, s14, s20
	s_delay_alu instid0(SALU_CYCLE_1) | instskip(SKIP_4) | instid1(SALU_CYCLE_1)
	s_cmp_lg_u32 s9, 0
	s_cselect_b32 s9, s28, s26
	s_cselect_b32 s14, s29, s27
	s_cmp_lg_u32 s7, 0
	s_sub_co_ci_u32 s7, s21, s23
	s_cmp_ge_u32 s7, s11
	s_cselect_b32 s20, -1, 0
	s_cmp_ge_u32 s3, s10
	s_cselect_b32 s3, -1, 0
	s_cmp_eq_u32 s7, s11
	s_cselect_b32 s3, s3, s20
	s_delay_alu instid0(SALU_CYCLE_1) | instskip(SKIP_4) | instid1(SALU_CYCLE_1)
	s_cmp_lg_u32 s3, 0
	s_mov_b32 s3, s17
	s_cselect_b32 s11, s14, s25
	s_cselect_b32 s10, s9, s24
	s_xor_b64 s[12:13], s[12:13], 0
	s_xor_b64 s[10:11], s[10:11], s[12:13]
	s_delay_alu instid0(SALU_CYCLE_1)
	s_sub_nc_u64 s[20:21], s[10:11], s[12:13]
	s_and_not1_b32 vcc_lo, exec_lo, s3
	s_cbranch_vccnz .LBB67_3
.LBB67_2:
	v_cvt_f32_u32_e32 v1, s16
	s_sub_co_i32 s7, 0, s16
	s_mov_b32 s21, 0
	s_delay_alu instid0(VALU_DEP_1) | instskip(SKIP_1) | instid1(TRANS32_DEP_1)
	v_rcp_iflag_f32_e32 v1, v1
	v_nop
	v_mul_f32_e32 v1, 0x4f7ffffe, v1
	s_delay_alu instid0(VALU_DEP_1) | instskip(NEXT) | instid1(VALU_DEP_1)
	v_cvt_u32_f32_e32 v1, v1
	v_readfirstlane_b32 s3, v1
	s_mul_i32 s7, s7, s3
	s_delay_alu instid0(SALU_CYCLE_1) | instskip(NEXT) | instid1(SALU_CYCLE_1)
	s_mul_hi_u32 s7, s3, s7
	s_add_co_i32 s3, s3, s7
	s_delay_alu instid0(SALU_CYCLE_1) | instskip(NEXT) | instid1(SALU_CYCLE_1)
	s_mul_hi_u32 s3, s8, s3
	s_mul_i32 s7, s3, s16
	s_delay_alu instid0(SALU_CYCLE_1)
	s_sub_co_i32 s7, s8, s7
	s_add_co_i32 s8, s3, 1
	s_sub_co_i32 s9, s7, s16
	s_cmp_ge_u32 s7, s16
	s_cselect_b32 s3, s8, s3
	s_cselect_b32 s7, s9, s7
	s_add_co_i32 s8, s3, 1
	s_cmp_ge_u32 s7, s16
	s_cselect_b32 s20, s8, s3
.LBB67_3:
	s_add_co_i32 s8, s2, 1
	s_delay_alu instid0(SALU_CYCLE_1) | instskip(NEXT) | instid1(SALU_CYCLE_1)
	s_ashr_i32 s9, s8, 31
	s_mul_u64 s[8:9], s[18:19], s[8:9]
	s_delay_alu instid0(SALU_CYCLE_1) | instskip(NEXT) | instid1(SALU_CYCLE_1)
	s_and_b64 s[10:11], s[8:9], 0xffffffff00000000
	s_cmp_lg_u64 s[10:11], 0
	s_cbranch_scc0 .LBB67_22
; %bb.4:
	s_add_nc_u64 s[10:11], s[16:17], 0
	s_delay_alu instid0(SALU_CYCLE_1) | instskip(SKIP_4) | instid1(SALU_CYCLE_2)
	s_xor_b64 s[12:13], s[10:11], 0
	s_mov_b32 s11, 0
	s_cvt_f32_u32 s3, s12
	s_cvt_f32_u32 s7, s13
	s_sub_nc_u64 s[24:25], 0, s[12:13]
	s_fmamk_f32 s3, s7, 0x4f800000, s3
	s_delay_alu instid0(SALU_CYCLE_3) | instskip(NEXT) | instid1(TRANS32_DEP_1)
	v_s_rcp_f32 s3, s3
	s_mul_f32 s3, s3, 0x5f7ffffc
	s_delay_alu instid0(SALU_CYCLE_3) | instskip(NEXT) | instid1(SALU_CYCLE_3)
	s_mul_f32 s7, s3, 0x2f800000
	s_trunc_f32 s7, s7
	s_delay_alu instid0(SALU_CYCLE_3) | instskip(SKIP_1) | instid1(SALU_CYCLE_2)
	s_fmamk_f32 s3, s7, 0xcf800000, s3
	s_cvt_u32_f32 s23, s7
	s_cvt_u32_f32 s22, s3
	s_delay_alu instid0(SALU_CYCLE_3) | instskip(NEXT) | instid1(SALU_CYCLE_1)
	s_mul_u64 s[26:27], s[24:25], s[22:23]
	s_mul_hi_u32 s29, s22, s27
	s_mul_i32 s28, s22, s27
	s_mul_hi_u32 s10, s22, s26
	s_mul_i32 s7, s23, s26
	s_add_nc_u64 s[28:29], s[10:11], s[28:29]
	s_mul_hi_u32 s3, s23, s26
	s_mul_hi_u32 s14, s23, s27
	s_add_co_u32 s7, s28, s7
	s_add_co_ci_u32 s10, s29, s3
	s_mul_i32 s26, s23, s27
	s_add_co_ci_u32 s27, s14, 0
	s_delay_alu instid0(SALU_CYCLE_1) | instskip(NEXT) | instid1(SALU_CYCLE_1)
	s_add_nc_u64 s[26:27], s[10:11], s[26:27]
	s_add_co_u32 s22, s22, s26
	s_cselect_b32 s3, -1, 0
	s_delay_alu instid0(SALU_CYCLE_1) | instskip(SKIP_1) | instid1(SALU_CYCLE_1)
	s_cmp_lg_u32 s3, 0
	s_add_co_ci_u32 s23, s23, s27
	s_mul_u64 s[24:25], s[24:25], s[22:23]
	s_delay_alu instid0(SALU_CYCLE_1)
	s_mul_hi_u32 s27, s22, s25
	s_mul_i32 s26, s22, s25
	s_mul_hi_u32 s10, s22, s24
	s_mul_i32 s7, s23, s24
	s_add_nc_u64 s[26:27], s[10:11], s[26:27]
	s_mul_hi_u32 s3, s23, s24
	s_mul_hi_u32 s14, s23, s25
	s_add_co_u32 s7, s26, s7
	s_add_co_ci_u32 s10, s27, s3
	s_mul_i32 s24, s23, s25
	s_add_co_ci_u32 s25, s14, 0
	s_delay_alu instid0(SALU_CYCLE_1) | instskip(NEXT) | instid1(SALU_CYCLE_1)
	s_add_nc_u64 s[24:25], s[10:11], s[24:25]
	s_add_co_u32 s3, s22, s24
	s_cselect_b32 s7, -1, 0
	s_delay_alu instid0(SALU_CYCLE_1) | instskip(SKIP_2) | instid1(SALU_CYCLE_1)
	s_cmp_lg_u32 s7, 0
	s_add_co_ci_u32 s7, s23, s25
	s_ashr_i32 s22, s9, 31
	s_mov_b32 s23, s22
	s_delay_alu instid0(SALU_CYCLE_1) | instskip(NEXT) | instid1(SALU_CYCLE_1)
	s_add_nc_u64 s[24:25], s[8:9], s[22:23]
	s_xor_b64 s[24:25], s[24:25], s[22:23]
	s_delay_alu instid0(SALU_CYCLE_1)
	s_mul_hi_u32 s27, s24, s7
	s_mul_i32 s26, s24, s7
	s_mul_hi_u32 s10, s24, s3
	s_mul_hi_u32 s14, s25, s3
	s_mul_i32 s3, s25, s3
	s_add_nc_u64 s[26:27], s[10:11], s[26:27]
	s_mul_hi_u32 s9, s25, s7
	s_add_co_u32 s3, s26, s3
	s_add_co_ci_u32 s10, s27, s14
	s_mul_i32 s28, s25, s7
	s_add_co_ci_u32 s29, s9, 0
	s_delay_alu instid0(SALU_CYCLE_1) | instskip(NEXT) | instid1(SALU_CYCLE_1)
	s_add_nc_u64 s[26:27], s[10:11], s[28:29]
	s_and_b64 s[28:29], s[26:27], 0xffffffff00000000
	s_delay_alu instid0(SALU_CYCLE_1) | instskip(NEXT) | instid1(SALU_CYCLE_1)
	s_or_b32 s28, s28, s26
	s_mul_u64 s[26:27], s[12:13], s[28:29]
	s_add_nc_u64 s[30:31], s[28:29], 1
	s_sub_co_u32 s3, s24, s26
	s_cselect_b32 s7, -1, 0
	s_sub_co_i32 s9, s25, s27
	s_cmp_lg_u32 s7, 0
	s_add_nc_u64 s[34:35], s[28:29], 2
	s_sub_co_ci_u32 s9, s9, s13
	s_sub_co_u32 s10, s3, s12
	s_cselect_b32 s14, -1, 0
	s_delay_alu instid0(SALU_CYCLE_1) | instskip(SKIP_1) | instid1(SALU_CYCLE_1)
	s_cmp_lg_u32 s14, 0
	s_sub_co_ci_u32 s9, s9, 0
	s_cmp_ge_u32 s9, s13
	s_cselect_b32 s14, -1, 0
	s_cmp_ge_u32 s10, s12
	s_cselect_b32 s10, -1, 0
	s_cmp_eq_u32 s9, s13
	s_cselect_b32 s9, s10, s14
	s_delay_alu instid0(SALU_CYCLE_1) | instskip(SKIP_4) | instid1(SALU_CYCLE_1)
	s_cmp_lg_u32 s9, 0
	s_cselect_b32 s9, s34, s30
	s_cselect_b32 s10, s35, s31
	s_cmp_lg_u32 s7, 0
	s_sub_co_ci_u32 s7, s25, s27
	s_cmp_ge_u32 s7, s13
	s_cselect_b32 s14, -1, 0
	s_cmp_ge_u32 s3, s12
	s_cselect_b32 s3, -1, 0
	s_cmp_eq_u32 s7, s13
	s_cselect_b32 s3, s3, s14
	s_delay_alu instid0(SALU_CYCLE_1) | instskip(SKIP_3) | instid1(SALU_CYCLE_1)
	s_cmp_lg_u32 s3, 0
	s_cselect_b32 s13, s10, s29
	s_cselect_b32 s12, s9, s28
	s_xor_b64 s[22:23], s[22:23], 0
	s_xor_b64 s[12:13], s[12:13], s[22:23]
	s_delay_alu instid0(SALU_CYCLE_1)
	s_sub_nc_u64 s[24:25], s[12:13], s[22:23]
	s_load_b96 s[12:14], s[0:1], 0x44
	s_cbranch_execnz .LBB67_6
.LBB67_5:
	v_cvt_f32_u32_e32 v1, s16
	s_sub_co_i32 s7, 0, s16
	s_delay_alu instid0(VALU_DEP_1) | instskip(SKIP_1) | instid1(TRANS32_DEP_1)
	v_rcp_iflag_f32_e32 v1, v1
	v_nop
	v_mul_f32_e32 v1, 0x4f7ffffe, v1
	s_delay_alu instid0(VALU_DEP_1) | instskip(NEXT) | instid1(VALU_DEP_1)
	v_cvt_u32_f32_e32 v1, v1
	v_readfirstlane_b32 s3, v1
	s_mul_i32 s7, s7, s3
	s_delay_alu instid0(SALU_CYCLE_1) | instskip(NEXT) | instid1(SALU_CYCLE_1)
	s_mul_hi_u32 s7, s3, s7
	s_add_co_i32 s3, s3, s7
	s_delay_alu instid0(SALU_CYCLE_1) | instskip(NEXT) | instid1(SALU_CYCLE_1)
	s_mul_hi_u32 s3, s8, s3
	s_mul_i32 s7, s3, s16
	s_delay_alu instid0(SALU_CYCLE_1)
	s_sub_co_i32 s7, s8, s7
	s_add_co_i32 s8, s3, 1
	s_sub_co_i32 s9, s7, s16
	s_cmp_ge_u32 s7, s16
	s_cselect_b32 s3, s8, s3
	s_cselect_b32 s7, s9, s7
	s_add_co_i32 s8, s3, 1
	s_cmp_ge_u32 s7, s16
	s_cselect_b32 s24, s8, s3
.LBB67_6:
	s_delay_alu instid0(SALU_CYCLE_1)
	s_cmp_eq_u32 s20, s24
	s_mov_b64 s[8:9], 0xffffffff
	s_cselect_b32 s3, -1, 0
	s_and_b64 s[8:9], s[20:21], s[8:9]
	s_mov_b32 s23, 0
	s_wait_kmcnt 0x0
	s_mov_b32 s22, s12
	s_mov_b32 s25, s23
	s_mul_u64 s[10:11], s[8:9], s[22:23]
	s_delay_alu instid0(SALU_CYCLE_1) | instskip(SKIP_2) | instid1(SALU_CYCLE_1)
	s_add_co_i32 s7, s11, s20
	s_mul_u64 s[10:11], s[24:25], s[22:23]
	s_lshr_b32 s12, s7, s13
	s_mul_i32 s7, s12, s14
	s_delay_alu instid0(SALU_CYCLE_1) | instskip(SKIP_2) | instid1(SALU_CYCLE_1)
	s_cmp_eq_u32 s7, s20
	s_cselect_b32 s7, -1, 0
	s_add_co_i32 s10, s11, s24
	s_lshr_b32 s10, s10, s13
	s_delay_alu instid0(SALU_CYCLE_1)
	s_cmp_eq_u32 s12, s10
	s_mul_i32 s10, s10, s14
	s_cselect_b32 s11, -1, 0
	s_cmp_lg_u32 s10, s24
	s_cselect_b32 s10, -1, 0
	s_or_b32 s3, s3, s7
	s_and_b32 s10, s11, s10
	s_delay_alu instid0(SALU_CYCLE_1) | instskip(NEXT) | instid1(SALU_CYCLE_1)
	s_or_b32 s3, s3, s10
	s_and_b32 vcc_lo, exec_lo, s3
	s_cbranch_vccnz .LBB67_24
; %bb.7:
	s_load_b256 s[24:31], s[0:1], 0x20
	s_bfe_u32 s7, ttmp6, 0x40014
	s_bfe_u32 s33, ttmp6, 0x40010
	s_lshr_b32 s3, ttmp7, 16
	s_add_co_i32 s7, s7, 1
	s_and_b32 s21, ttmp7, 0xffff
	s_add_co_i32 s33, s33, 1
	s_bfe_u32 s10, ttmp6, 0x40008
	s_mul_i32 s7, s3, s7
	s_bfe_u32 s34, ttmp6, 0x40004
	s_mul_i32 s33, s21, s33
	s_mov_b32 s11, s23
	s_add_co_i32 s7, s10, s7
	s_add_co_i32 s34, s34, s33
	s_cmp_eq_u32 s15, 0
	s_cselect_b32 s15, s21, s34
	s_cselect_b32 s3, s3, s7
	s_wait_kmcnt 0x0
	s_mov_b32 s10, s24
	s_delay_alu instid0(SALU_CYCLE_1) | instskip(SKIP_2) | instid1(SALU_CYCLE_1)
	s_mul_u64 s[8:9], s[8:9], s[10:11]
	s_load_b32 s8, s[0:1], 0x40
	s_add_co_i32 s7, s9, s20
	s_lshr_b32 s7, s7, s25
	s_delay_alu instid0(SALU_CYCLE_1) | instskip(NEXT) | instid1(SALU_CYCLE_1)
	s_mul_i32 s9, s7, s26
	s_sub_co_i32 s9, s20, s9
	s_delay_alu instid0(SALU_CYCLE_1) | instskip(NEXT) | instid1(SALU_CYCLE_1)
	s_mul_hi_u32 s10, s9, s27
	s_add_co_i32 s10, s9, s10
	s_delay_alu instid0(SALU_CYCLE_1) | instskip(NEXT) | instid1(SALU_CYCLE_1)
	s_lshr_b32 s21, s10, s28
	s_mul_i32 s10, s21, s29
	s_delay_alu instid0(SALU_CYCLE_1) | instskip(NEXT) | instid1(SALU_CYCLE_1)
	s_sub_co_i32 s10, s9, s10
	s_mul_hi_u32 s9, s10, s30
	s_delay_alu instid0(SALU_CYCLE_1) | instskip(NEXT) | instid1(SALU_CYCLE_1)
	s_add_co_i32 s9, s10, s9
	s_lshr_b32 s24, s9, s31
	s_mov_b32 s9, s23
	s_wait_kmcnt 0x0
	s_mul_i32 s8, s24, s8
	s_delay_alu instid0(SALU_CYCLE_1) | instskip(NEXT) | instid1(SALU_CYCLE_1)
	s_sub_co_i32 s8, s10, s8
	s_mul_u64 s[10:11], s[8:9], s[22:23]
	s_delay_alu instid0(SALU_CYCLE_1) | instskip(NEXT) | instid1(SALU_CYCLE_1)
	s_add_co_i32 s8, s8, s11
	s_lshr_b32 s25, s8, s13
	s_delay_alu instid0(SALU_CYCLE_1) | instskip(NEXT) | instid1(SALU_CYCLE_1)
	s_lshl_b32 s8, s25, 2
	s_add_co_i32 s8, s8, s15
	s_delay_alu instid0(SALU_CYCLE_1) | instskip(SKIP_2) | instid1(SALU_CYCLE_1)
	s_cmp_lt_i32 s8, s4
	s_cselect_b32 s8, -1, 0
	s_add_co_i32 s9, s24, s3
	s_cmp_lt_i32 s9, s6
	s_cselect_b32 s9, -1, 0
	s_delay_alu instid0(SALU_CYCLE_1) | instskip(NEXT) | instid1(SALU_CYCLE_1)
	s_and_b32 s8, s8, s9
	s_and_not1_b32 vcc_lo, exec_lo, s8
	s_cbranch_vccnz .LBB67_24
; %bb.8:
	s_mul_i32 s4, s7, s4
	s_load_b128 s[8:11], s[0:1], 0x0
	s_wait_xcnt 0x0
	s_add_co_i32 s0, s4, s15
	s_mul_i32 s21, s21, s6
	s_mul_i32 s0, s0, s5
	;; [unrolled: 1-line block ×3, first 2 shown]
	s_add_co_i32 s0, s0, s3
	s_lshl_b32 s1, s1, 8
	s_add_co_i32 s0, s0, s21
	s_add_co_i32 s15, s15, s3
	s_add_co_i32 s0, s0, s24
	v_lshl_or_b32 v6, s15, 6, v0
	s_lshl_b32 s0, s0, 6
	v_cvt_f32_u32_e32 v4, s16
	s_add_co_i32 s1, s1, s0
	s_lshl_b32 s24, s16, 4
	v_or_b32_e32 v2, s1, v0
	s_add_nc_u64 s[0:1], s[16:17], 0
	v_rcp_iflag_f32_e32 v4, v4
	s_xor_b64 s[6:7], s[0:1], 0
	s_lshl_b32 s0, s2, 2
	s_cvt_f32_u32 s3, s6
	s_add_co_i32 s0, s0, s15
	s_cvt_f32_u32 s4, s7
	s_ashr_i32 s1, s0, 31
	s_mov_b32 s25, 0
	s_lshl_b64 s[0:1], s[0:1], 3
	s_fmamk_f32 s3, s4, 0x4f800000, s3
	s_wait_kmcnt 0x0
	s_add_nc_u64 s[0:1], s[10:11], s[0:1]
	s_add_co_i32 s36, s2, -1
	s_load_b64 s[28:29], s[0:1], 0x0
	v_s_rcp_f32 s3, s3
	s_wait_xcnt 0x0
	s_lshl_b64 s[0:1], s[24:25], 2
	s_sub_nc_u64 s[34:35], 0, s[6:7]
	s_add_nc_u64 s[26:27], s[10:11], s[0:1]
	v_mul_f32_e32 v4, 0x4f7ffffe, v4
	s_delay_alu instid0(TRANS32_DEP_1) | instskip(NEXT) | instid1(VALU_DEP_1)
	s_mul_f32 s3, s3, 0x5f7ffffc
	v_cvt_u32_f32_e32 v7, v4
	s_delay_alu instid0(SALU_CYCLE_2) | instskip(NEXT) | instid1(SALU_CYCLE_3)
	s_mul_f32 s4, s3, 0x2f800000
	s_trunc_f32 s4, s4
	s_wait_kmcnt 0x0
	v_mov_b32_e32 v0, s29
	global_load_b32 v1, v2, s[8:9] scale_offset
	v_ashrrev_i32_e32 v3, 31, v2
	s_fmamk_f32 s0, s4, 0xcf800000, s3
	s_cvt_u32_f32 s31, s4
	s_wait_xcnt 0x0
	s_delay_alu instid0(VALU_DEP_1)
	v_lshl_add_u64 v[2:3], v[2:3], 2, s[8:9]
	s_cvt_u32_f32 s30, s0
	s_mov_b64 s[8:9], 0xffffffff
.LBB67_9:                               ; =>This Inner Loop Header: Depth=1
	s_ashr_i32 s37, s36, 31
                                        ; implicit-def: $sgpr40_sgpr41
	s_delay_alu instid0(SALU_CYCLE_1) | instskip(NEXT) | instid1(SALU_CYCLE_1)
	s_mul_u64 s[0:1], s[36:37], s[18:19]
	s_and_b64 s[2:3], s[0:1], 0xffffffff00000000
	s_delay_alu instid0(SALU_CYCLE_1)
	s_cmp_lg_u64 s[2:3], 0
	s_mov_b32 s2, -1
	s_cbranch_scc0 .LBB67_11
; %bb.10:                               ;   in Loop: Header=BB67_9 Depth=1
	s_mul_u64 s[2:3], s[34:35], s[30:31]
	s_delay_alu instid0(SALU_CYCLE_1)
	s_mul_hi_u32 s5, s30, s3
	s_mul_i32 s4, s30, s3
	s_mul_hi_u32 s24, s30, s2
	s_mul_hi_u32 s17, s31, s2
	s_add_nc_u64 s[4:5], s[24:25], s[4:5]
	s_mul_i32 s2, s31, s2
	s_mul_hi_u32 s21, s31, s3
	s_add_co_u32 s2, s4, s2
	s_add_co_ci_u32 s24, s5, s17
	s_add_co_ci_u32 s5, s21, 0
	s_mul_i32 s4, s31, s3
	s_delay_alu instid0(SALU_CYCLE_1) | instskip(NEXT) | instid1(SALU_CYCLE_1)
	s_add_nc_u64 s[2:3], s[24:25], s[4:5]
	s_add_co_u32 s2, s30, s2
	s_cselect_b32 s4, -1, 0
	s_delay_alu instid0(SALU_CYCLE_1) | instskip(SKIP_1) | instid1(SALU_CYCLE_1)
	s_cmp_lg_u32 s4, 0
	s_add_co_ci_u32 s3, s31, s3
	s_mul_u64 s[4:5], s[34:35], s[2:3]
	s_delay_alu instid0(SALU_CYCLE_1)
	s_mul_hi_u32 s39, s2, s5
	s_mul_i32 s38, s2, s5
	s_mul_hi_u32 s24, s2, s4
	s_mul_hi_u32 s17, s3, s4
	s_mul_i32 s4, s3, s4
	s_add_nc_u64 s[38:39], s[24:25], s[38:39]
	s_mul_hi_u32 s21, s3, s5
	s_add_co_u32 s4, s38, s4
	s_add_co_ci_u32 s24, s39, s17
	s_mul_i32 s4, s3, s5
	s_add_co_ci_u32 s5, s21, 0
	s_delay_alu instid0(SALU_CYCLE_1) | instskip(NEXT) | instid1(SALU_CYCLE_1)
	s_add_nc_u64 s[4:5], s[24:25], s[4:5]
	s_add_co_u32 s17, s2, s4
	s_cselect_b32 s2, -1, 0
	s_delay_alu instid0(SALU_CYCLE_1) | instskip(SKIP_2) | instid1(SALU_CYCLE_1)
	s_cmp_lg_u32 s2, 0
	s_add_co_ci_u32 s21, s3, s5
	s_ashr_i32 s2, s1, 31
	s_mov_b32 s3, s2
	s_delay_alu instid0(SALU_CYCLE_1) | instskip(NEXT) | instid1(SALU_CYCLE_1)
	s_add_nc_u64 s[4:5], s[0:1], s[2:3]
	s_xor_b64 s[4:5], s[4:5], s[2:3]
	s_delay_alu instid0(SALU_CYCLE_1)
	s_mul_hi_u32 s39, s4, s21
	s_mul_i32 s38, s4, s21
	s_mul_hi_u32 s24, s4, s17
	s_mul_hi_u32 s29, s5, s17
	s_mul_i32 s17, s5, s17
	s_add_nc_u64 s[38:39], s[24:25], s[38:39]
	s_mul_hi_u32 s1, s5, s21
	s_add_co_u32 s17, s38, s17
	s_add_co_ci_u32 s24, s39, s29
	s_mul_i32 s40, s5, s21
	s_add_co_ci_u32 s41, s1, 0
	s_delay_alu instid0(SALU_CYCLE_1) | instskip(NEXT) | instid1(SALU_CYCLE_1)
	s_add_nc_u64 s[38:39], s[24:25], s[40:41]
	s_and_b64 s[40:41], s[38:39], 0xffffffff00000000
	s_delay_alu instid0(SALU_CYCLE_1) | instskip(NEXT) | instid1(SALU_CYCLE_1)
	s_or_b32 s40, s40, s38
	s_mul_u64 s[38:39], s[6:7], s[40:41]
	s_add_nc_u64 s[42:43], s[40:41], 1
	s_sub_co_u32 s1, s4, s38
	s_cselect_b32 s4, -1, 0
	s_sub_co_i32 s17, s5, s39
	s_cmp_lg_u32 s4, 0
	s_add_nc_u64 s[44:45], s[40:41], 2
	s_sub_co_ci_u32 s17, s17, s7
	s_sub_co_u32 s21, s1, s6
	s_cselect_b32 s24, -1, 0
	s_delay_alu instid0(SALU_CYCLE_1) | instskip(SKIP_1) | instid1(SALU_CYCLE_1)
	s_cmp_lg_u32 s24, 0
	s_sub_co_ci_u32 s17, s17, 0
	s_cmp_ge_u32 s17, s7
	s_cselect_b32 s24, -1, 0
	s_cmp_ge_u32 s21, s6
	s_cselect_b32 s21, -1, 0
	s_cmp_eq_u32 s17, s7
	s_cselect_b32 s17, s21, s24
	s_delay_alu instid0(SALU_CYCLE_1) | instskip(SKIP_4) | instid1(SALU_CYCLE_1)
	s_cmp_lg_u32 s17, 0
	s_cselect_b32 s17, s44, s42
	s_cselect_b32 s21, s45, s43
	s_cmp_lg_u32 s4, 0
	s_sub_co_ci_u32 s4, s5, s39
	s_cmp_ge_u32 s4, s7
	s_cselect_b32 s5, -1, 0
	s_cmp_ge_u32 s1, s6
	s_cselect_b32 s1, -1, 0
	s_cmp_eq_u32 s4, s7
	s_cselect_b32 s1, s1, s5
	s_delay_alu instid0(SALU_CYCLE_1) | instskip(SKIP_3) | instid1(SALU_CYCLE_1)
	s_cmp_lg_u32 s1, 0
	s_cselect_b32 s5, s21, s41
	s_cselect_b32 s4, s17, s40
	s_xor_b64 s[2:3], s[2:3], 0
	s_xor_b64 s[4:5], s[4:5], s[2:3]
	s_delay_alu instid0(SALU_CYCLE_1)
	s_sub_nc_u64 s[40:41], s[4:5], s[2:3]
	s_mov_b32 s2, 0
.LBB67_11:                              ;   in Loop: Header=BB67_9 Depth=1
	s_delay_alu instid0(SALU_CYCLE_1)
	s_and_not1_b32 vcc_lo, exec_lo, s2
	s_cbranch_vccnz .LBB67_13
; %bb.12:                               ;   in Loop: Header=BB67_9 Depth=1
	v_readfirstlane_b32 s1, v7
	s_sub_co_i32 s2, 0, s16
	s_delay_alu instid0(SALU_CYCLE_1) | instskip(NEXT) | instid1(SALU_CYCLE_1)
	s_mul_i32 s2, s2, s1
	s_mul_hi_u32 s2, s1, s2
	s_delay_alu instid0(SALU_CYCLE_1) | instskip(NEXT) | instid1(SALU_CYCLE_1)
	s_add_co_i32 s1, s1, s2
	s_mul_hi_u32 s1, s0, s1
	s_delay_alu instid0(SALU_CYCLE_1) | instskip(NEXT) | instid1(SALU_CYCLE_1)
	s_mul_i32 s2, s1, s16
	s_sub_co_i32 s0, s0, s2
	s_add_co_i32 s2, s1, 1
	s_sub_co_i32 s3, s0, s16
	s_cmp_ge_u32 s0, s16
	s_cselect_b32 s1, s2, s1
	s_cselect_b32 s0, s3, s0
	s_add_co_i32 s2, s1, 1
	s_cmp_ge_u32 s0, s16
	s_cselect_b32 s24, s2, s1
	s_delay_alu instid0(SALU_CYCLE_1)
	s_mov_b64 s[40:41], s[24:25]
.LBB67_13:                              ;   in Loop: Header=BB67_9 Depth=1
	s_delay_alu instid0(SALU_CYCLE_1)
	s_cmp_lg_u32 s20, s40
	s_mov_b32 s0, -1
                                        ; implicit-def: $vgpr4_vgpr5
                                        ; implicit-def: $sgpr24
                                        ; implicit-def: $sgpr17
                                        ; implicit-def: $sgpr21
                                        ; implicit-def: $sgpr29
	s_cbranch_scc0 .LBB67_18
; %bb.14:                               ;   in Loop: Header=BB67_9 Depth=1
	s_add_co_i32 s0, s36, s16
	v_max_num_f32_e64 v4, s28, s28
	s_lshl_b32 s0, s0, 2
	s_mov_b32 s29, s20
	s_add_co_i32 s0, s0, s15
	s_load_b64 s[38:39], s[10:11], s0 offset:0x0 scale_offset
	s_wait_xcnt 0x0
	v_readfirstlane_b32 s0, v4
	s_wait_kmcnt 0x0
	v_max_num_f32_e64 v5, s38, s38
	s_delay_alu instid0(VALU_DEP_1) | instskip(SKIP_1) | instid1(SALU_CYCLE_3)
	v_readfirstlane_b32 s1, v5
	s_max_num_f32 s17, s0, s1
	s_sub_f32 s33, s28, s17
	s_sub_f32 s37, s38, s17
	s_delay_alu instid0(SALU_CYCLE_2)
	s_cmp_nlt_f32 s33, 0xc2ce8ed0
	s_cselect_b32 s1, -1, 0
	s_cmp_ngt_f32 s33, 0x42b17218
	s_cselect_b32 s2, -1, 0
	s_cmp_ge_f32 s33, 0xc1a00000
	s_cselect_b32 s0, -1, 0
	s_cmp_nlt_f32 s37, 0xc2ce8ed0
	s_cselect_b32 s3, -1, 0
	s_cmp_ngt_f32 s37, 0x42b17218
	s_cselect_b32 s4, -1, 0
	s_cmp_ge_f32 s37, 0xc1a00000
	s_cselect_b32 s5, -1, 0
	s_and_b64 s[42:43], s[40:41], s[8:9]
	s_delay_alu instid0(SALU_CYCLE_1) | instskip(NEXT) | instid1(SALU_CYCLE_1)
	s_mul_u64 s[42:43], s[42:43], s[22:23]
	s_add_co_i32 s21, s43, s40
	s_delay_alu instid0(SALU_CYCLE_1) | instskip(NEXT) | instid1(SALU_CYCLE_1)
	s_lshr_b32 s21, s21, s13
	s_mul_i32 s24, s21, s14
	s_delay_alu instid0(SALU_CYCLE_1) | instskip(SKIP_3) | instid1(SALU_CYCLE_1)
	s_cmp_eq_u32 s24, s40
	s_cselect_b32 s24, -1, 0
	s_cmp_lt_u32 s21, s12
	s_cselect_b32 s21, -1, 0
	s_or_b32 s21, s21, s24
	s_mov_b32 s24, -1
	s_and_b32 vcc_lo, exec_lo, s21
	s_mov_b32 s21, s36
	s_cbranch_vccnz .LBB67_16
; %bb.15:                               ;   in Loop: Header=BB67_9 Depth=1
	s_add_co_i32 s21, s36, -1
	s_mov_b32 s24, 0
	s_mov_b32 s29, s40
.LBB67_16:                              ;   in Loop: Header=BB67_9 Depth=1
	v_lshl_add_u32 v4, s36, 8, v6
	s_mul_f32 s40, s33, 0x3fb8aa3b
	s_mul_f32 s38, s37, 0x3fb8aa3b
	s_delay_alu instid0(SALU_CYCLE_2)
	s_xor_b32 s42, s40, 0x80000000
	global_load_b32 v5, v4, s[26:27] scale_offset
	s_fmamk_f32 s42, s33, 0x3fb8aa3b, s42
	s_rndne_f32 s44, s40
	s_xor_b32 s41, s38, 0x80000000
	s_rndne_f32 s43, s38
	s_fmamk_f32 s33, s33, 0x32a5705f, s42
	s_sub_f32 s40, s40, s44
	s_fmamk_f32 s41, s37, 0x3fb8aa3b, s41
	s_sub_f32 s38, s38, s43
	s_delay_alu instid0(SALU_CYCLE_1) | instskip(NEXT) | instid1(SALU_CYCLE_1)
	s_add_f32 s33, s40, s33
	s_fmamk_f32 s37, s37, 0x32a5705f, s41
	s_cvt_i32_f32 s40, s44
	s_delay_alu instid0(SALU_CYCLE_1) | instskip(NEXT) | instid1(SALU_CYCLE_1)
	v_s_exp_f32 s33, s33
	s_add_f32 s37, s38, s37
	s_cvt_i32_f32 s38, s43
	s_delay_alu instid0(SALU_CYCLE_2) | instskip(NEXT) | instid1(TRANS32_DEP_2)
	v_s_exp_f32 s37, s37
	v_ldexp_f32 v8, s33, s40
	s_wait_xcnt 0x0
	s_delay_alu instid0(TRANS32_DEP_1) | instskip(NEXT) | instid1(VALU_DEP_2)
	v_ldexp_f32 v4, s37, s38
	v_cndmask_b32_e64 v8, 0, v8, s1
	s_delay_alu instid0(VALU_DEP_1) | instskip(NEXT) | instid1(VALU_DEP_1)
	v_cndmask_b32_e64 v9, 0x7f800000, v8, s2
	v_dual_cndmask_b32 v4, 0, v4, s3 :: v_dual_cndmask_b32 v10, 0, v9, s0
	s_delay_alu instid0(VALU_DEP_1) | instskip(NEXT) | instid1(VALU_DEP_1)
	v_cndmask_b32_e64 v4, 0x7f800000, v4, s4
	v_dual_cndmask_b32 v8, 0, v4, s5 :: v_dual_mov_b32 v4, s39
	s_wait_loadcnt 0x0
	s_delay_alu instid0(VALU_DEP_1) | instskip(NEXT) | instid1(VALU_DEP_1)
	v_pk_mul_f32 v[4:5], v[4:5], v[8:9] op_sel_hi:[1,0]
	v_pk_fma_f32 v[4:5], v[0:1], v[10:11], v[4:5] op_sel_hi:[1,0,1]
	s_cbranch_execz .LBB67_19
.LBB67_17:                              ;   in Loop: Header=BB67_9 Depth=1
	s_and_not1_b32 vcc_lo, exec_lo, s24
	s_cbranch_vccnz .LBB67_20
	s_branch .LBB67_23
.LBB67_18:                              ;   in Loop: Header=BB67_9 Depth=1
	s_and_not1_b32 vcc_lo, exec_lo, s0
	s_cbranch_vccnz .LBB67_17
.LBB67_19:                              ;   in Loop: Header=BB67_9 Depth=1
	s_wait_loadcnt 0x0
	v_mov_b64_e32 v[4:5], v[0:1]
	s_add_co_i32 s21, s36, -1
	s_mov_b32 s29, s20
	s_mov_b32 s17, s28
	s_cbranch_execz .LBB67_23
.LBB67_20:                              ;   in Loop: Header=BB67_9 Depth=1
	s_wait_loadcnt 0x0
	s_delay_alu instid0(VALU_DEP_1)
	v_mov_b64_e32 v[0:1], v[4:5]
	s_mov_b32 s20, s29
	s_mov_b32 s36, s21
	;; [unrolled: 1-line block ×3, first 2 shown]
	s_branch .LBB67_9
.LBB67_21:
                                        ; implicit-def: $sgpr20_sgpr21
	s_branch .LBB67_2
.LBB67_22:
                                        ; implicit-def: $sgpr24_sgpr25
	s_load_b96 s[12:14], s[0:1], 0x44
	s_branch .LBB67_5
.LBB67_23:
	s_delay_alu instid0(VALU_DEP_1) | instskip(SKIP_1) | instid1(VALU_DEP_1)
	v_div_scale_f32 v0, null, v4, v4, v5
	s_wait_loadcnt 0x0
	v_rcp_f32_e32 v1, v0
	v_nop
	s_delay_alu instid0(TRANS32_DEP_1) | instskip(NEXT) | instid1(VALU_DEP_1)
	v_fma_f32 v6, -v0, v1, 1.0
	v_fmac_f32_e32 v1, v6, v1
	v_div_scale_f32 v6, vcc_lo, v5, v4, v5
	s_delay_alu instid0(VALU_DEP_1) | instskip(NEXT) | instid1(VALU_DEP_1)
	v_mul_f32_e32 v7, v6, v1
	v_fma_f32 v8, -v0, v7, v6
	s_delay_alu instid0(VALU_DEP_1) | instskip(NEXT) | instid1(VALU_DEP_1)
	v_fmac_f32_e32 v7, v8, v1
	v_fma_f32 v0, -v0, v7, v6
	s_delay_alu instid0(VALU_DEP_1) | instskip(NEXT) | instid1(VALU_DEP_1)
	v_div_fmas_f32 v0, v0, v1, v7
	v_div_fixup_f32 v0, v0, v4, v5
	global_store_b32 v[2:3], v0, off
.LBB67_24:
	s_endpgm
	.section	.rodata,"a",@progbits
	.p2align	6, 0x0
	.amdhsa_kernel _ZL33flash_attn_stream_k_fixup_generalILi64ELi4ELi1EEvPfPK15HIP_vector_typeIfLj2EEiiiiS1_IjLj3EES5_S5_S5_
		.amdhsa_group_segment_fixed_size 0
		.amdhsa_private_segment_fixed_size 0
		.amdhsa_kernarg_size 336
		.amdhsa_user_sgpr_count 2
		.amdhsa_user_sgpr_dispatch_ptr 0
		.amdhsa_user_sgpr_queue_ptr 0
		.amdhsa_user_sgpr_kernarg_segment_ptr 1
		.amdhsa_user_sgpr_dispatch_id 0
		.amdhsa_user_sgpr_kernarg_preload_length 0
		.amdhsa_user_sgpr_kernarg_preload_offset 0
		.amdhsa_user_sgpr_private_segment_size 0
		.amdhsa_wavefront_size32 1
		.amdhsa_uses_dynamic_stack 0
		.amdhsa_enable_private_segment 0
		.amdhsa_system_sgpr_workgroup_id_x 1
		.amdhsa_system_sgpr_workgroup_id_y 1
		.amdhsa_system_sgpr_workgroup_id_z 1
		.amdhsa_system_sgpr_workgroup_info 0
		.amdhsa_system_vgpr_workitem_id 0
		.amdhsa_next_free_vgpr 12
		.amdhsa_next_free_sgpr 46
		.amdhsa_named_barrier_count 0
		.amdhsa_reserve_vcc 1
		.amdhsa_float_round_mode_32 0
		.amdhsa_float_round_mode_16_64 0
		.amdhsa_float_denorm_mode_32 3
		.amdhsa_float_denorm_mode_16_64 3
		.amdhsa_fp16_overflow 0
		.amdhsa_memory_ordered 1
		.amdhsa_forward_progress 1
		.amdhsa_inst_pref_size 27
		.amdhsa_round_robin_scheduling 0
		.amdhsa_exception_fp_ieee_invalid_op 0
		.amdhsa_exception_fp_denorm_src 0
		.amdhsa_exception_fp_ieee_div_zero 0
		.amdhsa_exception_fp_ieee_overflow 0
		.amdhsa_exception_fp_ieee_underflow 0
		.amdhsa_exception_fp_ieee_inexact 0
		.amdhsa_exception_int_div_zero 0
	.end_amdhsa_kernel
	.section	.text._ZL33flash_attn_stream_k_fixup_generalILi64ELi4ELi1EEvPfPK15HIP_vector_typeIfLj2EEiiiiS1_IjLj3EES5_S5_S5_,"axG",@progbits,_ZL33flash_attn_stream_k_fixup_generalILi64ELi4ELi1EEvPfPK15HIP_vector_typeIfLj2EEiiiiS1_IjLj3EES5_S5_S5_,comdat
.Lfunc_end67:
	.size	_ZL33flash_attn_stream_k_fixup_generalILi64ELi4ELi1EEvPfPK15HIP_vector_typeIfLj2EEiiiiS1_IjLj3EES5_S5_S5_, .Lfunc_end67-_ZL33flash_attn_stream_k_fixup_generalILi64ELi4ELi1EEvPfPK15HIP_vector_typeIfLj2EEiiiiS1_IjLj3EES5_S5_S5_
                                        ; -- End function
	.set _ZL33flash_attn_stream_k_fixup_generalILi64ELi4ELi1EEvPfPK15HIP_vector_typeIfLj2EEiiiiS1_IjLj3EES5_S5_S5_.num_vgpr, 12
	.set _ZL33flash_attn_stream_k_fixup_generalILi64ELi4ELi1EEvPfPK15HIP_vector_typeIfLj2EEiiiiS1_IjLj3EES5_S5_S5_.num_agpr, 0
	.set _ZL33flash_attn_stream_k_fixup_generalILi64ELi4ELi1EEvPfPK15HIP_vector_typeIfLj2EEiiiiS1_IjLj3EES5_S5_S5_.numbered_sgpr, 46
	.set _ZL33flash_attn_stream_k_fixup_generalILi64ELi4ELi1EEvPfPK15HIP_vector_typeIfLj2EEiiiiS1_IjLj3EES5_S5_S5_.num_named_barrier, 0
	.set _ZL33flash_attn_stream_k_fixup_generalILi64ELi4ELi1EEvPfPK15HIP_vector_typeIfLj2EEiiiiS1_IjLj3EES5_S5_S5_.private_seg_size, 0
	.set _ZL33flash_attn_stream_k_fixup_generalILi64ELi4ELi1EEvPfPK15HIP_vector_typeIfLj2EEiiiiS1_IjLj3EES5_S5_S5_.uses_vcc, 1
	.set _ZL33flash_attn_stream_k_fixup_generalILi64ELi4ELi1EEvPfPK15HIP_vector_typeIfLj2EEiiiiS1_IjLj3EES5_S5_S5_.uses_flat_scratch, 0
	.set _ZL33flash_attn_stream_k_fixup_generalILi64ELi4ELi1EEvPfPK15HIP_vector_typeIfLj2EEiiiiS1_IjLj3EES5_S5_S5_.has_dyn_sized_stack, 0
	.set _ZL33flash_attn_stream_k_fixup_generalILi64ELi4ELi1EEvPfPK15HIP_vector_typeIfLj2EEiiiiS1_IjLj3EES5_S5_S5_.has_recursion, 0
	.set _ZL33flash_attn_stream_k_fixup_generalILi64ELi4ELi1EEvPfPK15HIP_vector_typeIfLj2EEiiiiS1_IjLj3EES5_S5_S5_.has_indirect_call, 0
	.section	.AMDGPU.csdata,"",@progbits
; Kernel info:
; codeLenInByte = 3352
; TotalNumSgprs: 48
; NumVgprs: 12
; ScratchSize: 0
; MemoryBound: 0
; FloatMode: 240
; IeeeMode: 1
; LDSByteSize: 0 bytes/workgroup (compile time only)
; SGPRBlocks: 0
; VGPRBlocks: 0
; NumSGPRsForWavesPerEU: 48
; NumVGPRsForWavesPerEU: 12
; NamedBarCnt: 0
; Occupancy: 16
; WaveLimiterHint : 0
; COMPUTE_PGM_RSRC2:SCRATCH_EN: 0
; COMPUTE_PGM_RSRC2:USER_SGPR: 2
; COMPUTE_PGM_RSRC2:TRAP_HANDLER: 0
; COMPUTE_PGM_RSRC2:TGID_X_EN: 1
; COMPUTE_PGM_RSRC2:TGID_Y_EN: 1
; COMPUTE_PGM_RSRC2:TGID_Z_EN: 1
; COMPUTE_PGM_RSRC2:TIDIG_COMP_CNT: 0
	.section	.text._ZL15flash_attn_tileILi64ELi64ELi2ELi1ELb0EEvPKcS1_S1_S1_S1_PKiPfP15HIP_vector_typeIfLj2EEffffjfiS5_IjLj3EEiiiiiiiiiiiliiliiiiil,"axG",@progbits,_ZL15flash_attn_tileILi64ELi64ELi2ELi1ELb0EEvPKcS1_S1_S1_S1_PKiPfP15HIP_vector_typeIfLj2EEffffjfiS5_IjLj3EEiiiiiiiiiiiliiliiiiil,comdat
	.globl	_ZL15flash_attn_tileILi64ELi64ELi2ELi1ELb0EEvPKcS1_S1_S1_S1_PKiPfP15HIP_vector_typeIfLj2EEffffjfiS5_IjLj3EEiiiiiiiiiiiliiliiiiil ; -- Begin function _ZL15flash_attn_tileILi64ELi64ELi2ELi1ELb0EEvPKcS1_S1_S1_S1_PKiPfP15HIP_vector_typeIfLj2EEffffjfiS5_IjLj3EEiiiiiiiiiiiliiliiiiil
	.p2align	8
	.type	_ZL15flash_attn_tileILi64ELi64ELi2ELi1ELb0EEvPKcS1_S1_S1_S1_PKiPfP15HIP_vector_typeIfLj2EEffffjfiS5_IjLj3EEiiiiiiiiiiiliiliiiiil,@function
_ZL15flash_attn_tileILi64ELi64ELi2ELi1ELb0EEvPKcS1_S1_S1_S1_PKiPfP15HIP_vector_typeIfLj2EEffffjfiS5_IjLj3EEiiiiiiiiiiiliiliiiiil: ; @_ZL15flash_attn_tileILi64ELi64ELi2ELi1ELb0EEvPKcS1_S1_S1_S1_PKiPfP15HIP_vector_typeIfLj2EEffffjfiS5_IjLj3EEiiiiiiiiiiiliiliiiiil
; %bb.0:
	s_clause 0x1
	s_load_b128 s[20:23], s[0:1], 0x5c
	s_load_b64 s[2:3], s[0:1], 0x80
	s_bfe_u32 s6, ttmp6, 0x40014
	s_lshr_b32 s5, ttmp7, 16
	s_add_co_i32 s6, s6, 1
	s_bfe_u32 s7, ttmp6, 0x40008
	s_mul_i32 s6, s5, s6
	s_getreg_b32 s40, hwreg(HW_REG_IB_STS2, 6, 4)
	s_add_co_i32 s7, s7, s6
	s_load_b64 s[36:37], s[0:1], 0xb8
	s_mov_b32 s35, 0
	s_mov_b64 s[30:31], 0
	s_wait_kmcnt 0x0
	s_cvt_f32_u32 s4, s23
	s_sub_co_i32 s8, 0, s23
	s_delay_alu instid0(SALU_CYCLE_2) | instskip(SKIP_1) | instid1(TRANS32_DEP_1)
	v_rcp_iflag_f32_e32 v1, s4
	v_nop
	v_readfirstlane_b32 s4, v1
	s_mul_f32 s4, s4, 0x4f7ffffe
	s_delay_alu instid0(SALU_CYCLE_3) | instskip(NEXT) | instid1(SALU_CYCLE_3)
	s_cvt_u32_f32 s4, s4
	s_mul_i32 s8, s8, s4
	s_delay_alu instid0(SALU_CYCLE_1) | instskip(NEXT) | instid1(SALU_CYCLE_1)
	s_mul_hi_u32 s8, s4, s8
	s_add_co_i32 s4, s4, s8
	s_cmp_eq_u32 s40, 0
	s_cselect_b32 s5, s5, s7
	s_delay_alu instid0(SALU_CYCLE_1) | instskip(NEXT) | instid1(SALU_CYCLE_1)
	s_mul_hi_u32 s4, s5, s4
	s_mul_i32 s6, s4, s23
	s_add_co_i32 s7, s4, 1
	s_sub_co_i32 s6, s5, s6
	s_delay_alu instid0(SALU_CYCLE_1)
	s_sub_co_i32 s8, s6, s23
	s_cmp_ge_u32 s6, s23
	s_cselect_b32 s4, s7, s4
	s_cselect_b32 s6, s8, s6
	s_add_co_i32 s7, s4, 1
	s_cmp_ge_u32 s6, s23
	s_cselect_b32 s28, s7, s4
	s_abs_i32 s4, s3
	s_mul_i32 s8, s28, s23
	s_cvt_f32_u32 s6, s4
	s_sub_co_i32 s7, 0, s4
	s_abs_i32 s9, s23
	s_sub_co_i32 s33, s5, s8
	v_rcp_iflag_f32_e32 v1, s6
	s_xor_b32 s3, s23, s3
	s_delay_alu instid0(SALU_CYCLE_1) | instskip(SKIP_1) | instid1(TRANS32_DEP_1)
	s_ashr_i32 s3, s3, 31
	v_nop
	v_readfirstlane_b32 s6, v1
	s_mul_f32 s6, s6, 0x4f7ffffe
	s_delay_alu instid0(SALU_CYCLE_3) | instskip(NEXT) | instid1(SALU_CYCLE_3)
	s_cvt_u32_f32 s6, s6
	s_mul_i32 s7, s7, s6
	s_delay_alu instid0(SALU_CYCLE_1) | instskip(NEXT) | instid1(SALU_CYCLE_1)
	s_mul_hi_u32 s7, s6, s7
	s_add_co_i32 s6, s6, s7
	s_delay_alu instid0(SALU_CYCLE_1) | instskip(NEXT) | instid1(SALU_CYCLE_1)
	s_mul_hi_u32 s5, s9, s6
	s_mul_i32 s6, s5, s4
	s_add_co_i32 s7, s5, 1
	s_sub_co_i32 s6, s9, s6
	s_delay_alu instid0(SALU_CYCLE_1)
	s_sub_co_i32 s8, s6, s4
	s_cmp_ge_u32 s6, s4
	s_cselect_b32 s5, s7, s5
	s_cselect_b32 s6, s8, s6
	s_add_co_i32 s7, s5, 1
	s_cmp_ge_u32 s6, s4
	s_cselect_b32 s4, s7, s5
	s_abs_i32 s34, s33
	s_xor_b32 s4, s4, s3
	s_delay_alu instid0(SALU_CYCLE_1) | instskip(NEXT) | instid1(SALU_CYCLE_1)
	s_sub_co_i32 s29, s4, s3
	s_abs_i32 s3, s29
	s_delay_alu instid0(SALU_CYCLE_1) | instskip(SKIP_1) | instid1(SALU_CYCLE_2)
	s_cvt_f32_u32 s4, s3
	s_sub_co_i32 s25, 0, s3
	v_rcp_iflag_f32_e32 v1, s4
	s_load_b512 s[4:19], s[0:1], 0x0
	v_nop
	s_delay_alu instid0(TRANS32_DEP_1) | instskip(SKIP_1) | instid1(SALU_CYCLE_3)
	v_readfirstlane_b32 s24, v1
	s_mul_f32 s24, s24, 0x4f7ffffe
	s_cvt_u32_f32 s24, s24
	s_delay_alu instid0(SALU_CYCLE_3) | instskip(NEXT) | instid1(SALU_CYCLE_1)
	s_mul_i32 s25, s25, s24
	s_mul_hi_u32 s25, s24, s25
	s_delay_alu instid0(SALU_CYCLE_1)
	s_add_co_i32 s38, s24, s25
	s_wait_kmcnt 0x0
	s_cmp_eq_u64 s[10:11], 0
	s_cbranch_scc1 .LBB68_2
; %bb.1:
	s_abs_i32 s26, s36
	s_abs_i32 s27, s28
	s_cvt_f32_u32 s24, s26
	s_sub_co_i32 s25, 0, s26
	s_delay_alu instid0(SALU_CYCLE_2) | instskip(SKIP_1) | instid1(TRANS32_DEP_1)
	v_rcp_iflag_f32_e32 v1, s24
	v_nop
	v_readfirstlane_b32 s24, v1
	s_mul_f32 s24, s24, 0x4f7ffffe
	s_delay_alu instid0(SALU_CYCLE_3) | instskip(NEXT) | instid1(SALU_CYCLE_3)
	s_cvt_u32_f32 s24, s24
	s_mul_i32 s25, s25, s24
	s_delay_alu instid0(SALU_CYCLE_1) | instskip(NEXT) | instid1(SALU_CYCLE_1)
	s_mul_hi_u32 s25, s24, s25
	s_add_co_i32 s24, s24, s25
	s_delay_alu instid0(SALU_CYCLE_1) | instskip(SKIP_2) | instid1(SALU_CYCLE_1)
	s_mul_hi_u32 s30, s27, s24
	s_load_b64 s[24:25], s[0:1], 0xc8
	s_mul_i32 s30, s30, s26
	s_sub_co_i32 s27, s27, s30
	s_ashr_i32 s30, s28, 31
	s_sub_co_i32 s31, s27, s26
	s_cmp_ge_u32 s27, s26
	s_cselect_b32 s27, s31, s27
	s_delay_alu instid0(SALU_CYCLE_1) | instskip(SKIP_2) | instid1(SALU_CYCLE_1)
	s_sub_co_i32 s31, s27, s26
	s_cmp_ge_u32 s27, s26
	s_cselect_b32 s26, s31, s27
	s_xor_b32 s26, s26, s30
	s_delay_alu instid0(SALU_CYCLE_1) | instskip(NEXT) | instid1(SALU_CYCLE_1)
	s_sub_co_i32 s26, s26, s30
	s_ashr_i32 s27, s26, 31
	s_wait_kmcnt 0x0
	s_mul_u64 s[24:25], s[24:25], s[26:27]
	s_delay_alu instid0(SALU_CYCLE_1)
	s_add_nc_u64 s[30:31], s[10:11], s[24:25]
.LBB68_2:
	s_clause 0x1
	s_load_b128 s[24:27], s[0:1], 0x40
	s_load_b32 s10, s[0:1], 0x50
	v_mov_b32_e32 v27, 1.0
	s_mov_b32 s39, s35
	s_wait_kmcnt 0x0
	s_cmp_le_f32 s25, 0
	s_cbranch_scc1 .LBB68_4
; %bb.3:
	v_sub_co_u32 v1, s10, s33, s10
	s_and_b32 s25, s10, exec_lo
	s_cselect_b32 s25, s26, s27
	s_add_co_i32 s26, s33, 1
	v_readfirstlane_b32 s11, v1
	s_lshl_b32 s11, s11, 1
	s_delay_alu instid0(SALU_CYCLE_1) | instskip(SKIP_4) | instid1(SALU_CYCLE_3)
	s_or_b32 s11, s11, 1
	s_and_b32 s10, s10, exec_lo
	s_cselect_b32 s10, s26, s11
	s_cmp_neq_f32 s25, 1.0
	s_cvt_f32_i32 s10, s10
	s_cselect_b32 s11, s10, 1.0
	s_delay_alu instid0(SALU_CYCLE_1) | instskip(SKIP_1) | instid1(SALU_CYCLE_1)
	s_cmp_neq_f32 s11, 0
	s_cselect_b32 s10, s25, 1.0
	v_cvt_f64_f32_e64 v[2:3], |s10|
	s_delay_alu instid0(VALU_DEP_1) | instskip(SKIP_1) | instid1(VALU_DEP_1)
	v_frexp_exp_i32_f64_e32 v1, v[2:3]
	v_frexp_mant_f32_e64 v2, |s10|
	v_readfirstlane_b32 s25, v2
	s_cmp_lt_f32 s25, 0x3f2aaaab
	s_cselect_b32 vcc_lo, -1, 0
	s_delay_alu instid0(SALU_CYCLE_1) | instskip(SKIP_1) | instid1(SALU_CYCLE_1)
	s_and_b32 s26, vcc_lo, exec_lo
	s_cselect_b32 s26, 2.0, 1.0
	s_mul_f32 s25, s25, s26
	s_delay_alu instid0(SALU_CYCLE_3) | instskip(SKIP_1) | instid1(SALU_CYCLE_2)
	s_add_f32 s26, s25, 1.0
	s_add_f32 s36, s25, -1.0
	v_s_rcp_f32 s27, s26
	s_add_f32 s43, s26, -1.0
	v_subrev_co_ci_u32_e64 v1, null, 0, v1, vcc_lo
	s_delay_alu instid0(SALU_CYCLE_2) | instskip(NEXT) | instid1(TRANS32_DEP_1)
	s_sub_f32 s25, s25, s43
	s_mul_f32 s41, s36, s27
	v_cvt_f32_i32_e32 v1, v1
	s_delay_alu instid0(SALU_CYCLE_2) | instskip(NEXT) | instid1(SALU_CYCLE_3)
	s_mul_f32 s42, s26, s41
	v_dual_mov_b32 v3, s36 :: v_dual_mov_b32 v4, s42
	s_xor_b32 s44, s42, 0x80000000
	s_delay_alu instid0(SALU_CYCLE_1) | instskip(NEXT) | instid1(SALU_CYCLE_3)
	s_fmac_f32 s44, s41, s26
	s_fmac_f32 s44, s41, s25
	s_delay_alu instid0(SALU_CYCLE_3) | instskip(NEXT) | instid1(SALU_CYCLE_3)
	s_add_f32 s25, s42, s44
	v_dual_mov_b32 v6, s44 :: v_dual_mov_b32 v7, s25
	s_sub_f32 s26, s36, s25
	s_delay_alu instid0(SALU_CYCLE_3) | instskip(NEXT) | instid1(VALU_DEP_1)
	v_dual_mov_b32 v2, s25 :: v_dual_mov_b32 v5, s26
	v_pk_add_f32 v[2:3], v[2:3], v[4:5] neg_lo:[0,1] neg_hi:[0,1]
	s_delay_alu instid0(VALU_DEP_1) | instskip(NEXT) | instid1(VALU_DEP_1)
	v_pk_add_f32 v[2:3], v[2:3], v[6:7] neg_lo:[0,1] neg_hi:[0,1]
	v_readfirstlane_b32 s25, v3
	s_delay_alu instid0(VALU_DEP_2) | instskip(SKIP_1) | instid1(SALU_CYCLE_3)
	v_readfirstlane_b32 s36, v2
	s_add_f32 s25, s36, s25
	s_add_f32 s25, s26, s25
	s_delay_alu instid0(SALU_CYCLE_3) | instskip(NEXT) | instid1(SALU_CYCLE_3)
	s_mul_f32 s25, s27, s25
	s_add_f32 s26, s41, s25
	s_delay_alu instid0(SALU_CYCLE_3) | instskip(SKIP_1) | instid1(SALU_CYCLE_2)
	s_sub_f32 s27, s26, s41
	s_mul_f32 s36, s26, s26
	s_sub_f32 s25, s25, s27
	s_delay_alu instid0(SALU_CYCLE_2) | instskip(NEXT) | instid1(SALU_CYCLE_1)
	s_xor_b32 s27, s36, 0x80000000
	s_fmac_f32 s27, s26, s26
	s_delay_alu instid0(SALU_CYCLE_1) | instskip(NEXT) | instid1(SALU_CYCLE_3)
	s_add_f32 s41, s25, s25
	s_fmac_f32 s27, s26, s41
	s_mov_b32 s41, 0x3e76c4e1
	s_delay_alu instid0(SALU_CYCLE_2) | instskip(NEXT) | instid1(SALU_CYCLE_3)
	s_add_f32 s42, s36, s27
	s_fmaak_f32 s41, s42, s41, 0x3e91f4c4
	s_sub_f32 s36, s42, s36
	s_delay_alu instid0(SALU_CYCLE_2) | instskip(NEXT) | instid1(SALU_CYCLE_2)
	s_fmaak_f32 s41, s42, s41, 0x3ecccdef
	s_sub_f32 s36, s27, s36
	s_delay_alu instid0(SALU_CYCLE_2) | instskip(NEXT) | instid1(SALU_CYCLE_3)
	s_mul_f32 s43, s42, s41
	s_xor_b32 s44, s43, 0x80000000
	s_delay_alu instid0(SALU_CYCLE_1) | instskip(NEXT) | instid1(SALU_CYCLE_3)
	s_fmac_f32 s44, s42, s41
	s_fmac_f32 s44, s36, s41
	s_delay_alu instid0(SALU_CYCLE_3) | instskip(NEXT) | instid1(SALU_CYCLE_3)
	s_add_f32 s41, s43, s44
	s_sub_f32 s27, s41, s43
	s_add_f32 s45, s41, 0x3f2aaaaa
	s_delay_alu instid0(SALU_CYCLE_2) | instskip(NEXT) | instid1(SALU_CYCLE_2)
	s_sub_f32 s27, s44, s27
	s_add_f32 s43, s45, 0xbf2aaaaa
	s_delay_alu instid0(SALU_CYCLE_2) | instskip(NEXT) | instid1(SALU_CYCLE_2)
	s_add_f32 s27, s27, 0x31739010
	s_sub_f32 s43, s41, s43
	s_delay_alu instid0(SALU_CYCLE_2) | instskip(NEXT) | instid1(SALU_CYCLE_2)
	v_mov_b64_e32 v[2:3], s[26:27]
	v_mov_b64_e32 v[4:5], s[42:43]
	s_delay_alu instid0(VALU_DEP_1) | instskip(SKIP_2) | instid1(VALU_DEP_3)
	v_pk_mul_f32 v[6:7], v[2:3], v[4:5]
	v_pk_add_f32 v[2:3], v[2:3], v[4:5]
	v_mov_b32_e32 v9, s45
	v_xor_b32_e32 v8, 0x80000000, v6
	s_delay_alu instid0(VALU_DEP_3) | instskip(NEXT) | instid1(VALU_DEP_2)
	v_mov_b32_e32 v7, v3
	v_fmac_f32_e64 v8, s42, s26
	s_delay_alu instid0(VALU_DEP_1) | instskip(NEXT) | instid1(VALU_DEP_1)
	v_fmac_f32_e64 v8, s42, s25
	v_fmac_f32_e64 v8, s36, s26
	s_delay_alu instid0(VALU_DEP_1) | instskip(NEXT) | instid1(VALU_DEP_1)
	v_pk_add_f32 v[4:5], v[6:7], v[8:9]
	v_dual_mov_b32 v2, v5 :: v_dual_sub_f32 v7, s45, v5
	v_mul_f32_e32 v12, 0x3f317218, v1
	s_delay_alu instid0(VALU_DEP_2) | instskip(NEXT) | instid1(VALU_DEP_3)
	v_pk_mul_f32 v[10:11], v[4:5], v[2:3]
	v_add_f32_e32 v3, v3, v7
	s_delay_alu instid0(VALU_DEP_3) | instskip(NEXT) | instid1(VALU_DEP_3)
	v_xor_b32_e32 v7, 0x80000000, v12
	v_xor_b32_e32 v2, 0x80000000, v10
	s_delay_alu instid0(VALU_DEP_2) | instskip(NEXT) | instid1(VALU_DEP_2)
	v_dual_sub_f32 v6, v4, v6 :: v_dual_fmac_f32 v7, 0x3f317218, v1
	v_fmac_f32_e32 v2, v4, v5
	s_delay_alu instid0(VALU_DEP_2) | instskip(NEXT) | instid1(VALU_DEP_2)
	v_sub_f32_e32 v6, v8, v6
	v_fmac_f32_e32 v2, v4, v3
	s_delay_alu instid0(VALU_DEP_1) | instskip(SKIP_3) | instid1(VALU_DEP_2)
	v_fmac_f32_e32 v2, v6, v5
	v_fmamk_f32 v4, v1, 0xb102e308, v7
	v_ldexp_f32 v5, s26, 1
	v_ldexp_f32 v1, s25, 1
	v_dual_add_f32 v13, v10, v2 :: v_dual_mov_b32 v11, v5
	s_delay_alu instid0(VALU_DEP_1) | instskip(SKIP_1) | instid1(VALU_DEP_2)
	v_pk_add_f32 v[6:7], v[12:13], v[4:5]
	v_dual_mov_b32 v8, v13 :: v_dual_mov_b32 v3, v13
	v_dual_mov_b32 v9, v7 :: v_dual_mov_b32 v5, v6
	v_mov_b32_e32 v14, v7
	s_delay_alu instid0(VALU_DEP_2) | instskip(NEXT) | instid1(VALU_DEP_1)
	v_pk_add_f32 v[8:9], v[8:9], v[10:11] neg_lo:[0,1] neg_hi:[0,1]
	v_pk_add_f32 v[2:3], v[2:3], v[8:9] neg_lo:[0,1] neg_hi:[0,1]
	s_delay_alu instid0(VALU_DEP_1) | instskip(NEXT) | instid1(VALU_DEP_1)
	v_add_f32_e32 v1, v1, v2
	v_add_f32_e32 v13, v1, v3
	s_delay_alu instid0(VALU_DEP_1) | instskip(SKIP_1) | instid1(VALU_DEP_2)
	v_pk_add_f32 v[2:3], v[6:7], v[12:13]
	v_pk_add_f32 v[8:9], v[6:7], v[12:13] neg_lo:[0,1] neg_hi:[0,1]
	v_mov_b32_e32 v9, v3
	s_delay_alu instid0(VALU_DEP_1) | instskip(SKIP_2) | instid1(VALU_DEP_3)
	v_pk_add_f32 v[10:11], v[4:5], v[8:9]
	v_pk_add_f32 v[4:5], v[4:5], v[8:9] neg_lo:[0,1] neg_hi:[0,1]
	v_dual_mov_b32 v16, v3 :: v_dual_mov_b32 v5, v6
	v_dual_mov_b32 v12, v11 :: v_dual_mov_b32 v17, v11
	s_delay_alu instid0(VALU_DEP_3) | instskip(NEXT) | instid1(VALU_DEP_2)
	v_readfirstlane_b32 s25, v4
	v_pk_add_f32 v[8:9], v[12:13], v[6:7] neg_lo:[0,1] neg_hi:[0,1]
	s_delay_alu instid0(VALU_DEP_2) | instskip(NEXT) | instid1(VALU_DEP_2)
	v_dual_mov_b32 v4, v13 :: v_dual_mov_b32 v10, s25
	v_dual_mov_b32 v15, v8 :: v_dual_mov_b32 v1, v8
	s_delay_alu instid0(VALU_DEP_1) | instskip(NEXT) | instid1(VALU_DEP_2)
	v_pk_add_f32 v[6:7], v[16:17], v[14:15] neg_lo:[0,1] neg_hi:[0,1]
	v_pk_add_f32 v[2:3], v[2:3], v[0:1] neg_lo:[0,1] neg_hi:[0,1]
	v_mov_b32_e32 v2, s25
	s_delay_alu instid0(VALU_DEP_3) | instskip(NEXT) | instid1(VALU_DEP_1)
	v_pk_add_f32 v[4:5], v[4:5], v[6:7] neg_lo:[0,1] neg_hi:[0,1]
	v_pk_add_f32 v[2:3], v[2:3], v[4:5]
	s_delay_alu instid0(VALU_DEP_1) | instskip(NEXT) | instid1(VALU_DEP_2)
	v_readfirstlane_b32 s26, v2
	v_mov_b32_e32 v6, v3
	s_delay_alu instid0(VALU_DEP_1) | instskip(NEXT) | instid1(VALU_DEP_3)
	v_pk_add_f32 v[6:7], v[2:3], v[6:7]
	v_mov_b32_e32 v2, s26
	s_delay_alu instid0(VALU_DEP_2) | instskip(SKIP_1) | instid1(VALU_DEP_2)
	v_pk_add_f32 v[8:9], v[12:13], v[6:7]
	v_mov_b32_e32 v5, v6
	v_readfirstlane_b32 s27, v8
	s_delay_alu instid0(VALU_DEP_1) | instskip(NEXT) | instid1(VALU_DEP_1)
	v_mov_b32_e32 v3, s27
	v_pk_add_f32 v[2:3], v[2:3], v[10:11] neg_lo:[0,1] neg_hi:[0,1]
	s_delay_alu instid0(VALU_DEP_1) | instskip(NEXT) | instid1(VALU_DEP_2)
	v_readfirstlane_b32 s36, v2
	v_pk_add_f32 v[2:3], v[4:5], v[2:3] neg_lo:[0,1] neg_hi:[0,1]
	s_sub_f32 s26, s26, s36
	s_delay_alu instid0(VALU_DEP_1) | instskip(NEXT) | instid1(SALU_CYCLE_2)
	v_readfirstlane_b32 s36, v2
	s_sub_f32 s25, s25, s26
	v_readfirstlane_b32 s26, v3
	s_delay_alu instid0(SALU_CYCLE_2) | instskip(NEXT) | instid1(SALU_CYCLE_3)
	s_add_f32 s25, s36, s25
	s_add_f32 s25, s25, s26
	s_delay_alu instid0(SALU_CYCLE_3) | instskip(NEXT) | instid1(SALU_CYCLE_3)
	s_add_f32 s26, s27, s25
	s_mul_f32 s36, s11, s26
	s_sub_f32 s27, s26, s27
	s_delay_alu instid0(SALU_CYCLE_2) | instskip(NEXT) | instid1(SALU_CYCLE_2)
	s_xor_b32 s41, s36, 0x80000000
	s_sub_f32 s25, s25, s27
	s_fmac_f32 s41, s11, s26
	s_delay_alu instid0(SALU_CYCLE_3) | instskip(SKIP_1) | instid1(SALU_CYCLE_2)
	s_fmac_f32 s41, s11, s25
	v_cmp_class_f32_e64 s25, s36, 0x204
	s_add_f32 s26, s36, s41
	s_and_b32 s25, s25, exec_lo
	s_delay_alu instid0(SALU_CYCLE_2) | instskip(SKIP_1) | instid1(SALU_CYCLE_1)
	s_sub_f32 s25, s26, s36
	s_cselect_b32 s26, s36, s26
	s_and_b32 s27, s26, 0x7fffffff
	s_delay_alu instid0(SALU_CYCLE_1) | instskip(SKIP_1) | instid1(SALU_CYCLE_2)
	s_sub_f32 s25, s41, s25
	s_cmp_neq_f32 s27, 0x7f800000
	s_cselect_b32 s25, s25, 0
	s_cmp_eq_f32 s26, 0x42b17218
	s_cselect_b32 s27, 0x37000000, 0
	s_delay_alu instid0(SALU_CYCLE_1) | instskip(SKIP_1) | instid1(SALU_CYCLE_2)
	s_sub_f32 s26, s26, s27
	s_add_f32 s25, s27, s25
	s_mul_f32 s36, s26, 0x3fb8aa3b
	s_delay_alu instid0(SALU_CYCLE_3) | instskip(SKIP_3) | instid1(SALU_CYCLE_1)
	s_xor_b32 s41, s36, 0x80000000
	s_rndne_f32 s42, s36
	s_fmamk_f32 s41, s26, 0x3fb8aa3b, s41
	s_cmp_nlt_f32 s26, 0xc2ce8ed0
	s_sub_f32 s36, s36, s42
	s_delay_alu instid0(SALU_CYCLE_1)
	s_fmamk_f32 s41, s26, 0x32a5705f, s41
	s_cselect_b32 vcc_lo, -1, 0
	s_cmp_ngt_f32 s26, 0x42b17218
	s_trunc_f32 s26, s11
	s_add_f32 s36, s36, s41
	s_cvt_i32_f32 s41, s42
	s_delay_alu instid0(SALU_CYCLE_2)
	v_s_exp_f32 s36, s36
	v_nop
	s_delay_alu instid0(TRANS32_DEP_1) | instid1(SALU_CYCLE_1)
	v_ldexp_f32 v1, s36, s41
	s_mul_f32 s36, s11, 0.5
	s_delay_alu instid0(VALU_DEP_1) | instskip(SKIP_3) | instid1(VALU_DEP_1)
	v_cndmask_b32_e32 v1, 0, v1, vcc_lo
	s_cselect_b32 vcc_lo, -1, 0
	s_cmp_eq_f32 s26, s11
	s_trunc_f32 s41, s36
	v_cndmask_b32_e32 v1, 0x7f800000, v1, vcc_lo
	s_cselect_b32 s42, -1, 0
	s_delay_alu instid0(SALU_CYCLE_1) | instskip(NEXT) | instid1(VALU_DEP_1)
	s_cmp_neq_f32 s41, s36
	v_fma_f32 v2, s25, v1, v1
	v_cmp_class_f32_e64 vcc_lo, v1, 0x204
	s_cselect_b32 s27, -1, 0
	s_delay_alu instid0(SALU_CYCLE_1)
	s_and_b32 s25, s42, s27
	v_cndmask_b32_e32 v1, v2, v1, vcc_lo
	s_and_b32 s27, s25, exec_lo
	s_cselect_b32 s27, s10, 1.0
	s_cmp_eq_f32 s26, s11
	v_cmp_class_f32_e64 s26, s10, 0x204
	v_bfi_b32 v1, 0x7fffffff, v1, s27
	s_cselect_b32 vcc_lo, -1, 0
	s_cmp_lt_f32 s10, 0
	s_delay_alu instid0(VALU_DEP_1) | instskip(SKIP_2) | instid1(VALU_DEP_1)
	v_cndmask_b32_e32 v2, 0x7fc00000, v1, vcc_lo
	s_cselect_b32 vcc_lo, -1, 0
	s_cmp_eq_f32 s10, 0
	v_cndmask_b32_e32 v1, v1, v2, vcc_lo
	s_cselect_b32 s27, -1, 0
	s_delay_alu instid0(SALU_CYCLE_1) | instskip(SKIP_2) | instid1(SALU_CYCLE_1)
	s_or_b32 vcc_lo, s27, s26
	s_cmp_lt_f32 s11, 0
	s_cselect_b32 s11, -1, 0
	s_xor_b32 s11, s11, s27
	s_delay_alu instid0(SALU_CYCLE_1)
	s_and_b32 s11, s11, exec_lo
	s_cselect_b32 s11, 0, 0x7f800000
	s_and_b32 s25, s25, exec_lo
	s_cselect_b32 s25, s10, 0
	s_cmp_o_f32 s10, s10
	v_mov_b32_e32 v2, s25
	s_delay_alu instid0(VALU_DEP_1) | instskip(NEXT) | instid1(VALU_DEP_1)
	v_bfi_b32 v2, 0x7fffffff, s11, v2
	v_cndmask_b32_e32 v1, v1, v2, vcc_lo
	s_cselect_b32 vcc_lo, -1, 0
	s_delay_alu instid0(VALU_DEP_1)
	v_cndmask_b32_e32 v27, 0x7fc00000, v1, vcc_lo
.LBB68_4:
	s_bfe_u32 s11, ttmp6, 0x4000c
	s_and_b32 s25, ttmp6, 15
	s_add_co_i32 s11, s11, 1
	s_ashr_i32 s10, s33, 31
	s_mul_i32 s26, ttmp9, s11
	s_ashr_i32 s11, s29, 31
	s_add_co_i32 s25, s25, s26
	v_bfe_u32 v25, v0, 10, 10
	s_cmp_eq_u32 s40, 0
	s_load_b96 s[44:46], s[0:1], 0x70
	s_cselect_b32 s25, ttmp9, s25
	v_and_b32_e32 v22, 0x3ff, v0
	v_lshl_add_u32 v23, s25, 1, v25
	v_lshl_add_u32 v28, v25, 7, 0x1200
	s_delay_alu instid0(VALU_DEP_3) | instskip(NEXT) | instid1(VALU_DEP_3)
	v_dual_mov_b32 v3, 0 :: v_dual_lshlrev_b32 v0, 3, v22
	v_mul_hi_u32 v1, s20, v23
	s_delay_alu instid0(VALU_DEP_1) | instskip(SKIP_3) | instid1(SALU_CYCLE_1)
	v_add_nc_u32_e32 v1, v23, v1
	s_wait_kmcnt 0x0
	s_mul_i32 s20, s33, s45
	s_ashr_i32 s45, s44, 31
	s_lshr_b64 s[26:27], s[44:45], 2
	v_lshrrev_b32_e32 v1, s21, v1
	s_ashr_i32 s21, s20, 31
	s_delay_alu instid0(VALU_DEP_1) | instskip(NEXT) | instid1(VALU_DEP_1)
	v_mul_lo_u32 v1, v1, s22
	v_sub_nc_u32_e32 v2, v23, v1
	v_mov_b32_e32 v1, v3
	s_delay_alu instid0(VALU_DEP_2) | instskip(SKIP_1) | instid1(SALU_CYCLE_1)
	v_mul_u64_e32 v[4:5], s[26:27], v[2:3]
	s_mul_i32 s26, s28, s46
	s_ashr_i32 s27, s26, 31
	s_cmp_eq_u64 s[14:15], 0
	s_add_nc_u64 s[4:5], s[4:5], s[26:27]
	s_delay_alu instid0(SALU_CYCLE_1)
	s_add_nc_u64 s[4:5], s[4:5], s[20:21]
	s_delay_alu instid0(VALU_DEP_1) | instid1(SALU_CYCLE_1)
	v_lshl_add_u64 v[4:5], v[4:5], 2, s[4:5]
	s_mul_u64 s[4:5], s[34:35], s[38:39]
	s_delay_alu instid0(VALU_DEP_1)
	v_add_nc_u64_e32 v[0:1], v[4:5], v[0:1]
	v_lshl_add_u32 v4, v22, 2, v28
	global_load_b64 v[0:1], v[0:1], off
	s_wait_loadcnt 0x0
	v_fma_mixlo_f16 v1, s24, v1, 0
	v_fma_mixlo_f16 v0, s24, v0, 0
	s_delay_alu instid0(VALU_DEP_2) | instskip(NEXT) | instid1(VALU_DEP_2)
	v_lshlrev_b32_e32 v1, 16, v1
	v_and_b32_e32 v0, 0xffff, v0
	s_delay_alu instid0(VALU_DEP_1)
	v_or_b32_e32 v0, v1, v0
	ds_store_b32 v4, v0
	s_wait_dscnt 0x0
	s_barrier_signal -1
	s_barrier_wait -1
	s_cbranch_scc1 .LBB68_6
; %bb.5:
	s_load_b32 s2, s[0:1], 0xd0
	s_wait_kmcnt 0x0
	s_mul_i32 s2, s2, s28
	s_delay_alu instid0(SALU_CYCLE_1)
	s_add_co_i32 s2, s2, s25
	s_load_b32 s2, s[14:15], s2 offset:0x0 scale_offset
.LBB68_6:
	s_wait_xcnt 0x0
	s_clause 0x2
	s_load_b64 s[14:15], s[0:1], 0x8c
	s_load_b128 s[24:27], s[0:1], 0x98
	s_load_b64 s[20:21], s[0:1], 0xa8
	s_mul_i32 s4, s5, s3
	s_ashr_i32 s35, s37, 1
	s_sub_co_i32 s34, s34, s4
	s_ashr_i32 s29, s28, 31
	s_xor_b32 s38, s10, s11
	s_add_co_i32 s39, s5, 1
	s_sub_co_i32 s41, s34, s3
	v_dual_lshrrev_b32 v30, 3, v22 :: v_dual_lshlrev_b32 v24, 2, v22
	v_mul_u32_u24_e32 v29, 0x90, v22
	v_mbcnt_lo_u32_b32 v1, -1, 0
	s_wait_kmcnt 0x0
	s_ashr_i32 s4, s14, 2
	s_ashr_i32 s14, s26, 2
	s_cmp_ge_u32 s34, s3
	s_mul_u64 s[36:37], s[20:21], s[28:29]
	s_cselect_b32 s5, s39, s5
	s_cselect_b32 s20, s41, s34
	s_add_co_i32 s21, s5, 1
	s_cmp_ge_u32 s20, s3
	s_mul_u64 s[10:11], s[24:25], s[28:29]
	s_cselect_b32 s3, s21, s5
	s_add_nc_u64 s[6:7], s[6:7], s[10:11]
	s_bfe_u32 s10, ttmp6, 0x40010
	s_xor_b32 s3, s3, s38
	s_and_b32 s5, ttmp7, 0xffff
	s_add_co_i32 s10, s10, 1
	s_sub_co_i32 s3, s3, s38
	s_bfe_u32 s11, ttmp6, 0x40004
	s_mul_i32 s20, s5, s10
	s_mul_i32 s10, s3, s15
	s_mul_i32 s26, s3, s27
	s_add_co_i32 s3, s11, s20
	s_ashr_i32 s11, s10, 31
	s_ashr_i32 s27, s26, 31
	s_cmp_eq_u32 s40, 0
	s_add_nc_u64 s[20:21], s[6:7], s[10:11]
	s_cselect_b32 s24, s5, s3
	s_sub_co_i32 s3, s2, 32
	s_lshl_b32 s10, s24, 5
	s_add_nc_u64 s[6:7], s[8:9], s[36:37]
	s_cmp_ge_i32 s10, s3
	s_add_nc_u64 s[6:7], s[6:7], s[26:27]
	s_cbranch_scc1 .LBB68_12
; %bb.7:
	v_lshl_add_u32 v3, v25, 2, v30
	v_dual_mov_b32 v5, 0 :: v_dual_bitop2_b32 v0, 28, v24 bitop3:0x40
	s_ashr_i32 s5, s4, 31
	s_lshl_b32 s8, s4, 3
	s_delay_alu instid0(VALU_DEP_2)
	v_mul_lo_u32 v6, s4, v3
	v_mul_lo_u32 v8, s14, v3
	s_cmp_lg_u64 s[30:31], 0
	v_lshlrev_b32_e32 v4, 2, v0
	s_cselect_b32 s25, -1, 0
	s_lshl_b32 s9, s14, 3
	v_mad_u32 v33, v2, s35, v22
	v_lshl_add_u32 v31, v25, 6, 0x1300
	v_mov_b32_e32 v41, 0xfeffffff
	v_mbcnt_lo_u32_b32 v39, -1, 0
	s_ashr_i32 s15, s14, 31
	v_dual_add_nc_u32 v10, s8, v6 :: v_dual_add_nc_u32 v12, s9, v8
	v_mad_u32_u24 v32, 0x90, v3, v4
	v_lshl_or_b32 v34, v3, 7, v4
	s_delay_alu instid0(VALU_DEP_3) | instskip(NEXT) | instid1(VALU_DEP_4)
	v_dual_ashrrev_i32 v9, 31, v8 :: v_dual_ashrrev_i32 v11, 31, v10
	v_dual_add_nc_u32 v14, s8, v10 :: v_dual_add_nc_u32 v16, s9, v12
	v_ashrrev_i32_e32 v7, 31, v6
	v_dual_mov_b32 v26, v5 :: v_dual_add_nc_u32 v35, 0xd80, v32
	s_delay_alu instid0(VALU_DEP_3)
	v_dual_add_nc_u32 v18, s8, v14 :: v_dual_add_nc_u32 v20, s9, v16
	v_add_nc_u32_e32 v36, 0x400, v34
	v_dual_mov_b32 v40, v5 :: v_dual_add_nc_u32 v37, 0x800, v34
	v_add_nc_u32_e32 v38, 0xc00, v34
	v_dual_ashrrev_i32 v13, 31, v12 :: v_dual_ashrrev_i32 v15, 31, v14
	v_dual_ashrrev_i32 v17, 31, v16 :: v_dual_ashrrev_i32 v19, 31, v18
	v_ashrrev_i32_e32 v21, 31, v20
	v_lshlrev_b32_e32 v4, 2, v0
	s_add_nc_u64 s[8:9], s[0:1], 0xd0
.LBB68_8:                               ; =>This Inner Loop Header: Depth=1
	s_ashr_i32 s11, s10, 31
	v_add_nc_u32_e32 v0, 0x480, v32
	s_mul_u64 s[26:27], s[10:11], s[4:5]
	v_add_nc_u32_e32 v3, 0x900, v32
	s_lshl_b64 s[26:27], s[26:27], 2
	s_and_not1_b32 vcc_lo, exec_lo, s25
	s_add_nc_u64 s[26:27], s[20:21], s[26:27]
	s_delay_alu instid0(SALU_CYCLE_1) | instskip(SKIP_3) | instid1(VALU_DEP_4)
	v_lshl_add_u64 v[42:43], v[6:7], 2, s[26:27]
	v_lshl_add_u64 v[44:45], v[10:11], 2, s[26:27]
	;; [unrolled: 1-line block ×4, first 2 shown]
	v_add_nc_u64_e32 v[58:59], v[42:43], v[4:5]
	s_delay_alu instid0(VALU_DEP_4) | instskip(NEXT) | instid1(VALU_DEP_4)
	v_add_nc_u64_e32 v[60:61], v[44:45], v[4:5]
	v_add_nc_u64_e32 v[62:63], v[46:47], v[4:5]
	s_delay_alu instid0(VALU_DEP_4)
	v_add_nc_u64_e32 v[64:65], v[48:49], v[4:5]
	s_clause 0x3
	global_load_b128 v[42:45], v[58:59], off
	global_load_b128 v[46:49], v[60:61], off
	;; [unrolled: 1-line block ×4, first 2 shown]
	s_wait_loadcnt 0x3
	ds_store_b128 v32, v[42:45]
	s_wait_loadcnt 0x2
	ds_store_b128 v0, v[46:49]
	;; [unrolled: 2-line block ×4, first 2 shown]
	s_wait_dscnt 0x0
	s_barrier_signal -1
	s_barrier_wait -1
	ds_load_b128 v[42:45], v29
	ds_load_b128 v[46:49], v28
	v_dual_mov_b32 v0, 0 :: v_dual_mov_b32 v3, 0
	s_wait_dscnt 0x0
	;;#ASMSTART
	v_dot2_f32_f16 v0, v42, v46, v0
	;;#ASMEND
	;;#ASMSTART
	v_dot2_f32_f16 v0, v43, v47, v0
	;;#ASMEND
	;;#ASMSTART
	v_dot2_f32_f16 v0, v44, v48, v0
	;;#ASMEND
	;;#ASMSTART
	v_dot2_f32_f16 v0, v45, v49, v0
	;;#ASMEND
	ds_load_b128 v[42:45], v29 offset:16
	ds_load_b128 v[46:49], v28 offset:16
	s_wait_dscnt 0x0
	;;#ASMSTART
	v_dot2_f32_f16 v0, v42, v46, v0
	;;#ASMEND
	;;#ASMSTART
	v_dot2_f32_f16 v0, v43, v47, v0
	;;#ASMEND
	;;#ASMSTART
	v_dot2_f32_f16 v0, v44, v48, v0
	;;#ASMEND
	;;#ASMSTART
	v_dot2_f32_f16 v0, v45, v49, v0
	;;#ASMEND
	ds_load_b128 v[42:45], v29 offset:32
	ds_load_b128 v[46:49], v28 offset:32
	;; [unrolled: 15-line block ×7, first 2 shown]
	s_wait_dscnt 0x0
	;;#ASMSTART
	v_dot2_f32_f16 v0, v42, v46, v0
	;;#ASMEND
	;;#ASMSTART
	v_dot2_f32_f16 v0, v43, v47, v0
	;;#ASMEND
	;; [unrolled: 3-line block ×4, first 2 shown]
	s_cbranch_vccnz .LBB68_10
; %bb.9:                                ;   in Loop: Header=BB68_8 Depth=1
	v_add_nc_u32_e32 v3, s10, v33
	global_load_u16 v3, v3, s[30:31] scale_offset
	s_wait_loadcnt 0x0
	v_cvt_f32_f16_e32 v3, v3
	s_delay_alu instid0(VALU_DEP_1)
	v_mul_f32_e32 v3, v27, v3
.LBB68_10:                              ;   in Loop: Header=BB68_8 Depth=1
	s_mul_u64 s[26:27], s[10:11], s[14:15]
	s_delay_alu instid0(SALU_CYCLE_1)
	s_lshl_b64 s[26:27], s[26:27], 2
	s_barrier_signal -1
	s_add_nc_u64 s[26:27], s[6:7], s[26:27]
	s_barrier_wait -1
	v_lshl_add_u64 v[42:43], v[8:9], 2, s[26:27]
	v_lshl_add_u64 v[44:45], v[12:13], 2, s[26:27]
	;; [unrolled: 1-line block ×4, first 2 shown]
	s_delay_alu instid0(VALU_DEP_4) | instskip(NEXT) | instid1(VALU_DEP_4)
	v_add_nc_u64_e32 v[54:55], v[42:43], v[4:5]
	v_add_nc_u64_e32 v[56:57], v[44:45], v[4:5]
	s_delay_alu instid0(VALU_DEP_4) | instskip(NEXT) | instid1(VALU_DEP_4)
	v_add_nc_u64_e32 v[58:59], v[46:47], v[4:5]
	v_add_nc_u64_e32 v[60:61], v[48:49], v[4:5]
	s_clause 0x3
	global_load_b128 v[42:45], v[54:55], off
	global_load_b128 v[46:49], v[56:57], off
	;; [unrolled: 1-line block ×3, first 2 shown]
	; meta instruction
	; meta instruction
	;; [unrolled: 1-line block ×3, first 2 shown]
	global_load_b128 v[54:57], v[60:61], off
	s_wait_xcnt 0x1
	v_xor_b32_e32 v58, 16, v39
	v_dual_add_f32 v3, v0, v3 :: v_dual_max_num_f32 v0, v41, v41
	s_delay_alu instid0(VALU_DEP_2) | instskip(NEXT) | instid1(VALU_DEP_2)
	v_cmp_gt_i32_e32 vcc_lo, 32, v58
	v_dual_cndmask_b32 v58, v39, v58 :: v_dual_add_f32 v59, 0x40051340, v3
	s_delay_alu instid0(VALU_DEP_1) | instskip(SKIP_1) | instid1(VALU_DEP_1)
	v_dual_lshlrev_b32 v58, 2, v58 :: v_dual_max_num_f32 v0, v0, v59
	v_xor_b32_e32 v59, 8, v39
	v_cmp_gt_i32_e32 vcc_lo, 32, v59
	v_cndmask_b32_e32 v59, v39, v59, vcc_lo
	ds_bpermute_b32 v58, v58, v0
	s_wait_dscnt 0x0
	v_dual_max_num_f32 v58, v58, v58 :: v_dual_lshlrev_b32 v59, 2, v59
	s_delay_alu instid0(VALU_DEP_1) | instskip(SKIP_3) | instid1(VALU_DEP_1)
	v_max_num_f32_e32 v0, v0, v58
	ds_bpermute_b32 v58, v59, v0
	s_wait_dscnt 0x0
	v_dual_max_num_f32 v58, v58, v58 :: v_dual_bitop2_b32 v59, 4, v39 bitop3:0x14
	v_cmp_gt_i32_e32 vcc_lo, 32, v59
	s_delay_alu instid0(VALU_DEP_2) | instskip(NEXT) | instid1(VALU_DEP_1)
	v_dual_max_num_f32 v0, v0, v58 :: v_dual_cndmask_b32 v59, v39, v59
	v_lshlrev_b32_e32 v59, 2, v59
	ds_bpermute_b32 v58, v59, v0
	s_wait_dscnt 0x0
	v_dual_max_num_f32 v58, v58, v58 :: v_dual_bitop2_b32 v59, 2, v39 bitop3:0x14
	s_delay_alu instid0(VALU_DEP_1) | instskip(NEXT) | instid1(VALU_DEP_2)
	v_max_num_f32_e32 v0, v0, v58
	v_cmp_gt_i32_e32 vcc_lo, 32, v59
	v_cndmask_b32_e32 v59, v39, v59, vcc_lo
	s_delay_alu instid0(VALU_DEP_1) | instskip(SKIP_2) | instid1(VALU_DEP_1)
	v_lshlrev_b32_e32 v59, 2, v59
	ds_bpermute_b32 v58, v59, v0
	v_xor_b32_e32 v59, 1, v39
	v_cmp_gt_i32_e32 vcc_lo, 32, v59
	s_wait_dscnt 0x0
	v_max_num_f32_e32 v58, v58, v58
	s_delay_alu instid0(VALU_DEP_1) | instskip(NEXT) | instid1(VALU_DEP_1)
	v_dual_max_num_f32 v0, v0, v58 :: v_dual_cndmask_b32 v59, v39, v59
	v_lshlrev_b32_e32 v59, 2, v59
	ds_bpermute_b32 v58, v59, v0
	s_wait_dscnt 0x0
	v_max_num_f32_e32 v58, v58, v58
	s_delay_alu instid0(VALU_DEP_1) | instskip(NEXT) | instid1(VALU_DEP_1)
	v_max_num_f32_e32 v0, v0, v58
	v_dual_sub_f32 v3, v3, v0 :: v_dual_sub_f32 v41, v41, v0
	s_delay_alu instid0(VALU_DEP_1) | instskip(SKIP_1) | instid1(VALU_DEP_2)
	v_mul_f32_e32 v58, 0x3fb8aa3b, v3
	v_cmp_ngt_f32_e32 vcc_lo, 0xc2ce8ed0, v3
	v_fma_f32 v59, 0x3fb8aa3b, v3, -v58
	s_wait_xcnt 0x0
	v_rndne_f32_e32 v60, v58
	s_delay_alu instid0(VALU_DEP_1) | instskip(NEXT) | instid1(VALU_DEP_1)
	v_dual_fmac_f32 v59, 0x32a5705f, v3 :: v_dual_sub_f32 v58, v58, v60
	v_add_f32_e32 v58, v58, v59
	v_cvt_i32_f32_e32 v59, v60
	v_mul_f32_e32 v60, 0x3fb8aa3b, v41
	s_delay_alu instid0(VALU_DEP_3) | instskip(NEXT) | instid1(VALU_DEP_1)
	v_exp_f32_e32 v58, v58
	v_rndne_f32_e32 v61, v60
	s_delay_alu instid0(TRANS32_DEP_1) | instskip(SKIP_1) | instid1(VALU_DEP_3)
	v_ldexp_f32 v58, v58, v59
	v_fma_f32 v59, 0x3fb8aa3b, v41, -v60
	v_sub_f32_e32 v60, v60, v61
	v_cvt_i32_f32_e32 v61, v61
	s_delay_alu instid0(VALU_DEP_4) | instskip(SKIP_2) | instid1(VALU_DEP_3)
	v_cndmask_b32_e32 v58, 0, v58, vcc_lo
	v_cmp_nlt_f32_e32 vcc_lo, 0x42b17218, v3
	v_fmac_f32_e32 v59, 0x32a5705f, v41
	v_cndmask_b32_e32 v3, 0x7f800000, v58, vcc_lo
	v_cmp_ngt_f32_e32 vcc_lo, 0xc2ce8ed0, v41
	s_delay_alu instid0(VALU_DEP_3) | instskip(SKIP_1) | instid1(VALU_DEP_4)
	v_add_f32_e32 v59, v60, v59
	v_lshl_add_u32 v58, v22, 1, v31
	v_cvt_f16_f32_e32 v60, v3
	ds_store_b16 v58, v60
	s_wait_loadcnt 0x3
	ds_store_b128 v34, v[42:45]
	s_wait_loadcnt 0x2
	ds_store_b128 v36, v[46:49]
	;; [unrolled: 2-line block ×4, first 2 shown]
	v_exp_f32_e32 v59, v59
	s_wait_dscnt 0x0
	s_barrier_signal -1
	s_barrier_wait -1
	ds_load_b128 v[42:45], v31
	ds_load_2addr_b32 v[50:51], v24 offset1:32
	v_nop
	v_ldexp_f32 v46, v59, v61
	s_delay_alu instid0(VALU_DEP_1) | instskip(SKIP_1) | instid1(VALU_DEP_2)
	v_cndmask_b32_e32 v46, 0, v46, vcc_lo
	v_cmp_nlt_f32_e32 vcc_lo, 0x42b17218, v41
	v_cndmask_b32_e32 v41, 0x7f800000, v46, vcc_lo
	ds_load_b128 v[46:49], v31 offset:16
	v_cvt_f16_f32_e32 v52, v41
	s_wait_dscnt 0x2
	v_and_b32_e32 v54, 0xffff, v42
	v_lshrrev_b32_e32 v42, 16, v42
	v_and_b32_e32 v57, 0xffff, v43
	v_and_b32_e32 v55, 0xffff, v52
	ds_load_2addr_b32 v[52:53], v24 offset0:64 offset1:96
	v_mul_u32_u24_e32 v54, 0x10001, v54
	v_mul_u32_u24_e32 v42, 0x10001, v42
	;; [unrolled: 1-line block ×3, first 2 shown]
	s_wait_dscnt 0x2
	s_delay_alu instid0(VALU_DEP_3)
	v_pk_mul_f16 v50, v50, v54
	ds_load_2addr_b32 v[54:55], v24 offset0:128 offset1:160
	v_pk_fma_f16 v26, v26, v56, v50
	v_lshrrev_b32_e32 v50, 16, v43
	v_mul_u32_u24_e32 v56, 0x10001, v57
	v_add_nc_u32_e32 v57, 0x800, v24
	s_delay_alu instid0(VALU_DEP_4)
	v_pk_fma_f16 v26, v51, v42, v26
	ds_load_2addr_b32 v[42:43], v24 offset0:192 offset1:224
	v_and_b32_e32 v51, 0xffff, v44
	v_mul_u32_u24_e32 v50, 0x10001, v50
	v_lshrrev_b32_e32 v44, 16, v44
	s_wait_dscnt 0x2
	v_pk_fma_f16 v26, v52, v56, v26
	v_dual_fmac_f32 v3, v40, v41 :: v_dual_add_nc_u32 v56, 0x400, v24
	v_mul_u32_u24_e32 v52, 0x10001, v51
	v_mul_u32_u24_e32 v44, 0x10001, v44
	s_delay_alu instid0(VALU_DEP_4)
	v_pk_fma_f16 v26, v53, v50, v26
	ds_load_2addr_b32 v[50:51], v56 offset1:32
	v_and_b32_e32 v53, 0xffff, v45
	v_lshrrev_b32_e32 v45, 16, v45
	s_wait_dscnt 0x2
	v_pk_fma_f16 v26, v54, v52, v26
	s_delay_alu instid0(VALU_DEP_3)
	v_mul_u32_u24_e32 v54, 0x10001, v53
	ds_load_2addr_b32 v[52:53], v56 offset0:64 offset1:96
	v_mul_u32_u24_e32 v45, 0x10001, v45
	v_pk_fma_f16 v26, v55, v44, v26
	v_and_b32_e32 v44, 0xffff, v46
	s_wait_dscnt 0x2
	s_delay_alu instid0(VALU_DEP_2) | instskip(SKIP_1) | instid1(VALU_DEP_3)
	v_pk_fma_f16 v26, v42, v54, v26
	v_dual_lshrrev_b32 v42, 16, v46 :: v_dual_lshrrev_b32 v46, 16, v47
	v_mul_u32_u24_e32 v44, 0x10001, v44
	ds_load_2addr_b32 v[54:55], v56 offset0:128 offset1:160
	v_pk_fma_f16 v26, v43, v45, v26
	v_and_b32_e32 v43, 0xffff, v47
	v_mul_u32_u24_e32 v42, 0x10001, v42
	v_mul_u32_u24_e32 v46, 0x10001, v46
	s_wait_dscnt 0x2
	v_pk_fma_f16 v26, v50, v44, v26
	v_mul_u32_u24_e32 v47, 0x10001, v43
	s_delay_alu instid0(VALU_DEP_2)
	v_pk_fma_f16 v26, v51, v42, v26
	ds_load_b128 v[42:45], v31 offset:32
	ds_load_2addr_b32 v[50:51], v56 offset0:192 offset1:224
	v_and_b32_e32 v56, 0xffff, v48
	s_wait_dscnt 0x3
	v_pk_fma_f16 v26, v52, v47, v26
	v_lshrrev_b32_e32 v47, 16, v48
	s_delay_alu instid0(VALU_DEP_3) | instskip(SKIP_1) | instid1(VALU_DEP_4)
	v_mul_u32_u24_e32 v48, 0x10001, v56
	v_lshrrev_b32_e32 v56, 16, v49
	v_pk_fma_f16 v26, v53, v46, v26
	ds_load_2addr_b32 v[52:53], v57 offset1:32
	v_and_b32_e32 v46, 0xffff, v49
	v_mul_u32_u24_e32 v47, 0x10001, v47
	s_wait_dscnt 0x3
	v_pk_fma_f16 v26, v54, v48, v26
	s_delay_alu instid0(VALU_DEP_3) | instskip(NEXT) | instid1(VALU_DEP_2)
	v_mul_u32_u24_e32 v58, 0x10001, v46
	v_pk_fma_f16 v26, v55, v47, v26
	ds_load_b128 v[46:49], v31 offset:48
	ds_load_2addr_b32 v[54:55], v57 offset0:64 offset1:96
	s_wait_dscnt 0x4
	v_and_b32_e32 v59, 0xffff, v42
	v_lshrrev_b32_e32 v42, 16, v42
	v_mul_u32_u24_e32 v56, 0x10001, v56
	s_wait_dscnt 0x3
	v_pk_fma_f16 v26, v50, v58, v26
	v_mul_u32_u24_e32 v58, 0x10001, v59
	v_mul_u32_u24_e32 v42, 0x10001, v42
	s_delay_alu instid0(VALU_DEP_3)
	v_pk_fma_f16 v26, v51, v56, v26
	ds_load_2addr_b32 v[50:51], v57 offset0:128 offset1:160
	v_and_b32_e32 v56, 0xffff, v43
	s_wait_dscnt 0x3
	v_pk_fma_f16 v26, v52, v58, v26
	v_lshrrev_b32_e32 v52, 16, v43
	s_delay_alu instid0(VALU_DEP_3) | instskip(NEXT) | instid1(VALU_DEP_3)
	v_mul_u32_u24_e32 v56, 0x10001, v56
	v_pk_fma_f16 v26, v53, v42, v26
	ds_load_2addr_b32 v[42:43], v57 offset0:192 offset1:224
	v_and_b32_e32 v53, 0xffff, v44
	v_lshrrev_b32_e32 v44, 16, v44
	v_mul_u32_u24_e32 v52, 0x10001, v52
	s_wait_dscnt 0x2
	v_pk_fma_f16 v26, v54, v56, v26
	v_add_nc_u32_e32 v54, 0xc00, v24
	v_mul_u32_u24_e32 v56, 0x10001, v53
	v_mul_u32_u24_e32 v44, 0x10001, v44
	s_delay_alu instid0(VALU_DEP_4)
	v_pk_fma_f16 v26, v55, v52, v26
	ds_load_2addr_b32 v[52:53], v54 offset1:32
	v_and_b32_e32 v55, 0xffff, v45
	s_wait_dscnt 0x2
	v_pk_fma_f16 v26, v50, v56, v26
	v_lshrrev_b32_e32 v50, 16, v45
	s_delay_alu instid0(VALU_DEP_3) | instskip(NEXT) | instid1(VALU_DEP_3)
	v_mul_u32_u24_e32 v55, 0x10001, v55
	v_pk_fma_f16 v26, v51, v44, v26
	ds_load_2addr_b32 v[44:45], v54 offset0:64 offset1:96
	v_and_b32_e32 v51, 0xffff, v46
	v_lshrrev_b32_e32 v46, 16, v46
	v_mul_u32_u24_e32 v50, 0x10001, v50
	s_wait_dscnt 0x2
	v_pk_fma_f16 v26, v42, v55, v26
	v_and_b32_e32 v55, 0xffff, v47
	v_mul_u32_u24_e32 v51, 0x10001, v51
	v_mul_u32_u24_e32 v46, 0x10001, v46
	v_lshrrev_b32_e32 v47, 16, v47
	v_pk_fma_f16 v26, v43, v50, v26
	ds_load_2addr_b32 v[42:43], v54 offset0:128 offset1:160
	s_wait_dscnt 0x2
	v_pk_fma_f16 v26, v52, v51, v26
	v_mul_u32_u24_e32 v52, 0x10001, v55
	ds_load_2addr_b32 v[50:51], v54 offset0:192 offset1:224
	s_wait_dscnt 0x0
	s_barrier_signal -1
	v_pk_fma_f16 v26, v53, v46, v26
	v_and_b32_e32 v46, 0xffff, v48
	s_barrier_wait -1
	s_load_b32 s11, s[8:9], 0x4
	s_delay_alu instid0(VALU_DEP_2) | instskip(SKIP_3) | instid1(VALU_DEP_3)
	v_pk_fma_f16 v26, v44, v52, v26
	v_lshrrev_b32_e32 v44, 16, v48
	v_mul_u32_u24_e32 v47, 0x10001, v47
	v_mul_u32_u24_e32 v46, 0x10001, v46
	;; [unrolled: 1-line block ×3, first 2 shown]
	s_delay_alu instid0(VALU_DEP_3) | instskip(SKIP_1) | instid1(VALU_DEP_2)
	v_pk_fma_f16 v26, v45, v47, v26
	v_and_b32_e32 v45, 0xffff, v49
	v_pk_fma_f16 v26, v42, v46, v26
	v_lshrrev_b32_e32 v42, 16, v49
	s_delay_alu instid0(VALU_DEP_3) | instskip(NEXT) | instid1(VALU_DEP_3)
	v_mul_u32_u24_e32 v45, 0x10001, v45
	v_pk_fma_f16 v26, v43, v44, v26
	s_delay_alu instid0(VALU_DEP_3) | instskip(SKIP_2) | instid1(SALU_CYCLE_1)
	v_mul_u32_u24_e32 v42, 0x10001, v42
	s_wait_kmcnt 0x0
	s_lshl_b32 s11, s11, 5
	s_add_co_i32 s10, s11, s10
	v_pk_fma_f16 v26, v50, v45, v26
	s_cmp_lt_i32 s10, s3
	s_delay_alu instid0(VALU_DEP_1)
	v_pk_fma_f16 v26, v51, v42, v26
	s_cbranch_scc0 .LBB68_13
; %bb.11:                               ;   in Loop: Header=BB68_8 Depth=1
	v_dual_mov_b32 v41, v0 :: v_dual_mov_b32 v40, v3
	s_branch .LBB68_8
.LBB68_12:
	v_mov_b32_e32 v0, 0xfeffffff
	v_mov_b32_e32 v26, 0
.LBB68_13:
	v_lshlrev_b32_e32 v8, 1, v22
	s_cmp_gt_i32 s2, s10
	s_cbranch_scc1 .LBB68_16
; %bb.14:
	v_mbcnt_lo_u32_b32 v5, -1, 0
	v_mov_b32_e32 v4, 32
	s_delay_alu instid0(VALU_DEP_2)
	v_xor_b32_e32 v11, 16, v5
	v_xor_b32_e32 v9, 8, v5
	;; [unrolled: 1-line block ×5, first 2 shown]
	s_cbranch_execz .LBB68_17
; %bb.15:
	v_mov_b32_e32 v1, v5
	s_branch .LBB68_22
.LBB68_16:
                                        ; implicit-def: $vgpr5
                                        ; implicit-def: $vgpr4
                                        ; implicit-def: $vgpr11
                                        ; implicit-def: $vgpr9
                                        ; implicit-def: $vgpr10
                                        ; implicit-def: $vgpr12
                                        ; implicit-def: $vgpr13
.LBB68_17:
	v_lshl_add_u32 v14, v25, 2, v30
	s_ashr_i32 s11, s10, 31
	s_ashr_i32 s5, s4, 31
	s_mov_b32 s36, 0
	s_mul_u64 s[8:9], s[10:11], s[4:5]
	v_mul_lo_u32 v16, s4, v14
	v_dual_mov_b32 v5, 0 :: v_dual_bitop2_b32 v4, 28, v24 bitop3:0x40
	s_mov_b32 s37, s36
	s_mov_b32 s38, s36
	s_lshl_b64 s[8:9], s[8:9], 2
	v_dual_mov_b32 v6, 0 :: v_dual_lshlrev_b32 v7, 20, v1
	s_add_nc_u64 s[8:9], s[20:21], s[8:9]
	v_lshlrev_b32_e32 v4, 2, v4
	s_sub_co_i32 s20, s2, s10
	s_delay_alu instid0(VALU_DEP_4) | instskip(SKIP_3) | instid1(VALU_DEP_4)
	v_dual_mov_b32 v18, s36 :: v_dual_ashrrev_i32 v17, 31, v16
	v_add_nc_u64_e32 v[30:31], src_flat_scratch_base_lo, v[6:7]
	v_mov_b32_e32 v19, s37
	v_cmp_gt_i32_e32 vcc_lo, s20, v14
	v_lshl_add_u64 v[10:11], v[16:17], 2, s[8:9]
	s_lshl_b32 s4, s4, 3
	v_mad_u32_u24 v6, 0x90, v14, v4
	v_dual_add_nc_u32 v16, s4, v16 :: v_dual_add_nc_u32 v15, 8, v14
	s_delay_alu instid0(VALU_DEP_3) | instskip(NEXT) | instid1(VALU_DEP_2)
	v_add_nc_u64_e32 v[10:11], v[10:11], v[4:5]
	v_dual_mov_b32 v20, s38 :: v_dual_ashrrev_i32 v17, 31, v16
	s_delay_alu instid0(VALU_DEP_3) | instskip(NEXT) | instid1(VALU_DEP_3)
	v_cmp_gt_i32_e64 s2, s20, v15
	v_dual_cndmask_b32 v11, v31, v11 :: v_dual_cndmask_b32 v10, v30, v10
	s_clause 0x1
	scratch_store_b32 off, v5, off
	scratch_store_b96 off, v[18:20], off offset:4
	v_lshl_add_u64 v[32:33], v[16:17], 2, s[8:9]
	v_add_nc_u32_e32 v16, s4, v16
	flat_load_b128 v[10:13], v[10:11]
	s_clause 0x1
	scratch_store_b32 off, v5, off
	scratch_store_b96 off, v[18:20], off offset:4
	v_add_nc_u64_e32 v[32:33], v[32:33], v[4:5]
	s_delay_alu instid0(VALU_DEP_1) | instskip(NEXT) | instid1(VALU_DEP_2)
	v_dual_ashrrev_i32 v17, 31, v16 :: v_dual_cndmask_b32 v33, v31, v33, s2
	v_cndmask_b32_e64 v32, v30, v32, s2
	s_wait_loadcnt_dscnt 0x0
	ds_store_b128 v6, v[10:13]
	flat_load_b128 v[10:13], v[32:33]
	s_wait_xcnt 0x0
	v_lshl_add_u64 v[32:33], v[16:17], 2, s[8:9]
	v_add_nc_u32_e32 v17, 16, v14
	s_clause 0x1
	scratch_store_b32 off, v5, off
	scratch_store_b96 off, v[18:20], off offset:4
	v_add_nc_u64_e32 v[32:33], v[32:33], v[4:5]
	v_cmp_gt_i32_e64 s3, s20, v17
	s_delay_alu instid0(VALU_DEP_1)
	v_dual_cndmask_b32 v33, v31, v33, s3 :: v_dual_cndmask_b32 v32, v30, v32, s3
	s_wait_loadcnt_dscnt 0x0
	ds_store_b128 v6, v[10:13] offset:1152
	flat_load_b128 v[10:13], v[32:33]
	s_wait_xcnt 0x0
	v_dual_add_nc_u32 v32, s4, v16 :: v_dual_add_nc_u32 v16, 24, v14
	s_clause 0x1
	scratch_store_b32 off, v5, off
	scratch_store_b96 off, v[18:20], off offset:4
	s_wait_xcnt 0x0
	v_mov_b32_e32 v18, v5
	v_cmp_gt_i32_e64 s4, s20, v16
	v_ashrrev_i32_e32 v33, 31, v32
	s_delay_alu instid0(VALU_DEP_1) | instskip(SKIP_1) | instid1(VALU_DEP_1)
	v_lshl_add_u64 v[32:33], v[32:33], 2, s[8:9]
	s_mov_b32 s8, exec_lo
	v_add_nc_u64_e32 v[32:33], v[32:33], v[4:5]
	s_delay_alu instid0(VALU_DEP_1)
	v_dual_cndmask_b32 v31, v31, v33, s4 :: v_dual_cndmask_b32 v30, v30, v32, s4
	s_wait_loadcnt_dscnt 0x0
	ds_store_b128 v6, v[10:13] offset:2304
	flat_load_b128 v[10:13], v[30:31]
	s_wait_loadcnt_dscnt 0x0
	ds_store_b128 v6, v[10:13] offset:3456
	s_wait_storecnt_dscnt 0x0
	s_barrier_signal -1
	s_barrier_wait -1
	ds_load_b128 v[10:13], v29
	s_wait_xcnt 0x0
	ds_load_b128 v[30:33], v28
	v_mov_b32_e32 v6, v0
	s_wait_dscnt 0x0
	;;#ASMSTART
	v_dot2_f32_f16 v18, v10, v30, v18
	;;#ASMEND
	;;#ASMSTART
	v_dot2_f32_f16 v18, v11, v31, v18
	;;#ASMEND
	;;#ASMSTART
	v_dot2_f32_f16 v18, v12, v32, v18
	;;#ASMEND
	;;#ASMSTART
	v_dot2_f32_f16 v18, v13, v33, v18
	;;#ASMEND
	ds_load_b128 v[10:13], v29 offset:16
	ds_load_b128 v[30:33], v28 offset:16
	s_wait_dscnt 0x0
	;;#ASMSTART
	v_dot2_f32_f16 v18, v10, v30, v18
	;;#ASMEND
	;;#ASMSTART
	v_dot2_f32_f16 v18, v11, v31, v18
	;;#ASMEND
	;;#ASMSTART
	v_dot2_f32_f16 v18, v12, v32, v18
	;;#ASMEND
	;;#ASMSTART
	v_dot2_f32_f16 v18, v13, v33, v18
	;;#ASMEND
	ds_load_b128 v[10:13], v29 offset:32
	ds_load_b128 v[30:33], v28 offset:32
	;; [unrolled: 15-line block ×7, first 2 shown]
	s_wait_dscnt 0x0
	;;#ASMSTART
	v_dot2_f32_f16 v18, v10, v28, v18
	;;#ASMEND
	;;#ASMSTART
	v_dot2_f32_f16 v18, v11, v29, v18
	;;#ASMEND
	;;#ASMSTART
	v_dot2_f32_f16 v18, v12, v30, v18
	;;#ASMEND
	;;#ASMSTART
	v_dot2_f32_f16 v18, v13, v31, v18
	;;#ASMEND
	v_cmpx_gt_i32_e64 s20, v22
	s_cbranch_execz .LBB68_21
; %bb.18:
	s_cmp_eq_u64 s[30:31], 0
	s_cbranch_scc1 .LBB68_20
; %bb.19:
	v_mul_lo_u32 v2, v2, s35
	s_delay_alu instid0(VALU_DEP_1) | instskip(SKIP_3) | instid1(VALU_DEP_1)
	v_add3_u32 v2, v2, v22, s10
	global_load_u16 v2, v2, s[30:31] scale_offset
	s_wait_loadcnt 0x0
	v_cvt_f32_f16_e32 v2, v2
	v_mul_f32_e32 v5, v27, v2
.LBB68_20:
	s_delay_alu instid0(VALU_DEP_1) | instskip(NEXT) | instid1(VALU_DEP_1)
	v_dual_add_f32 v18, v18, v5 :: v_dual_max_num_f32 v5, v0, v0
	v_add_f32_e32 v2, 0x40051340, v18
	s_delay_alu instid0(VALU_DEP_1)
	v_max_num_f32_e32 v6, v5, v2
.LBB68_21:
	s_or_b32 exec_lo, exec_lo, s8
	v_xor_b32_e32 v11, 16, v1
	v_mul_lo_u32 v32, s14, v14
	s_ashr_i32 s15, s14, 31
	s_mov_b32 s8, 0
	s_mul_u64 s[10:11], s[10:11], s[14:15]
	v_cmp_gt_i32_e64 s5, 32, v11
	s_lshl_b64 s[10:11], s[10:11], 2
	s_mov_b32 s9, s8
	s_add_nc_u64 s[6:7], s[6:7], s[10:11]
	s_mov_b32 s10, s8
	v_dual_cndmask_b32 v2, v1, v11, s5 :: v_dual_bitop2_b32 v9, 8, v1 bitop3:0x14
	s_barrier_signal -1
	s_barrier_wait -1
	s_delay_alu instid0(VALU_DEP_1) | instskip(NEXT) | instid1(VALU_DEP_2)
	v_lshlrev_b32_e32 v2, 2, v2
	v_cmp_gt_i32_e64 s5, 32, v9
	v_max_num_f32_e32 v5, v6, v6
	v_xor_b32_e32 v10, 4, v1
	ds_bpermute_b32 v2, v2, v6
	v_cndmask_b32_e64 v6, v1, v9, s5
	v_xor_b32_e32 v12, 2, v1
	v_xor_b32_e32 v13, 1, v1
	v_cmp_gt_i32_e64 s5, 32, v10
	s_delay_alu instid0(VALU_DEP_4) | instskip(SKIP_4) | instid1(VALU_DEP_1)
	v_dual_lshlrev_b32 v25, 6, v25 :: v_dual_lshlrev_b32 v6, 2, v6
	v_dual_mov_b32 v30, s10 :: v_dual_ashrrev_i32 v33, 31, v32
	v_dual_mov_b32 v29, s9 :: v_dual_mov_b32 v28, s8
	s_wait_dscnt 0x0
	v_max_num_f32_e32 v2, v2, v2
	v_max_num_f32_e32 v2, v5, v2
	ds_bpermute_b32 v5, v6, v2
	s_wait_dscnt 0x0
	v_max_num_f32_e32 v5, v5, v5
	v_cndmask_b32_e64 v6, v1, v10, s5
	v_cmp_gt_i32_e64 s5, 32, v12
	s_delay_alu instid0(VALU_DEP_2)
	v_dual_max_num_f32 v2, v2, v5 :: v_dual_lshlrev_b32 v6, 2, v6
	ds_bpermute_b32 v5, v6, v2
	s_wait_dscnt 0x0
	v_max_num_f32_e32 v5, v5, v5
	v_cndmask_b32_e64 v6, v1, v12, s5
	v_cmp_gt_i32_e64 s5, 32, v13
	s_delay_alu instid0(VALU_DEP_2) | instskip(SKIP_3) | instid1(VALU_DEP_1)
	v_dual_max_num_f32 v2, v2, v5 :: v_dual_lshlrev_b32 v6, 2, v6
	ds_bpermute_b32 v5, v6, v2
	v_cndmask_b32_e64 v6, v1, v13, s5
	s_wait_dscnt 0x0
	v_dual_max_num_f32 v5, v5, v5 :: v_dual_lshlrev_b32 v6, 2, v6
	s_delay_alu instid0(VALU_DEP_1) | instskip(SKIP_3) | instid1(VALU_DEP_1)
	v_max_num_f32_e32 v2, v2, v5
	ds_bpermute_b32 v5, v6, v2
	s_wait_dscnt 0x0
	v_max_num_f32_e32 v5, v5, v5
	v_max_num_f32_e32 v2, v2, v5
	s_delay_alu instid0(VALU_DEP_1) | instskip(NEXT) | instid1(VALU_DEP_1)
	v_sub_f32_e32 v20, v18, v2
	v_mul_f32_e32 v5, 0x3fb8aa3b, v20
	v_cmp_ngt_f32_e64 s5, 0xc2ce8ed0, v20
	v_sub_f32_e32 v0, v0, v2
	s_delay_alu instid0(VALU_DEP_3) | instskip(SKIP_1) | instid1(VALU_DEP_1)
	v_fma_f32 v6, 0x3fb8aa3b, v20, -v5
	v_rndne_f32_e32 v18, v5
	v_dual_fmac_f32 v6, 0x32a5705f, v20 :: v_dual_sub_f32 v5, v5, v18
	v_cvt_i32_f32_e32 v18, v18
	s_delay_alu instid0(VALU_DEP_2) | instskip(NEXT) | instid1(VALU_DEP_1)
	v_dual_add_f32 v5, v5, v6 :: v_dual_mov_b32 v6, 0
	v_exp_f32_e32 v5, v5
	s_delay_alu instid0(VALU_DEP_1) | instskip(SKIP_1) | instid1(TRANS32_DEP_1)
	v_add_nc_u64_e32 v[34:35], src_flat_scratch_base_lo, v[6:7]
	v_add3_u32 v7, 0x1300, v25, v8
	v_ldexp_f32 v5, v5, v18
	v_lshl_add_u64 v[18:19], v[32:33], 2, s[6:7]
	s_delay_alu instid0(VALU_DEP_2)
	v_dual_cndmask_b32 v21, 0, v5, s5 :: v_dual_mov_b32 v5, 0
	v_cmp_nlt_f32_e64 s5, 0x42b17218, v20
	s_clause 0x1
	scratch_store_b32 off, v5, off
	scratch_store_b96 off, v[28:30], off offset:4
	v_cndmask_b32_e64 v20, 0x7f800000, v21, s5
	v_cmp_gt_u32_e64 s5, s20, v22
	v_add_nc_u64_e32 v[18:19], v[18:19], v[4:5]
	s_delay_alu instid0(VALU_DEP_2) | instskip(SKIP_1) | instid1(VALU_DEP_2)
	v_cndmask_b32_e64 v6, 0, v20, s5
	s_lshl_b32 s5, s14, 3
	v_dual_cndmask_b32 v19, v35, v19 :: v_dual_cndmask_b32 v18, v34, v18
	s_delay_alu instid0(VALU_DEP_2)
	v_cvt_f16_f32_e32 v20, v6
	v_add_nc_u32_e32 v32, s5, v32
	ds_store_b16 v7, v20
	flat_load_b128 v[18:21], v[18:19]
	v_ashrrev_i32_e32 v33, 31, v32
	v_lshl_or_b32 v7, v14, 7, v4
	s_clause 0x1
	scratch_store_b32 off, v5, off
	scratch_store_b96 off, v[28:30], off offset:4
	v_lshl_add_u64 v[36:37], v[32:33], 2, s[6:7]
	s_delay_alu instid0(VALU_DEP_1) | instskip(NEXT) | instid1(VALU_DEP_1)
	v_add_nc_u64_e32 v[36:37], v[36:37], v[4:5]
	v_dual_cndmask_b32 v37, v35, v37, s2 :: v_dual_cndmask_b32 v36, v34, v36, s2
	v_add_nc_u32_e32 v32, s5, v32
	s_delay_alu instid0(VALU_DEP_1)
	v_ashrrev_i32_e32 v33, 31, v32
	s_wait_loadcnt_dscnt 0x0
	ds_store_b128 v7, v[18:21]
	flat_load_b128 v[18:21], v[36:37]
	s_wait_xcnt 0x0
	v_lshl_add_u64 v[36:37], v[32:33], 2, s[6:7]
	v_lshl_or_b32 v7, v15, 7, v4
	s_clause 0x1
	scratch_store_b32 off, v5, off
	scratch_store_b96 off, v[28:30], off offset:4
	v_add_nc_u64_e32 v[36:37], v[36:37], v[4:5]
	s_delay_alu instid0(VALU_DEP_1)
	v_dual_cndmask_b32 v15, v35, v37, s3 :: v_dual_cndmask_b32 v14, v34, v36, s3
	s_wait_loadcnt_dscnt 0x0
	ds_store_b128 v7, v[18:21]
	flat_load_b128 v[18:21], v[14:15]
	s_wait_xcnt 0x0
	v_add_nc_u32_e32 v14, s5, v32
	v_lshl_or_b32 v7, v17, 7, v4
	s_clause 0x1
	scratch_store_b32 off, v5, off
	scratch_store_b96 off, v[28:30], off offset:4
	v_ashrrev_i32_e32 v15, 31, v14
	s_delay_alu instid0(VALU_DEP_1) | instskip(NEXT) | instid1(VALU_DEP_1)
	v_lshl_add_u64 v[14:15], v[14:15], 2, s[6:7]
	v_add_nc_u64_e32 v[14:15], v[14:15], v[4:5]
	s_wait_xcnt 0x1
	v_mul_f32_e32 v5, 0x3fb8aa3b, v0
	v_lshl_or_b32 v4, v16, 7, v4
	s_delay_alu instid0(VALU_DEP_3)
	v_dual_cndmask_b32 v15, v35, v15, s4 :: v_dual_cndmask_b32 v14, v34, v14, s4
	s_wait_loadcnt_dscnt 0x0
	ds_store_b128 v7, v[18:21]
	flat_load_b128 v[18:21], v[14:15]
	v_fma_f32 v7, 0x3fb8aa3b, v0, -v5
	s_wait_xcnt 0x0
	v_rndne_f32_e32 v14, v5
	s_delay_alu instid0(VALU_DEP_2) | instskip(NEXT) | instid1(VALU_DEP_2)
	v_fmac_f32_e32 v7, 0x32a5705f, v0
	v_sub_f32_e32 v5, v5, v14
	s_delay_alu instid0(VALU_DEP_1) | instskip(SKIP_2) | instid1(VALU_DEP_3)
	v_add_f32_e32 v5, v5, v7
	v_cvt_i32_f32_e32 v7, v14
	v_cmp_ngt_f32_e32 vcc_lo, 0xc2ce8ed0, v0
	v_exp_f32_e32 v5, v5
	s_wait_loadcnt_dscnt 0x0
	ds_store_b128 v4, v[18:21]
	s_wait_storecnt_dscnt 0x0
	s_barrier_signal -1
	s_barrier_wait -1
	ds_load_b128 v[14:17], v25 offset:4864
	ds_load_b128 v[18:21], v25 offset:4880
	v_nop
	v_ldexp_f32 v4, v5, v7
	ds_load_2addr_b32 v[28:29], v24 offset0:64 offset1:96
	ds_load_2addr_b32 v[30:31], v24 offset0:128 offset1:160
	v_cndmask_b32_e32 v7, 0, v4, vcc_lo
	ds_load_2addr_b32 v[4:5], v24 offset1:32
	v_cmp_nlt_f32_e32 vcc_lo, 0x42b17218, v0
	v_cndmask_b32_e32 v0, 0x7f800000, v7, vcc_lo
	s_delay_alu instid0(VALU_DEP_1) | instskip(SKIP_3) | instid1(VALU_DEP_3)
	v_cvt_f16_f32_e32 v7, v0
	s_wait_dscnt 0x4
	v_and_b32_e32 v27, 0xffff, v14
	v_lshrrev_b32_e32 v14, 16, v14
	v_and_b32_e32 v7, 0xffff, v7
	s_delay_alu instid0(VALU_DEP_3) | instskip(NEXT) | instid1(VALU_DEP_3)
	v_mul_u32_u24_e32 v27, 0x10001, v27
	v_mul_u32_u24_e32 v14, 0x10001, v14
	s_delay_alu instid0(VALU_DEP_3) | instskip(SKIP_1) | instid1(VALU_DEP_3)
	v_mul_u32_u24_e32 v7, 0x10001, v7
	s_wait_dscnt 0x0
	v_pk_mul_f16 v4, v4, v27
	v_and_b32_e32 v27, 0xffff, v15
	s_delay_alu instid0(VALU_DEP_2) | instskip(SKIP_1) | instid1(VALU_DEP_3)
	v_pk_fma_f16 v4, v26, v7, v4
	v_lshrrev_b32_e32 v7, 16, v15
	v_mul_u32_u24_e32 v15, 0x10001, v27
	v_and_b32_e32 v26, 0xffff, v16
	v_lshrrev_b32_e32 v16, 16, v16
	v_pk_fma_f16 v14, v5, v14, v4
	ds_load_2addr_b32 v[4:5], v24 offset0:192 offset1:224
	v_mul_u32_u24_e32 v7, 0x10001, v7
	v_mul_u32_u24_e32 v26, 0x10001, v26
	v_and_b32_e32 v27, 0xffff, v17
	v_pk_fma_f16 v14, v28, v15, v14
	v_dual_fmac_f32 v6, v3, v0 :: v_dual_lshrrev_b32 v17, 16, v17
	v_add_nc_u32_e32 v28, 0x400, v24
	v_mul_u32_u24_e32 v16, 0x10001, v16
	s_delay_alu instid0(VALU_DEP_4)
	v_pk_fma_f16 v7, v29, v7, v14
	v_mul_u32_u24_e32 v29, 0x10001, v27
	v_mov_b32_e32 v3, v6
	ds_load_2addr_b32 v[14:15], v28 offset1:32
	v_mul_u32_u24_e32 v17, 0x10001, v17
	v_pk_fma_f16 v7, v30, v26, v7
	ds_load_2addr_b32 v[26:27], v28 offset0:64 offset1:96
	v_and_b32_e32 v30, 0xffff, v20
	v_mov_b32_e32 v0, v2
	v_pk_fma_f16 v7, v31, v16, v7
	v_and_b32_e32 v16, 0xffff, v18
	v_add_nc_u32_e32 v31, 0x800, v24
	s_wait_dscnt 0x2
	s_delay_alu instid0(VALU_DEP_3)
	v_pk_fma_f16 v4, v4, v29, v7
	v_lshrrev_b32_e32 v7, 16, v18
	v_mul_u32_u24_e32 v16, 0x10001, v16
	v_and_b32_e32 v18, 0xffff, v19
	v_lshrrev_b32_e32 v19, 16, v19
	v_pk_fma_f16 v17, v5, v17, v4
	ds_load_2addr_b32 v[4:5], v28 offset0:128 offset1:160
	v_mul_u32_u24_e32 v7, 0x10001, v7
	v_mul_u32_u24_e32 v18, 0x10001, v18
	;; [unrolled: 1-line block ×3, first 2 shown]
	s_wait_dscnt 0x2
	v_pk_fma_f16 v14, v14, v16, v17
	s_delay_alu instid0(VALU_DEP_1)
	v_pk_fma_f16 v7, v15, v7, v14
	ds_load_b128 v[14:17], v25 offset:4896
	ds_load_2addr_b32 v[28:29], v28 offset0:192 offset1:224
	s_wait_dscnt 0x3
	v_pk_fma_f16 v7, v26, v18, v7
	v_lshrrev_b32_e32 v18, 16, v20
	v_mul_u32_u24_e32 v20, 0x10001, v30
	s_delay_alu instid0(VALU_DEP_3)
	v_pk_fma_f16 v7, v27, v19, v7
	ds_load_2addr_b32 v[26:27], v31 offset1:32
	v_and_b32_e32 v19, 0xffff, v21
	s_wait_dscnt 0x3
	v_pk_fma_f16 v4, v4, v20, v7
	v_lshrrev_b32_e32 v7, 16, v21
	v_mul_u32_u24_e32 v18, 0x10001, v18
	v_mul_u32_u24_e32 v30, 0x10001, v19
	s_delay_alu instid0(VALU_DEP_3) | instskip(NEXT) | instid1(VALU_DEP_3)
	v_mul_u32_u24_e32 v7, 0x10001, v7
	v_pk_fma_f16 v32, v5, v18, v4
	ds_load_b128 v[18:21], v25 offset:4912
	ds_load_2addr_b32 v[4:5], v31 offset0:64 offset1:96
	s_wait_dscnt 0x4
	v_and_b32_e32 v25, 0xffff, v14
	v_lshrrev_b32_e32 v14, 16, v14
	s_wait_dscnt 0x3
	v_pk_fma_f16 v28, v28, v30, v32
	v_and_b32_e32 v30, 0xffff, v15
	v_mul_u32_u24_e32 v25, 0x10001, v25
	v_mul_u32_u24_e32 v14, 0x10001, v14
	s_delay_alu instid0(VALU_DEP_4)
	v_pk_fma_f16 v7, v29, v7, v28
	ds_load_2addr_b32 v[28:29], v31 offset0:128 offset1:160
	s_wait_dscnt 0x3
	v_pk_fma_f16 v7, v26, v25, v7
	v_lshrrev_b32_e32 v25, 16, v15
	v_mul_u32_u24_e32 v26, 0x10001, v30
	s_delay_alu instid0(VALU_DEP_3)
	v_pk_fma_f16 v7, v27, v14, v7
	ds_load_2addr_b32 v[14:15], v31 offset0:192 offset1:224
	v_and_b32_e32 v27, 0xffff, v16
	v_lshrrev_b32_e32 v16, 16, v16
	v_mul_u32_u24_e32 v25, 0x10001, v25
	s_wait_dscnt 0x2
	v_pk_fma_f16 v4, v4, v26, v7
	v_add_nc_u32_e32 v7, 0xc00, v24
	v_mul_u32_u24_e32 v24, 0x10001, v27
	v_and_b32_e32 v26, 0xffff, v17
	v_mul_u32_u24_e32 v16, 0x10001, v16
	v_pk_fma_f16 v25, v5, v25, v4
	ds_load_2addr_b32 v[4:5], v7 offset1:32
	v_and_b32_e32 v27, 0xffff, v18
	v_mul_u32_u24_e32 v26, 0x10001, v26
	v_lshrrev_b32_e32 v18, 16, v18
	s_wait_dscnt 0x2
	v_pk_fma_f16 v24, v28, v24, v25
	v_lshrrev_b32_e32 v25, 16, v17
	s_delay_alu instid0(VALU_DEP_3) | instskip(NEXT) | instid1(VALU_DEP_3)
	v_mul_u32_u24_e32 v18, 0x10001, v18
	v_pk_fma_f16 v24, v29, v16, v24
	ds_load_2addr_b32 v[16:17], v7 offset0:64 offset1:96
	v_mul_u32_u24_e32 v25, 0x10001, v25
	s_wait_dscnt 0x2
	v_pk_fma_f16 v14, v14, v26, v24
	v_mul_u32_u24_e32 v24, 0x10001, v27
	v_and_b32_e32 v26, 0xffff, v19
	v_lshrrev_b32_e32 v19, 16, v19
	s_delay_alu instid0(VALU_DEP_4) | instskip(SKIP_4) | instid1(VALU_DEP_2)
	v_pk_fma_f16 v25, v15, v25, v14
	ds_load_2addr_b32 v[14:15], v7 offset0:128 offset1:160
	s_wait_dscnt 0x2
	v_pk_fma_f16 v4, v4, v24, v25
	v_mul_u32_u24_e32 v24, 0x10001, v26
	v_pk_fma_f16 v18, v5, v18, v4
	ds_load_2addr_b32 v[4:5], v7 offset0:192 offset1:224
	v_and_b32_e32 v7, 0xffff, v20
	s_wait_dscnt 0x0
	s_barrier_signal -1
	v_pk_fma_f16 v16, v16, v24, v18
	v_lshrrev_b32_e32 v18, 16, v20
	v_mul_u32_u24_e32 v19, 0x10001, v19
	v_mul_u32_u24_e32 v7, 0x10001, v7
	s_barrier_wait -1
	s_delay_alu instid0(VALU_DEP_3) | instskip(NEXT) | instid1(VALU_DEP_3)
	v_mul_u32_u24_e32 v18, 0x10001, v18
	v_pk_fma_f16 v16, v17, v19, v16
	v_and_b32_e32 v17, 0xffff, v21
	s_delay_alu instid0(VALU_DEP_2) | instskip(SKIP_1) | instid1(VALU_DEP_3)
	v_pk_fma_f16 v7, v14, v7, v16
	v_lshrrev_b32_e32 v14, 16, v21
	v_mul_u32_u24_e32 v16, 0x10001, v17
	s_delay_alu instid0(VALU_DEP_3) | instskip(NEXT) | instid1(VALU_DEP_3)
	v_pk_fma_f16 v7, v15, v18, v7
	v_mul_u32_u24_e32 v14, 0x10001, v14
	s_delay_alu instid0(VALU_DEP_2) | instskip(SKIP_1) | instid1(VALU_DEP_2)
	v_pk_fma_f16 v7, v4, v16, v7
	v_mov_b32_e32 v4, 32
	v_pk_fma_f16 v26, v5, v14, v7
.LBB68_22:
	s_delay_alu instid0(VALU_DEP_2)
	v_cmp_lt_i32_e32 vcc_lo, v11, v4
	s_cmp_eq_u64 s[12:13], 0
	s_cselect_b32 s2, -1, 0
	s_cmp_lg_u32 s24, 0
	v_cndmask_b32_e32 v2, v1, v11, vcc_lo
	v_cmp_lt_i32_e32 vcc_lo, v9, v4
	s_cselect_b32 s3, -1, 0
	s_delay_alu instid0(SALU_CYCLE_1) | instskip(NEXT) | instid1(VALU_DEP_2)
	s_or_b32 s2, s3, s2
	v_dual_cndmask_b32 v5, v1, v9 :: v_dual_lshlrev_b32 v2, 2, v2
	v_cmp_lt_i32_e32 vcc_lo, v10, v4
	s_delay_alu instid0(VALU_DEP_2)
	v_lshlrev_b32_e32 v5, 2, v5
	ds_bpermute_b32 v2, v2, v3
	s_wait_dscnt 0x0
	v_add_f32_e32 v2, v3, v2
	ds_bpermute_b32 v3, v5, v2
	v_cndmask_b32_e32 v5, v1, v10, vcc_lo
	v_cmp_lt_i32_e32 vcc_lo, v12, v4
	s_wait_dscnt 0x0
	s_delay_alu instid0(VALU_DEP_2)
	v_dual_add_f32 v2, v2, v3 :: v_dual_lshlrev_b32 v5, 2, v5
	ds_bpermute_b32 v3, v5, v2
	v_cndmask_b32_e32 v5, v1, v12, vcc_lo
	v_cmp_lt_i32_e32 vcc_lo, v13, v4
	v_cndmask_b32_e32 v1, v1, v13, vcc_lo
	s_and_b32 vcc_lo, exec_lo, s2
	s_wait_dscnt 0x0
	s_delay_alu instid0(VALU_DEP_1)
	v_dual_add_f32 v2, v2, v3 :: v_dual_lshlrev_b32 v1, 2, v1
	v_lshlrev_b32_e32 v5, 2, v5
	ds_bpermute_b32 v3, v5, v2
	s_wait_dscnt 0x0
	v_add_f32_e32 v2, v2, v3
	ds_bpermute_b32 v1, v1, v2
	s_wait_dscnt 0x0
	v_add_f32_e32 v1, v2, v1
	s_cbranch_vccnz .LBB68_25
; %bb.23:
	v_mov_b32_e32 v2, s33
	global_load_b32 v3, v2, s[12:13] scale_offset
	s_wait_loadcnt 0x0
	v_dual_max_num_f32 v2, v0, v0 :: v_dual_max_num_f32 v4, v3, v3
	s_delay_alu instid0(VALU_DEP_1) | instskip(NEXT) | instid1(VALU_DEP_1)
	v_max_num_f32_e32 v2, v2, v4
	v_sub_f32_e32 v0, v0, v2
	s_delay_alu instid0(VALU_DEP_1) | instskip(NEXT) | instid1(VALU_DEP_1)
	v_mul_f32_e32 v4, 0x3fb8aa3b, v0
	v_rndne_f32_e32 v6, v4
	v_fma_f32 v5, 0x3fb8aa3b, v0, -v4
	s_delay_alu instid0(VALU_DEP_2) | instskip(SKIP_1) | instid1(VALU_DEP_3)
	v_sub_f32_e32 v4, v4, v6
	v_sub_f32_e32 v3, v3, v2
	v_fmac_f32_e32 v5, 0x32a5705f, v0
	v_cvt_i32_f32_e32 v6, v6
	v_cmp_ngt_f32_e32 vcc_lo, 0xc2ce8ed0, v0
	s_delay_alu instid0(VALU_DEP_4) | instskip(NEXT) | instid1(VALU_DEP_1)
	v_mul_f32_e32 v7, 0x3fb8aa3b, v3
	v_fma_f32 v9, 0x3fb8aa3b, v3, -v7
	v_add_f32_e32 v4, v4, v5
	v_rndne_f32_e32 v10, v7
	s_delay_alu instid0(VALU_DEP_3) | instskip(NEXT) | instid1(VALU_DEP_3)
	v_fmac_f32_e32 v9, 0x32a5705f, v3
	v_exp_f32_e32 v4, v4
	s_delay_alu instid0(VALU_DEP_2) | instskip(NEXT) | instid1(TRANS32_DEP_1)
	v_sub_f32_e32 v5, v7, v10
	v_ldexp_f32 v4, v4, v6
	s_delay_alu instid0(VALU_DEP_2) | instskip(SKIP_1) | instid1(VALU_DEP_3)
	v_add_f32_e32 v5, v5, v9
	v_cvt_i32_f32_e32 v6, v10
	v_cndmask_b32_e32 v4, 0, v4, vcc_lo
	s_delay_alu instid0(VALU_DEP_3) | instskip(SKIP_1) | instid1(VALU_DEP_2)
	v_exp_f32_e32 v5, v5
	v_cmp_nlt_f32_e32 vcc_lo, 0x42b17218, v0
	v_cndmask_b32_e32 v0, 0x7f800000, v4, vcc_lo
	s_delay_alu instid0(TRANS32_DEP_1) | instskip(SKIP_1) | instid1(VALU_DEP_3)
	v_ldexp_f32 v4, v5, v6
	v_cmp_ngt_f32_e32 vcc_lo, 0xc2ce8ed0, v3
	v_cvt_f16_f32_e32 v5, v0
	s_delay_alu instid0(VALU_DEP_3) | instskip(SKIP_1) | instid1(VALU_DEP_3)
	v_cndmask_b32_e32 v4, 0, v4, vcc_lo
	v_cmp_nlt_f32_e32 vcc_lo, 0x42b17218, v3
	v_and_b32_e32 v5, 0xffff, v5
	s_delay_alu instid0(VALU_DEP_3) | instskip(NEXT) | instid1(VALU_DEP_2)
	v_cndmask_b32_e32 v3, 0x7f800000, v4, vcc_lo
	v_mul_u32_u24_e32 v4, 0x10001, v5
	s_delay_alu instid0(VALU_DEP_2) | instskip(NEXT) | instid1(VALU_DEP_2)
	v_fmac_f32_e32 v3, v1, v0
	v_pk_mul_f16 v26, v26, v4
	s_delay_alu instid0(VALU_DEP_2)
	v_mov_b64_e32 v[0:1], v[2:3]
	s_mov_b32 s2, exec_lo
	v_cmpx_gt_i32_e64 s22, v23
	s_cbranch_execnz .LBB68_26
.LBB68_24:
	s_sendmsg sendmsg(MSG_DEALLOC_VGPRS)
	s_endpgm
.LBB68_25:
	s_delay_alu instid0(VALU_DEP_1)
	v_mov_b32_e32 v3, v1
	s_mov_b32 s2, exec_lo
	v_cmpx_gt_i32_e64 s22, v23
	s_cbranch_execz .LBB68_24
.LBB68_26:
	s_delay_alu instid0(VALU_DEP_2) | instskip(SKIP_2) | instid1(VALU_DEP_3)
	v_div_scale_f32 v2, null, v3, v3, 1.0
	v_div_scale_f32 v6, vcc_lo, 1.0, v3, 1.0
	v_mad_u32 v7, s28, s22, v23
	v_rcp_f32_e32 v4, v2
	s_load_b32 s0, s[0:1], 0xd4
	v_nop
	s_delay_alu instid0(TRANS32_DEP_1) | instskip(NEXT) | instid1(VALU_DEP_3)
	v_fma_f32 v5, -v2, v4, 1.0
	v_mad_u32 v7, v7, s23, s33
	s_delay_alu instid0(VALU_DEP_2) | instskip(NEXT) | instid1(VALU_DEP_1)
	v_fmac_f32_e32 v4, v5, v4
	v_mul_f32_e32 v5, v6, v4
	s_wait_kmcnt 0x0
	s_cmp_lg_u32 s0, 1
	s_delay_alu instid0(VALU_DEP_1) | instskip(NEXT) | instid1(VALU_DEP_1)
	v_fma_f32 v9, -v2, v5, v6
	v_fmac_f32_e32 v5, v9, v4
	s_delay_alu instid0(VALU_DEP_1) | instskip(SKIP_2) | instid1(VALU_DEP_2)
	v_fma_f32 v6, -v2, v5, v6
	v_mad_u32 v2, s0, v7, s24
	s_cselect_b32 s0, -1, 0
	v_div_fmas_f32 v4, v6, v4, v5
	v_dual_mov_b32 v5, 0 :: v_dual_lshrrev_b32 v6, 16, v26
	v_cmp_eq_u32_e32 vcc_lo, 0, v22
	s_delay_alu instid0(VALU_DEP_3) | instskip(NEXT) | instid1(VALU_DEP_3)
	v_div_fixup_f32 v3, v4, v3, 1.0
	v_cvt_f32_f16_e32 v7, v6
	v_lshl_add_u32 v4, v2, 6, v8
	v_cvt_f32_f16_e32 v6, v26
	s_delay_alu instid0(VALU_DEP_4) | instskip(SKIP_1) | instid1(VALU_DEP_3)
	v_cndmask_b32_e64 v8, v3, 1.0, s0
	s_and_b32 s0, vcc_lo, s0
	v_lshl_add_u64 v[4:5], v[4:5], 2, s[16:17]
	s_delay_alu instid0(VALU_DEP_2)
	v_pk_mul_f32 v[6:7], v[8:9], v[6:7] op_sel_hi:[0,1]
	global_store_b64 v[4:5], v[6:7], off
	s_wait_xcnt 0x0
	s_and_b32 exec_lo, exec_lo, s0
	s_cbranch_execz .LBB68_24
; %bb.27:
	global_store_b64 v2, v[0:1], s[18:19] scale_offset
	s_sendmsg sendmsg(MSG_DEALLOC_VGPRS)
	s_endpgm
	.section	.rodata,"a",@progbits
	.p2align	6, 0x0
	.amdhsa_kernel _ZL15flash_attn_tileILi64ELi64ELi2ELi1ELb0EEvPKcS1_S1_S1_S1_PKiPfP15HIP_vector_typeIfLj2EEffffjfiS5_IjLj3EEiiiiiiiiiiiliiliiiiil
		.amdhsa_group_segment_fixed_size 4992
		.amdhsa_private_segment_fixed_size 32
		.amdhsa_kernarg_size 464
		.amdhsa_user_sgpr_count 2
		.amdhsa_user_sgpr_dispatch_ptr 0
		.amdhsa_user_sgpr_queue_ptr 0
		.amdhsa_user_sgpr_kernarg_segment_ptr 1
		.amdhsa_user_sgpr_dispatch_id 0
		.amdhsa_user_sgpr_kernarg_preload_length 0
		.amdhsa_user_sgpr_kernarg_preload_offset 0
		.amdhsa_user_sgpr_private_segment_size 0
		.amdhsa_wavefront_size32 1
		.amdhsa_uses_dynamic_stack 0
		.amdhsa_enable_private_segment 1
		.amdhsa_system_sgpr_workgroup_id_x 1
		.amdhsa_system_sgpr_workgroup_id_y 1
		.amdhsa_system_sgpr_workgroup_id_z 1
		.amdhsa_system_sgpr_workgroup_info 0
		.amdhsa_system_vgpr_workitem_id 1
		.amdhsa_next_free_vgpr 66
		.amdhsa_next_free_sgpr 47
		.amdhsa_named_barrier_count 0
		.amdhsa_reserve_vcc 1
		.amdhsa_float_round_mode_32 0
		.amdhsa_float_round_mode_16_64 0
		.amdhsa_float_denorm_mode_32 3
		.amdhsa_float_denorm_mode_16_64 3
		.amdhsa_fp16_overflow 0
		.amdhsa_memory_ordered 1
		.amdhsa_forward_progress 1
		.amdhsa_inst_pref_size 70
		.amdhsa_round_robin_scheduling 0
		.amdhsa_exception_fp_ieee_invalid_op 0
		.amdhsa_exception_fp_denorm_src 0
		.amdhsa_exception_fp_ieee_div_zero 0
		.amdhsa_exception_fp_ieee_overflow 0
		.amdhsa_exception_fp_ieee_underflow 0
		.amdhsa_exception_fp_ieee_inexact 0
		.amdhsa_exception_int_div_zero 0
	.end_amdhsa_kernel
	.section	.text._ZL15flash_attn_tileILi64ELi64ELi2ELi1ELb0EEvPKcS1_S1_S1_S1_PKiPfP15HIP_vector_typeIfLj2EEffffjfiS5_IjLj3EEiiiiiiiiiiiliiliiiiil,"axG",@progbits,_ZL15flash_attn_tileILi64ELi64ELi2ELi1ELb0EEvPKcS1_S1_S1_S1_PKiPfP15HIP_vector_typeIfLj2EEffffjfiS5_IjLj3EEiiiiiiiiiiiliiliiiiil,comdat
.Lfunc_end68:
	.size	_ZL15flash_attn_tileILi64ELi64ELi2ELi1ELb0EEvPKcS1_S1_S1_S1_PKiPfP15HIP_vector_typeIfLj2EEffffjfiS5_IjLj3EEiiiiiiiiiiiliiliiiiil, .Lfunc_end68-_ZL15flash_attn_tileILi64ELi64ELi2ELi1ELb0EEvPKcS1_S1_S1_S1_PKiPfP15HIP_vector_typeIfLj2EEffffjfiS5_IjLj3EEiiiiiiiiiiiliiliiiiil
                                        ; -- End function
	.set _ZL15flash_attn_tileILi64ELi64ELi2ELi1ELb0EEvPKcS1_S1_S1_S1_PKiPfP15HIP_vector_typeIfLj2EEffffjfiS5_IjLj3EEiiiiiiiiiiiliiliiiiil.num_vgpr, 66
	.set _ZL15flash_attn_tileILi64ELi64ELi2ELi1ELb0EEvPKcS1_S1_S1_S1_PKiPfP15HIP_vector_typeIfLj2EEffffjfiS5_IjLj3EEiiiiiiiiiiiliiliiiiil.num_agpr, 0
	.set _ZL15flash_attn_tileILi64ELi64ELi2ELi1ELb0EEvPKcS1_S1_S1_S1_PKiPfP15HIP_vector_typeIfLj2EEffffjfiS5_IjLj3EEiiiiiiiiiiiliiliiiiil.numbered_sgpr, 47
	.set _ZL15flash_attn_tileILi64ELi64ELi2ELi1ELb0EEvPKcS1_S1_S1_S1_PKiPfP15HIP_vector_typeIfLj2EEffffjfiS5_IjLj3EEiiiiiiiiiiiliiliiiiil.num_named_barrier, 0
	.set _ZL15flash_attn_tileILi64ELi64ELi2ELi1ELb0EEvPKcS1_S1_S1_S1_PKiPfP15HIP_vector_typeIfLj2EEffffjfiS5_IjLj3EEiiiiiiiiiiiliiliiiiil.private_seg_size, 32
	.set _ZL15flash_attn_tileILi64ELi64ELi2ELi1ELb0EEvPKcS1_S1_S1_S1_PKiPfP15HIP_vector_typeIfLj2EEffffjfiS5_IjLj3EEiiiiiiiiiiiliiliiiiil.uses_vcc, 1
	.set _ZL15flash_attn_tileILi64ELi64ELi2ELi1ELb0EEvPKcS1_S1_S1_S1_PKiPfP15HIP_vector_typeIfLj2EEffffjfiS5_IjLj3EEiiiiiiiiiiiliiliiiiil.uses_flat_scratch, 1
	.set _ZL15flash_attn_tileILi64ELi64ELi2ELi1ELb0EEvPKcS1_S1_S1_S1_PKiPfP15HIP_vector_typeIfLj2EEffffjfiS5_IjLj3EEiiiiiiiiiiiliiliiiiil.has_dyn_sized_stack, 0
	.set _ZL15flash_attn_tileILi64ELi64ELi2ELi1ELb0EEvPKcS1_S1_S1_S1_PKiPfP15HIP_vector_typeIfLj2EEffffjfiS5_IjLj3EEiiiiiiiiiiiliiliiiiil.has_recursion, 0
	.set _ZL15flash_attn_tileILi64ELi64ELi2ELi1ELb0EEvPKcS1_S1_S1_S1_PKiPfP15HIP_vector_typeIfLj2EEffffjfiS5_IjLj3EEiiiiiiiiiiiliiliiiiil.has_indirect_call, 0
	.section	.AMDGPU.csdata,"",@progbits
; Kernel info:
; codeLenInByte = 8872
; TotalNumSgprs: 49
; NumVgprs: 66
; ScratchSize: 32
; MemoryBound: 0
; FloatMode: 240
; IeeeMode: 1
; LDSByteSize: 4992 bytes/workgroup (compile time only)
; SGPRBlocks: 0
; VGPRBlocks: 4
; NumSGPRsForWavesPerEU: 49
; NumVGPRsForWavesPerEU: 66
; NamedBarCnt: 0
; Occupancy: 12
; WaveLimiterHint : 1
; COMPUTE_PGM_RSRC2:SCRATCH_EN: 1
; COMPUTE_PGM_RSRC2:USER_SGPR: 2
; COMPUTE_PGM_RSRC2:TRAP_HANDLER: 0
; COMPUTE_PGM_RSRC2:TGID_X_EN: 1
; COMPUTE_PGM_RSRC2:TGID_Y_EN: 1
; COMPUTE_PGM_RSRC2:TGID_Z_EN: 1
; COMPUTE_PGM_RSRC2:TIDIG_COMP_CNT: 1
	.section	.text._ZL33flash_attn_stream_k_fixup_uniformILi64ELi2ELi1EEvPfPK15HIP_vector_typeIfLj2EEiiiiiiS1_IjLj3EES5_S5_,"axG",@progbits,_ZL33flash_attn_stream_k_fixup_uniformILi64ELi2ELi1EEvPfPK15HIP_vector_typeIfLj2EEiiiiiiS1_IjLj3EES5_S5_,comdat
	.globl	_ZL33flash_attn_stream_k_fixup_uniformILi64ELi2ELi1EEvPfPK15HIP_vector_typeIfLj2EEiiiiiiS1_IjLj3EES5_S5_ ; -- Begin function _ZL33flash_attn_stream_k_fixup_uniformILi64ELi2ELi1EEvPfPK15HIP_vector_typeIfLj2EEiiiiiiS1_IjLj3EES5_S5_
	.p2align	8
	.type	_ZL33flash_attn_stream_k_fixup_uniformILi64ELi2ELi1EEvPfPK15HIP_vector_typeIfLj2EEiiiiiiS1_IjLj3EES5_S5_,@function
_ZL33flash_attn_stream_k_fixup_uniformILi64ELi2ELi1EEvPfPK15HIP_vector_typeIfLj2EEiiiiiiS1_IjLj3EES5_S5_: ; @_ZL33flash_attn_stream_k_fixup_uniformILi64ELi2ELi1EEvPfPK15HIP_vector_typeIfLj2EEiiiiiiS1_IjLj3EES5_S5_
; %bb.0:
	s_load_b256 s[4:11], s[0:1], 0x1c
	s_bfe_u32 s2, ttmp6, 0x40014
	s_lshr_b32 s3, ttmp7, 16
	s_add_co_i32 s2, s2, 1
	s_bfe_u32 s13, ttmp6, 0x40010
	s_mul_i32 s2, s3, s2
	s_bfe_u32 s12, ttmp6, 0x40008
	s_and_b32 s14, ttmp7, 0xffff
	s_add_co_i32 s13, s13, 1
	s_bfe_u32 s15, ttmp6, 0x4000c
	s_add_co_i32 s2, s12, s2
	s_mul_i32 s12, s14, s13
	s_bfe_u32 s13, ttmp6, 0x40004
	s_add_co_i32 s15, s15, 1
	s_add_co_i32 s13, s13, s12
	s_and_b32 s12, ttmp6, 15
	s_mul_i32 s15, ttmp9, s15
	s_getreg_b32 s20, hwreg(HW_REG_IB_STS2, 6, 4)
	s_add_co_i32 s12, s12, s15
	s_load_b128 s[16:19], s[0:1], 0x3c
	s_cmp_eq_u32 s20, 0
	s_cselect_b32 s12, ttmp9, s12
	s_cselect_b32 s13, s14, s13
	s_wait_kmcnt 0x0
	s_mul_hi_u32 s7, s7, s12
	s_cselect_b32 s14, s3, s2
	s_add_co_i32 s2, s12, s7
	s_delay_alu instid0(SALU_CYCLE_1) | instskip(NEXT) | instid1(SALU_CYCLE_1)
	s_lshr_b32 s7, s2, s8
	s_mul_i32 s2, s7, s9
	s_delay_alu instid0(SALU_CYCLE_1) | instskip(NEXT) | instid1(SALU_CYCLE_1)
	s_sub_co_i32 s8, s12, s2
	s_mul_hi_u32 s2, s8, s10
	s_delay_alu instid0(SALU_CYCLE_1) | instskip(SKIP_2) | instid1(SALU_CYCLE_1)
	s_add_co_i32 s9, s8, s2
	s_load_b64 s[2:3], s[0:1], 0x10
	s_lshr_b32 s15, s9, s11
	s_mul_i32 s9, s15, s16
	s_delay_alu instid0(SALU_CYCLE_1) | instskip(NEXT) | instid1(SALU_CYCLE_1)
	s_sub_co_i32 s8, s8, s9
	s_mul_hi_u32 s9, s8, s17
	s_delay_alu instid0(SALU_CYCLE_1) | instskip(NEXT) | instid1(SALU_CYCLE_1)
	s_add_co_i32 s9, s8, s9
	s_lshr_b32 s16, s9, s18
	s_delay_alu instid0(SALU_CYCLE_1) | instskip(NEXT) | instid1(SALU_CYCLE_1)
	s_mul_i32 s9, s16, s19
	s_sub_co_i32 s17, s8, s9
	s_delay_alu instid0(SALU_CYCLE_1) | instskip(NEXT) | instid1(SALU_CYCLE_1)
	s_lshl_b32 s8, s17, 1
	s_add_co_i32 s8, s8, s13
	s_wait_kmcnt 0x0
	s_cmp_lt_i32 s8, s2
	s_cselect_b32 s8, -1, 0
	s_add_co_i32 s9, s16, s14
	s_delay_alu instid0(SALU_CYCLE_1) | instskip(SKIP_1) | instid1(SALU_CYCLE_1)
	s_cmp_lt_i32 s9, s5
	s_cselect_b32 s9, -1, 0
	s_and_b32 s8, s8, s9
	s_delay_alu instid0(SALU_CYCLE_1)
	s_and_not1_b32 vcc_lo, exec_lo, s8
	s_cbranch_vccnz .LBB69_6
; %bb.1:
	s_mul_i32 s2, s7, s2
	s_load_b128 s[8:11], s[0:1], 0x0
	s_wait_xcnt 0x0
	s_add_co_i32 s0, s2, s13
	s_mul_i32 s15, s15, s5
	s_mul_i32 s0, s0, s3
	;; [unrolled: 1-line block ×3, first 2 shown]
	s_add_co_i32 s0, s0, s14
	s_lshl_b32 s1, s1, 7
	s_add_co_i32 s0, s0, s15
	s_mul_i32 s7, s6, s12
	s_add_co_i32 s0, s0, s16
	s_add_co_i32 s5, s7, s6
	s_lshl_b32 s0, s0, 6
	s_add_co_i32 s13, s13, s14
	s_add_co_i32 s1, s1, s0
	s_lshl_b32 s0, s5, 1
	v_or_b32_e32 v4, s1, v0
	s_add_co_i32 s0, s13, s0
	s_add_co_i32 s2, s5, -2
	s_add_co_i32 s0, s0, -2
	s_delay_alu instid0(SALU_CYCLE_1)
	s_ashr_i32 s1, s0, 31
	s_wait_kmcnt 0x0
	global_load_b32 v3, v4, s[8:9] scale_offset
	s_lshl_b64 s[0:1], s[0:1], 3
	v_ashrrev_i32_e32 v5, 31, v4
	s_add_nc_u64 s[0:1], s[10:11], s[0:1]
	s_cmp_lt_i32 s2, s7
	s_load_b32 s14, s[0:1], 0x4
	s_cbranch_scc1 .LBB69_4
; %bb.2:
	s_wait_xcnt 0x0
	s_load_b32 s0, s[0:1], 0x0
	s_add_co_i32 s12, s12, 1
	s_lshl_b32 s3, s13, 6
	s_wait_xcnt 0x0
	s_mul_i32 s1, s6, s12
	s_lshl_b32 s2, s4, 3
	s_lshl_b32 s6, s1, 7
	;; [unrolled: 1-line block ×3, first 2 shown]
	s_add_co_i32 s6, s3, s6
	s_ashr_i32 s3, s2, 31
	s_wait_kmcnt 0x0
	v_dual_mov_b32 v2, s14 :: v_dual_bitop2_b32 v0, s6, v0 bitop3:0x54
	s_add_co_i32 s1, s13, s1
	s_lshl_b32 s4, s4, 1
	s_lshl_b64 s[2:3], s[2:3], 2
	s_delay_alu instid0(VALU_DEP_1)
	v_add_nc_u32_e32 v0, 0xffffff00, v0
	s_add_co_i32 s4, s1, s4
	s_add_nc_u64 s[2:3], s[10:11], s[2:3]
	s_add_co_i32 s1, s5, -1
	s_add_co_i32 s4, s4, -4
.LBB69_3:                               ; =>This Inner Loop Header: Depth=1
	global_load_b32 v7, v0, s[2:3] scale_offset
	s_ashr_i32 s5, s4, 31
	v_max_num_f32_e64 v1, s0, s0
	s_lshl_b64 s[12:13], s[4:5], 3
	s_delay_alu instid0(SALU_CYCLE_1) | instskip(SKIP_1) | instid1(VALU_DEP_1)
	s_add_nc_u64 s[12:13], s[10:11], s[12:13]
	s_load_b64 s[12:13], s[12:13], 0x0
	v_readfirstlane_b32 s5, v1
	v_add_nc_u32_e32 v0, 0xffffff80, v0
	s_wait_kmcnt 0x0
	v_max_num_f32_e64 v1, s12, s12
	s_delay_alu instid0(VALU_DEP_1) | instskip(SKIP_1) | instid1(SALU_CYCLE_3)
	v_readfirstlane_b32 s6, v1
	s_max_num_f32 s5, s5, s6
	s_sub_f32 s0, s0, s5
	s_sub_f32 s6, s12, s5
	s_delay_alu instid0(SALU_CYCLE_2) | instskip(NEXT) | instid1(SALU_CYCLE_2)
	s_mul_f32 s12, s0, 0x3fb8aa3b
	s_mul_f32 s14, s6, 0x3fb8aa3b
	s_delay_alu instid0(SALU_CYCLE_2)
	s_xor_b32 s15, s12, 0x80000000
	s_rndne_f32 s16, s12
	s_fmamk_f32 s15, s0, 0x3fb8aa3b, s15
	s_cmp_nlt_f32 s0, 0xc2ce8ed0
	s_rndne_f32 s17, s14
	s_sub_f32 s12, s12, s16
	s_fmamk_f32 s15, s0, 0x32a5705f, s15
	s_cselect_b32 vcc_lo, -1, 0
	s_cmp_ngt_f32 s0, 0x42b17218
	s_delay_alu instid0(SALU_CYCLE_1) | instskip(SKIP_2) | instid1(SALU_CYCLE_1)
	s_add_f32 s12, s12, s15
	s_cvt_i32_f32 s15, s16
	s_sub_f32 s16, s14, s17
	v_s_exp_f32 s12, s12
	v_nop
	s_delay_alu instid0(TRANS32_DEP_1) | instskip(SKIP_1) | instid1(VALU_DEP_1)
	v_ldexp_f32 v1, s12, s15
	s_cvt_i32_f32 s12, s17
	v_cndmask_b32_e32 v1, 0, v1, vcc_lo
	s_cselect_b32 vcc_lo, -1, 0
	s_cmp_ge_f32 s0, 0xc1a00000
	s_delay_alu instid0(VALU_DEP_1)
	v_cndmask_b32_e32 v1, 0x7f800000, v1, vcc_lo
	s_cselect_b32 vcc_lo, -1, 0
	s_xor_b32 s0, s14, 0x80000000
	s_cmp_nlt_f32 s6, 0xc2ce8ed0
	s_fmamk_f32 s0, s6, 0x3fb8aa3b, s0
	v_cndmask_b32_e32 v10, 0, v1, vcc_lo
	s_delay_alu instid0(SALU_CYCLE_2) | instskip(NEXT) | instid1(SALU_CYCLE_3)
	s_fmamk_f32 s0, s6, 0x32a5705f, s0
	s_add_f32 s0, s16, s0
	s_delay_alu instid0(SALU_CYCLE_3) | instskip(SKIP_1) | instid1(TRANS32_DEP_1)
	v_s_exp_f32 s0, s0
	v_nop
	v_ldexp_f32 v6, s0, s12
	s_cselect_b32 s0, -1, 0
	s_cmp_ngt_f32 s6, 0x42b17218
	s_delay_alu instid0(VALU_DEP_1) | instskip(SKIP_2) | instid1(VALU_DEP_1)
	v_cndmask_b32_e64 v6, 0, v6, s0
	s_cselect_b32 s0, -1, 0
	s_cmp_ge_f32 s6, 0xc1a00000
	v_cndmask_b32_e64 v8, 0x7f800000, v6, s0
	s_cselect_b32 s0, -1, 0
	v_mov_b32_e32 v6, s13
	s_add_co_i32 s1, s1, -1
	s_add_co_i32 s4, s4, -2
	v_cndmask_b32_e64 v8, 0, v8, s0
	s_cmp_le_i32 s1, s7
	s_mov_b32 s0, s5
	s_wait_loadcnt 0x0
	s_delay_alu instid0(VALU_DEP_1) | instskip(NEXT) | instid1(VALU_DEP_1)
	v_pk_mul_f32 v[6:7], v[6:7], v[8:9] op_sel_hi:[1,0]
	v_pk_fma_f32 v[2:3], v[2:3], v[10:11], v[6:7] op_sel_hi:[1,0,1]
	s_cbranch_scc0 .LBB69_3
	s_branch .LBB69_5
.LBB69_4:
	s_wait_kmcnt 0x0
	v_mov_b32_e32 v2, s14
.LBB69_5:
	v_lshl_add_u64 v[0:1], v[4:5], 2, s[8:9]
	s_wait_loadcnt 0x0
	s_delay_alu instid0(VALU_DEP_2) | instskip(NEXT) | instid1(VALU_DEP_1)
	v_div_scale_f32 v4, null, v2, v2, v3
	v_rcp_f32_e32 v5, v4
	v_nop
	s_delay_alu instid0(TRANS32_DEP_1) | instskip(NEXT) | instid1(VALU_DEP_1)
	v_fma_f32 v6, -v4, v5, 1.0
	v_fmac_f32_e32 v5, v6, v5
	v_div_scale_f32 v6, vcc_lo, v3, v2, v3
	s_delay_alu instid0(VALU_DEP_1) | instskip(NEXT) | instid1(VALU_DEP_1)
	v_mul_f32_e32 v7, v6, v5
	v_fma_f32 v8, -v4, v7, v6
	s_delay_alu instid0(VALU_DEP_1) | instskip(NEXT) | instid1(VALU_DEP_1)
	v_fmac_f32_e32 v7, v8, v5
	v_fma_f32 v4, -v4, v7, v6
	s_delay_alu instid0(VALU_DEP_1) | instskip(NEXT) | instid1(VALU_DEP_1)
	v_div_fmas_f32 v4, v4, v5, v7
	v_div_fixup_f32 v2, v4, v2, v3
	global_store_b32 v[0:1], v2, off
.LBB69_6:
	s_endpgm
	.section	.rodata,"a",@progbits
	.p2align	6, 0x0
	.amdhsa_kernel _ZL33flash_attn_stream_k_fixup_uniformILi64ELi2ELi1EEvPfPK15HIP_vector_typeIfLj2EEiiiiiiS1_IjLj3EES5_S5_
		.amdhsa_group_segment_fixed_size 0
		.amdhsa_private_segment_fixed_size 0
		.amdhsa_kernarg_size 76
		.amdhsa_user_sgpr_count 2
		.amdhsa_user_sgpr_dispatch_ptr 0
		.amdhsa_user_sgpr_queue_ptr 0
		.amdhsa_user_sgpr_kernarg_segment_ptr 1
		.amdhsa_user_sgpr_dispatch_id 0
		.amdhsa_user_sgpr_kernarg_preload_length 0
		.amdhsa_user_sgpr_kernarg_preload_offset 0
		.amdhsa_user_sgpr_private_segment_size 0
		.amdhsa_wavefront_size32 1
		.amdhsa_uses_dynamic_stack 0
		.amdhsa_enable_private_segment 0
		.amdhsa_system_sgpr_workgroup_id_x 1
		.amdhsa_system_sgpr_workgroup_id_y 1
		.amdhsa_system_sgpr_workgroup_id_z 1
		.amdhsa_system_sgpr_workgroup_info 0
		.amdhsa_system_vgpr_workitem_id 0
		.amdhsa_next_free_vgpr 12
		.amdhsa_next_free_sgpr 21
		.amdhsa_named_barrier_count 0
		.amdhsa_reserve_vcc 1
		.amdhsa_float_round_mode_32 0
		.amdhsa_float_round_mode_16_64 0
		.amdhsa_float_denorm_mode_32 3
		.amdhsa_float_denorm_mode_16_64 3
		.amdhsa_fp16_overflow 0
		.amdhsa_memory_ordered 1
		.amdhsa_forward_progress 1
		.amdhsa_inst_pref_size 9
		.amdhsa_round_robin_scheduling 0
		.amdhsa_exception_fp_ieee_invalid_op 0
		.amdhsa_exception_fp_denorm_src 0
		.amdhsa_exception_fp_ieee_div_zero 0
		.amdhsa_exception_fp_ieee_overflow 0
		.amdhsa_exception_fp_ieee_underflow 0
		.amdhsa_exception_fp_ieee_inexact 0
		.amdhsa_exception_int_div_zero 0
	.end_amdhsa_kernel
	.section	.text._ZL33flash_attn_stream_k_fixup_uniformILi64ELi2ELi1EEvPfPK15HIP_vector_typeIfLj2EEiiiiiiS1_IjLj3EES5_S5_,"axG",@progbits,_ZL33flash_attn_stream_k_fixup_uniformILi64ELi2ELi1EEvPfPK15HIP_vector_typeIfLj2EEiiiiiiS1_IjLj3EES5_S5_,comdat
.Lfunc_end69:
	.size	_ZL33flash_attn_stream_k_fixup_uniformILi64ELi2ELi1EEvPfPK15HIP_vector_typeIfLj2EEiiiiiiS1_IjLj3EES5_S5_, .Lfunc_end69-_ZL33flash_attn_stream_k_fixup_uniformILi64ELi2ELi1EEvPfPK15HIP_vector_typeIfLj2EEiiiiiiS1_IjLj3EES5_S5_
                                        ; -- End function
	.set _ZL33flash_attn_stream_k_fixup_uniformILi64ELi2ELi1EEvPfPK15HIP_vector_typeIfLj2EEiiiiiiS1_IjLj3EES5_S5_.num_vgpr, 12
	.set _ZL33flash_attn_stream_k_fixup_uniformILi64ELi2ELi1EEvPfPK15HIP_vector_typeIfLj2EEiiiiiiS1_IjLj3EES5_S5_.num_agpr, 0
	.set _ZL33flash_attn_stream_k_fixup_uniformILi64ELi2ELi1EEvPfPK15HIP_vector_typeIfLj2EEiiiiiiS1_IjLj3EES5_S5_.numbered_sgpr, 21
	.set _ZL33flash_attn_stream_k_fixup_uniformILi64ELi2ELi1EEvPfPK15HIP_vector_typeIfLj2EEiiiiiiS1_IjLj3EES5_S5_.num_named_barrier, 0
	.set _ZL33flash_attn_stream_k_fixup_uniformILi64ELi2ELi1EEvPfPK15HIP_vector_typeIfLj2EEiiiiiiS1_IjLj3EES5_S5_.private_seg_size, 0
	.set _ZL33flash_attn_stream_k_fixup_uniformILi64ELi2ELi1EEvPfPK15HIP_vector_typeIfLj2EEiiiiiiS1_IjLj3EES5_S5_.uses_vcc, 1
	.set _ZL33flash_attn_stream_k_fixup_uniformILi64ELi2ELi1EEvPfPK15HIP_vector_typeIfLj2EEiiiiiiS1_IjLj3EES5_S5_.uses_flat_scratch, 0
	.set _ZL33flash_attn_stream_k_fixup_uniformILi64ELi2ELi1EEvPfPK15HIP_vector_typeIfLj2EEiiiiiiS1_IjLj3EES5_S5_.has_dyn_sized_stack, 0
	.set _ZL33flash_attn_stream_k_fixup_uniformILi64ELi2ELi1EEvPfPK15HIP_vector_typeIfLj2EEiiiiiiS1_IjLj3EES5_S5_.has_recursion, 0
	.set _ZL33flash_attn_stream_k_fixup_uniformILi64ELi2ELi1EEvPfPK15HIP_vector_typeIfLj2EEiiiiiiS1_IjLj3EES5_S5_.has_indirect_call, 0
	.section	.AMDGPU.csdata,"",@progbits
; Kernel info:
; codeLenInByte = 1080
; TotalNumSgprs: 23
; NumVgprs: 12
; ScratchSize: 0
; MemoryBound: 0
; FloatMode: 240
; IeeeMode: 1
; LDSByteSize: 0 bytes/workgroup (compile time only)
; SGPRBlocks: 0
; VGPRBlocks: 0
; NumSGPRsForWavesPerEU: 23
; NumVGPRsForWavesPerEU: 12
; NamedBarCnt: 0
; Occupancy: 16
; WaveLimiterHint : 0
; COMPUTE_PGM_RSRC2:SCRATCH_EN: 0
; COMPUTE_PGM_RSRC2:USER_SGPR: 2
; COMPUTE_PGM_RSRC2:TRAP_HANDLER: 0
; COMPUTE_PGM_RSRC2:TGID_X_EN: 1
; COMPUTE_PGM_RSRC2:TGID_Y_EN: 1
; COMPUTE_PGM_RSRC2:TGID_Z_EN: 1
; COMPUTE_PGM_RSRC2:TIDIG_COMP_CNT: 0
	.section	.text._ZL33flash_attn_stream_k_fixup_generalILi64ELi2ELi1EEvPfPK15HIP_vector_typeIfLj2EEiiiiS1_IjLj3EES5_S5_S5_,"axG",@progbits,_ZL33flash_attn_stream_k_fixup_generalILi64ELi2ELi1EEvPfPK15HIP_vector_typeIfLj2EEiiiiS1_IjLj3EES5_S5_S5_,comdat
	.globl	_ZL33flash_attn_stream_k_fixup_generalILi64ELi2ELi1EEvPfPK15HIP_vector_typeIfLj2EEiiiiS1_IjLj3EES5_S5_S5_ ; -- Begin function _ZL33flash_attn_stream_k_fixup_generalILi64ELi2ELi1EEvPfPK15HIP_vector_typeIfLj2EEiiiiS1_IjLj3EES5_S5_S5_
	.p2align	8
	.type	_ZL33flash_attn_stream_k_fixup_generalILi64ELi2ELi1EEvPfPK15HIP_vector_typeIfLj2EEiiiiS1_IjLj3EES5_S5_S5_,@function
_ZL33flash_attn_stream_k_fixup_generalILi64ELi2ELi1EEvPfPK15HIP_vector_typeIfLj2EEiiiiS1_IjLj3EES5_S5_S5_: ; @_ZL33flash_attn_stream_k_fixup_generalILi64ELi2ELi1EEvPfPK15HIP_vector_typeIfLj2EEiiiiS1_IjLj3EES5_S5_S5_
; %bb.0:
	s_clause 0x1
	s_load_b128 s[4:7], s[0:1], 0x10
	s_load_b32 s16, s[0:1], 0x50
	s_bfe_u32 s2, ttmp6, 0x4000c
	s_and_b32 s3, ttmp6, 15
	s_add_co_i32 s2, s2, 1
	s_getreg_b32 s15, hwreg(HW_REG_IB_STS2, 6, 4)
	s_mul_i32 s2, ttmp9, s2
	s_mov_b32 s17, 0
	s_add_co_i32 s3, s3, s2
	s_cmp_eq_u32 s15, 0
	s_cselect_b32 s2, ttmp9, s3
	s_delay_alu instid0(SALU_CYCLE_1) | instskip(SKIP_3) | instid1(SALU_CYCLE_1)
	s_ashr_i32 s3, s2, 31
	s_wait_kmcnt 0x0
	s_ashr_i32 s19, s7, 31
	s_mov_b32 s18, s7
	s_mul_u64 s[8:9], s[18:19], s[2:3]
	s_delay_alu instid0(SALU_CYCLE_1) | instskip(NEXT) | instid1(SALU_CYCLE_1)
	s_and_b64 s[10:11], s[8:9], 0xffffffff00000000
	s_cmp_lg_u64 s[10:11], 0
	s_cbranch_scc0 .LBB70_21
; %bb.1:
	s_add_nc_u64 s[10:11], s[16:17], 0
	s_mov_b32 s23, s17
	s_xor_b64 s[10:11], s[10:11], 0
	s_mov_b32 s27, s17
	s_cvt_f32_u32 s3, s10
	s_cvt_f32_u32 s7, s11
	s_sub_nc_u64 s[20:21], 0, s[10:11]
	s_delay_alu instid0(SALU_CYCLE_2) | instskip(NEXT) | instid1(SALU_CYCLE_3)
	s_fmamk_f32 s3, s7, 0x4f800000, s3
	v_s_rcp_f32 s3, s3
	s_delay_alu instid0(TRANS32_DEP_1) | instskip(NEXT) | instid1(SALU_CYCLE_3)
	s_mul_f32 s3, s3, 0x5f7ffffc
	s_mul_f32 s7, s3, 0x2f800000
	s_delay_alu instid0(SALU_CYCLE_3) | instskip(NEXT) | instid1(SALU_CYCLE_3)
	s_trunc_f32 s7, s7
	s_fmamk_f32 s3, s7, 0xcf800000, s3
	s_cvt_u32_f32 s13, s7
	s_delay_alu instid0(SALU_CYCLE_2) | instskip(NEXT) | instid1(SALU_CYCLE_3)
	s_cvt_u32_f32 s12, s3
	s_mul_u64 s[24:25], s[20:21], s[12:13]
	s_delay_alu instid0(SALU_CYCLE_1)
	s_mul_hi_u32 s29, s12, s25
	s_mul_i32 s28, s12, s25
	s_mul_hi_u32 s22, s12, s24
	s_mul_i32 s7, s13, s24
	s_add_nc_u64 s[22:23], s[22:23], s[28:29]
	s_mul_hi_u32 s3, s13, s24
	s_mul_hi_u32 s14, s13, s25
	s_add_co_u32 s7, s22, s7
	s_add_co_ci_u32 s26, s23, s3
	s_mul_i32 s24, s13, s25
	s_add_co_ci_u32 s25, s14, 0
	s_delay_alu instid0(SALU_CYCLE_1) | instskip(SKIP_3) | instid1(SALU_CYCLE_1)
	s_add_nc_u64 s[22:23], s[26:27], s[24:25]
	s_mov_b32 s25, s17
	s_add_co_u32 s12, s12, s22
	s_cselect_b32 s3, -1, 0
	s_cmp_lg_u32 s3, 0
	s_add_co_ci_u32 s13, s13, s23
	s_mov_b32 s23, s17
	s_mul_u64 s[20:21], s[20:21], s[12:13]
	s_delay_alu instid0(SALU_CYCLE_1)
	s_mul_hi_u32 s27, s12, s21
	s_mul_i32 s26, s12, s21
	s_mul_hi_u32 s22, s12, s20
	s_mul_i32 s7, s13, s20
	s_add_nc_u64 s[22:23], s[22:23], s[26:27]
	s_mul_hi_u32 s3, s13, s20
	s_mul_hi_u32 s14, s13, s21
	s_add_co_u32 s7, s22, s7
	s_add_co_ci_u32 s24, s23, s3
	s_mul_i32 s20, s13, s21
	s_add_co_ci_u32 s21, s14, 0
	s_mov_b32 s23, s17
	s_add_nc_u64 s[20:21], s[24:25], s[20:21]
	s_delay_alu instid0(SALU_CYCLE_1) | instskip(SKIP_1) | instid1(SALU_CYCLE_1)
	s_add_co_u32 s3, s12, s20
	s_cselect_b32 s7, -1, 0
	s_cmp_lg_u32 s7, 0
	s_add_co_ci_u32 s7, s13, s21
	s_ashr_i32 s12, s9, 31
	s_delay_alu instid0(SALU_CYCLE_1) | instskip(NEXT) | instid1(SALU_CYCLE_1)
	s_mov_b32 s13, s12
	s_add_nc_u64 s[20:21], s[8:9], s[12:13]
	s_delay_alu instid0(SALU_CYCLE_1) | instskip(NEXT) | instid1(SALU_CYCLE_1)
	s_xor_b64 s[20:21], s[20:21], s[12:13]
	s_mul_hi_u32 s27, s20, s7
	s_mul_i32 s26, s20, s7
	s_mul_hi_u32 s22, s20, s3
	s_mul_hi_u32 s14, s21, s3
	s_mul_i32 s3, s21, s3
	s_add_nc_u64 s[22:23], s[22:23], s[26:27]
	s_mul_hi_u32 s9, s21, s7
	s_add_co_u32 s3, s22, s3
	s_add_co_ci_u32 s24, s23, s14
	s_mul_i32 s26, s21, s7
	s_add_co_ci_u32 s27, s9, 0
	s_delay_alu instid0(SALU_CYCLE_1) | instskip(NEXT) | instid1(SALU_CYCLE_1)
	s_add_nc_u64 s[22:23], s[24:25], s[26:27]
	s_and_b64 s[24:25], s[22:23], 0xffffffff00000000
	s_delay_alu instid0(SALU_CYCLE_1) | instskip(NEXT) | instid1(SALU_CYCLE_1)
	s_or_b32 s24, s24, s22
	s_mul_u64 s[22:23], s[10:11], s[24:25]
	s_add_nc_u64 s[26:27], s[24:25], 1
	s_sub_co_u32 s3, s20, s22
	s_cselect_b32 s7, -1, 0
	s_sub_co_i32 s9, s21, s23
	s_cmp_lg_u32 s7, 0
	s_add_nc_u64 s[28:29], s[24:25], 2
	s_sub_co_ci_u32 s9, s9, s11
	s_sub_co_u32 s14, s3, s10
	s_cselect_b32 s20, -1, 0
	s_delay_alu instid0(SALU_CYCLE_1) | instskip(SKIP_1) | instid1(SALU_CYCLE_1)
	s_cmp_lg_u32 s20, 0
	s_sub_co_ci_u32 s9, s9, 0
	s_cmp_ge_u32 s9, s11
	s_cselect_b32 s20, -1, 0
	s_cmp_ge_u32 s14, s10
	s_cselect_b32 s14, -1, 0
	s_cmp_eq_u32 s9, s11
	s_cselect_b32 s9, s14, s20
	s_delay_alu instid0(SALU_CYCLE_1) | instskip(SKIP_4) | instid1(SALU_CYCLE_1)
	s_cmp_lg_u32 s9, 0
	s_cselect_b32 s9, s28, s26
	s_cselect_b32 s14, s29, s27
	s_cmp_lg_u32 s7, 0
	s_sub_co_ci_u32 s7, s21, s23
	s_cmp_ge_u32 s7, s11
	s_cselect_b32 s20, -1, 0
	s_cmp_ge_u32 s3, s10
	s_cselect_b32 s3, -1, 0
	s_cmp_eq_u32 s7, s11
	s_cselect_b32 s3, s3, s20
	s_delay_alu instid0(SALU_CYCLE_1) | instskip(SKIP_4) | instid1(SALU_CYCLE_1)
	s_cmp_lg_u32 s3, 0
	s_mov_b32 s3, s17
	s_cselect_b32 s11, s14, s25
	s_cselect_b32 s10, s9, s24
	s_xor_b64 s[12:13], s[12:13], 0
	s_xor_b64 s[10:11], s[10:11], s[12:13]
	s_delay_alu instid0(SALU_CYCLE_1)
	s_sub_nc_u64 s[20:21], s[10:11], s[12:13]
	s_and_not1_b32 vcc_lo, exec_lo, s3
	s_cbranch_vccnz .LBB70_3
.LBB70_2:
	v_cvt_f32_u32_e32 v1, s16
	s_sub_co_i32 s7, 0, s16
	s_mov_b32 s21, 0
	s_delay_alu instid0(VALU_DEP_1) | instskip(SKIP_1) | instid1(TRANS32_DEP_1)
	v_rcp_iflag_f32_e32 v1, v1
	v_nop
	v_mul_f32_e32 v1, 0x4f7ffffe, v1
	s_delay_alu instid0(VALU_DEP_1) | instskip(NEXT) | instid1(VALU_DEP_1)
	v_cvt_u32_f32_e32 v1, v1
	v_readfirstlane_b32 s3, v1
	s_mul_i32 s7, s7, s3
	s_delay_alu instid0(SALU_CYCLE_1) | instskip(NEXT) | instid1(SALU_CYCLE_1)
	s_mul_hi_u32 s7, s3, s7
	s_add_co_i32 s3, s3, s7
	s_delay_alu instid0(SALU_CYCLE_1) | instskip(NEXT) | instid1(SALU_CYCLE_1)
	s_mul_hi_u32 s3, s8, s3
	s_mul_i32 s7, s3, s16
	s_delay_alu instid0(SALU_CYCLE_1)
	s_sub_co_i32 s7, s8, s7
	s_add_co_i32 s8, s3, 1
	s_sub_co_i32 s9, s7, s16
	s_cmp_ge_u32 s7, s16
	s_cselect_b32 s3, s8, s3
	s_cselect_b32 s7, s9, s7
	s_add_co_i32 s8, s3, 1
	s_cmp_ge_u32 s7, s16
	s_cselect_b32 s20, s8, s3
.LBB70_3:
	s_add_co_i32 s8, s2, 1
	s_delay_alu instid0(SALU_CYCLE_1) | instskip(NEXT) | instid1(SALU_CYCLE_1)
	s_ashr_i32 s9, s8, 31
	s_mul_u64 s[8:9], s[18:19], s[8:9]
	s_delay_alu instid0(SALU_CYCLE_1) | instskip(NEXT) | instid1(SALU_CYCLE_1)
	s_and_b64 s[10:11], s[8:9], 0xffffffff00000000
	s_cmp_lg_u64 s[10:11], 0
	s_cbranch_scc0 .LBB70_22
; %bb.4:
	s_add_nc_u64 s[10:11], s[16:17], 0
	s_delay_alu instid0(SALU_CYCLE_1) | instskip(SKIP_4) | instid1(SALU_CYCLE_2)
	s_xor_b64 s[12:13], s[10:11], 0
	s_mov_b32 s11, 0
	s_cvt_f32_u32 s3, s12
	s_cvt_f32_u32 s7, s13
	s_sub_nc_u64 s[24:25], 0, s[12:13]
	s_fmamk_f32 s3, s7, 0x4f800000, s3
	s_delay_alu instid0(SALU_CYCLE_3) | instskip(NEXT) | instid1(TRANS32_DEP_1)
	v_s_rcp_f32 s3, s3
	s_mul_f32 s3, s3, 0x5f7ffffc
	s_delay_alu instid0(SALU_CYCLE_3) | instskip(NEXT) | instid1(SALU_CYCLE_3)
	s_mul_f32 s7, s3, 0x2f800000
	s_trunc_f32 s7, s7
	s_delay_alu instid0(SALU_CYCLE_3) | instskip(SKIP_1) | instid1(SALU_CYCLE_2)
	s_fmamk_f32 s3, s7, 0xcf800000, s3
	s_cvt_u32_f32 s23, s7
	s_cvt_u32_f32 s22, s3
	s_delay_alu instid0(SALU_CYCLE_3) | instskip(NEXT) | instid1(SALU_CYCLE_1)
	s_mul_u64 s[26:27], s[24:25], s[22:23]
	s_mul_hi_u32 s29, s22, s27
	s_mul_i32 s28, s22, s27
	s_mul_hi_u32 s10, s22, s26
	s_mul_i32 s7, s23, s26
	s_add_nc_u64 s[28:29], s[10:11], s[28:29]
	s_mul_hi_u32 s3, s23, s26
	s_mul_hi_u32 s14, s23, s27
	s_add_co_u32 s7, s28, s7
	s_add_co_ci_u32 s10, s29, s3
	s_mul_i32 s26, s23, s27
	s_add_co_ci_u32 s27, s14, 0
	s_delay_alu instid0(SALU_CYCLE_1) | instskip(NEXT) | instid1(SALU_CYCLE_1)
	s_add_nc_u64 s[26:27], s[10:11], s[26:27]
	s_add_co_u32 s22, s22, s26
	s_cselect_b32 s3, -1, 0
	s_delay_alu instid0(SALU_CYCLE_1) | instskip(SKIP_1) | instid1(SALU_CYCLE_1)
	s_cmp_lg_u32 s3, 0
	s_add_co_ci_u32 s23, s23, s27
	s_mul_u64 s[24:25], s[24:25], s[22:23]
	s_delay_alu instid0(SALU_CYCLE_1)
	s_mul_hi_u32 s27, s22, s25
	s_mul_i32 s26, s22, s25
	s_mul_hi_u32 s10, s22, s24
	s_mul_i32 s7, s23, s24
	s_add_nc_u64 s[26:27], s[10:11], s[26:27]
	s_mul_hi_u32 s3, s23, s24
	s_mul_hi_u32 s14, s23, s25
	s_add_co_u32 s7, s26, s7
	s_add_co_ci_u32 s10, s27, s3
	s_mul_i32 s24, s23, s25
	s_add_co_ci_u32 s25, s14, 0
	s_delay_alu instid0(SALU_CYCLE_1) | instskip(NEXT) | instid1(SALU_CYCLE_1)
	s_add_nc_u64 s[24:25], s[10:11], s[24:25]
	s_add_co_u32 s3, s22, s24
	s_cselect_b32 s7, -1, 0
	s_delay_alu instid0(SALU_CYCLE_1) | instskip(SKIP_2) | instid1(SALU_CYCLE_1)
	s_cmp_lg_u32 s7, 0
	s_add_co_ci_u32 s7, s23, s25
	s_ashr_i32 s22, s9, 31
	s_mov_b32 s23, s22
	s_delay_alu instid0(SALU_CYCLE_1) | instskip(NEXT) | instid1(SALU_CYCLE_1)
	s_add_nc_u64 s[24:25], s[8:9], s[22:23]
	s_xor_b64 s[24:25], s[24:25], s[22:23]
	s_delay_alu instid0(SALU_CYCLE_1)
	s_mul_hi_u32 s27, s24, s7
	s_mul_i32 s26, s24, s7
	s_mul_hi_u32 s10, s24, s3
	s_mul_hi_u32 s14, s25, s3
	s_mul_i32 s3, s25, s3
	s_add_nc_u64 s[26:27], s[10:11], s[26:27]
	s_mul_hi_u32 s9, s25, s7
	s_add_co_u32 s3, s26, s3
	s_add_co_ci_u32 s10, s27, s14
	s_mul_i32 s28, s25, s7
	s_add_co_ci_u32 s29, s9, 0
	s_delay_alu instid0(SALU_CYCLE_1) | instskip(NEXT) | instid1(SALU_CYCLE_1)
	s_add_nc_u64 s[26:27], s[10:11], s[28:29]
	s_and_b64 s[28:29], s[26:27], 0xffffffff00000000
	s_delay_alu instid0(SALU_CYCLE_1) | instskip(NEXT) | instid1(SALU_CYCLE_1)
	s_or_b32 s28, s28, s26
	s_mul_u64 s[26:27], s[12:13], s[28:29]
	s_add_nc_u64 s[30:31], s[28:29], 1
	s_sub_co_u32 s3, s24, s26
	s_cselect_b32 s7, -1, 0
	s_sub_co_i32 s9, s25, s27
	s_cmp_lg_u32 s7, 0
	s_add_nc_u64 s[34:35], s[28:29], 2
	s_sub_co_ci_u32 s9, s9, s13
	s_sub_co_u32 s10, s3, s12
	s_cselect_b32 s14, -1, 0
	s_delay_alu instid0(SALU_CYCLE_1) | instskip(SKIP_1) | instid1(SALU_CYCLE_1)
	s_cmp_lg_u32 s14, 0
	s_sub_co_ci_u32 s9, s9, 0
	s_cmp_ge_u32 s9, s13
	s_cselect_b32 s14, -1, 0
	s_cmp_ge_u32 s10, s12
	s_cselect_b32 s10, -1, 0
	s_cmp_eq_u32 s9, s13
	s_cselect_b32 s9, s10, s14
	s_delay_alu instid0(SALU_CYCLE_1) | instskip(SKIP_4) | instid1(SALU_CYCLE_1)
	s_cmp_lg_u32 s9, 0
	s_cselect_b32 s9, s34, s30
	s_cselect_b32 s10, s35, s31
	s_cmp_lg_u32 s7, 0
	s_sub_co_ci_u32 s7, s25, s27
	s_cmp_ge_u32 s7, s13
	s_cselect_b32 s14, -1, 0
	s_cmp_ge_u32 s3, s12
	s_cselect_b32 s3, -1, 0
	s_cmp_eq_u32 s7, s13
	s_cselect_b32 s3, s3, s14
	s_delay_alu instid0(SALU_CYCLE_1) | instskip(SKIP_3) | instid1(SALU_CYCLE_1)
	s_cmp_lg_u32 s3, 0
	s_cselect_b32 s13, s10, s29
	s_cselect_b32 s12, s9, s28
	s_xor_b64 s[22:23], s[22:23], 0
	s_xor_b64 s[12:13], s[12:13], s[22:23]
	s_delay_alu instid0(SALU_CYCLE_1)
	s_sub_nc_u64 s[24:25], s[12:13], s[22:23]
	s_load_b96 s[12:14], s[0:1], 0x44
	s_cbranch_execnz .LBB70_6
.LBB70_5:
	v_cvt_f32_u32_e32 v1, s16
	s_sub_co_i32 s7, 0, s16
	s_delay_alu instid0(VALU_DEP_1) | instskip(SKIP_1) | instid1(TRANS32_DEP_1)
	v_rcp_iflag_f32_e32 v1, v1
	v_nop
	v_mul_f32_e32 v1, 0x4f7ffffe, v1
	s_delay_alu instid0(VALU_DEP_1) | instskip(NEXT) | instid1(VALU_DEP_1)
	v_cvt_u32_f32_e32 v1, v1
	v_readfirstlane_b32 s3, v1
	s_mul_i32 s7, s7, s3
	s_delay_alu instid0(SALU_CYCLE_1) | instskip(NEXT) | instid1(SALU_CYCLE_1)
	s_mul_hi_u32 s7, s3, s7
	s_add_co_i32 s3, s3, s7
	s_delay_alu instid0(SALU_CYCLE_1) | instskip(NEXT) | instid1(SALU_CYCLE_1)
	s_mul_hi_u32 s3, s8, s3
	s_mul_i32 s7, s3, s16
	s_delay_alu instid0(SALU_CYCLE_1)
	s_sub_co_i32 s7, s8, s7
	s_add_co_i32 s8, s3, 1
	s_sub_co_i32 s9, s7, s16
	s_cmp_ge_u32 s7, s16
	s_cselect_b32 s3, s8, s3
	s_cselect_b32 s7, s9, s7
	s_add_co_i32 s8, s3, 1
	s_cmp_ge_u32 s7, s16
	s_cselect_b32 s24, s8, s3
.LBB70_6:
	s_delay_alu instid0(SALU_CYCLE_1)
	s_cmp_eq_u32 s20, s24
	s_mov_b64 s[8:9], 0xffffffff
	s_cselect_b32 s3, -1, 0
	s_and_b64 s[8:9], s[20:21], s[8:9]
	s_mov_b32 s23, 0
	s_wait_kmcnt 0x0
	s_mov_b32 s22, s12
	s_mov_b32 s25, s23
	s_mul_u64 s[10:11], s[8:9], s[22:23]
	s_delay_alu instid0(SALU_CYCLE_1) | instskip(SKIP_2) | instid1(SALU_CYCLE_1)
	s_add_co_i32 s7, s11, s20
	s_mul_u64 s[10:11], s[24:25], s[22:23]
	s_lshr_b32 s12, s7, s13
	s_mul_i32 s7, s12, s14
	s_delay_alu instid0(SALU_CYCLE_1) | instskip(SKIP_2) | instid1(SALU_CYCLE_1)
	s_cmp_eq_u32 s7, s20
	s_cselect_b32 s7, -1, 0
	s_add_co_i32 s10, s11, s24
	s_lshr_b32 s10, s10, s13
	s_delay_alu instid0(SALU_CYCLE_1)
	s_cmp_eq_u32 s12, s10
	s_mul_i32 s10, s10, s14
	s_cselect_b32 s11, -1, 0
	s_cmp_lg_u32 s10, s24
	s_cselect_b32 s10, -1, 0
	s_or_b32 s3, s3, s7
	s_and_b32 s10, s11, s10
	s_delay_alu instid0(SALU_CYCLE_1) | instskip(NEXT) | instid1(SALU_CYCLE_1)
	s_or_b32 s3, s3, s10
	s_and_b32 vcc_lo, exec_lo, s3
	s_cbranch_vccnz .LBB70_24
; %bb.7:
	s_load_b256 s[24:31], s[0:1], 0x20
	s_bfe_u32 s7, ttmp6, 0x40014
	s_bfe_u32 s33, ttmp6, 0x40010
	s_lshr_b32 s3, ttmp7, 16
	s_add_co_i32 s7, s7, 1
	s_and_b32 s21, ttmp7, 0xffff
	s_add_co_i32 s33, s33, 1
	s_bfe_u32 s10, ttmp6, 0x40008
	s_mul_i32 s7, s3, s7
	s_bfe_u32 s34, ttmp6, 0x40004
	s_mul_i32 s33, s21, s33
	s_mov_b32 s11, s23
	s_add_co_i32 s7, s10, s7
	s_add_co_i32 s34, s34, s33
	s_cmp_eq_u32 s15, 0
	s_cselect_b32 s15, s21, s34
	s_cselect_b32 s3, s3, s7
	s_wait_kmcnt 0x0
	s_mov_b32 s10, s24
	s_delay_alu instid0(SALU_CYCLE_1) | instskip(SKIP_2) | instid1(SALU_CYCLE_1)
	s_mul_u64 s[8:9], s[8:9], s[10:11]
	s_load_b32 s8, s[0:1], 0x40
	s_add_co_i32 s7, s9, s20
	s_lshr_b32 s7, s7, s25
	s_delay_alu instid0(SALU_CYCLE_1) | instskip(NEXT) | instid1(SALU_CYCLE_1)
	s_mul_i32 s9, s7, s26
	s_sub_co_i32 s9, s20, s9
	s_delay_alu instid0(SALU_CYCLE_1) | instskip(NEXT) | instid1(SALU_CYCLE_1)
	s_mul_hi_u32 s10, s9, s27
	s_add_co_i32 s10, s9, s10
	s_delay_alu instid0(SALU_CYCLE_1) | instskip(NEXT) | instid1(SALU_CYCLE_1)
	s_lshr_b32 s21, s10, s28
	s_mul_i32 s10, s21, s29
	s_delay_alu instid0(SALU_CYCLE_1) | instskip(NEXT) | instid1(SALU_CYCLE_1)
	s_sub_co_i32 s10, s9, s10
	s_mul_hi_u32 s9, s10, s30
	s_delay_alu instid0(SALU_CYCLE_1) | instskip(NEXT) | instid1(SALU_CYCLE_1)
	s_add_co_i32 s9, s10, s9
	s_lshr_b32 s24, s9, s31
	s_mov_b32 s9, s23
	s_wait_kmcnt 0x0
	s_mul_i32 s8, s24, s8
	s_delay_alu instid0(SALU_CYCLE_1) | instskip(NEXT) | instid1(SALU_CYCLE_1)
	s_sub_co_i32 s8, s10, s8
	s_mul_u64 s[10:11], s[8:9], s[22:23]
	s_delay_alu instid0(SALU_CYCLE_1) | instskip(NEXT) | instid1(SALU_CYCLE_1)
	s_add_co_i32 s8, s8, s11
	s_lshr_b32 s25, s8, s13
	s_delay_alu instid0(SALU_CYCLE_1) | instskip(NEXT) | instid1(SALU_CYCLE_1)
	s_lshl_b32 s8, s25, 1
	s_add_co_i32 s8, s8, s15
	s_delay_alu instid0(SALU_CYCLE_1) | instskip(SKIP_2) | instid1(SALU_CYCLE_1)
	s_cmp_lt_i32 s8, s4
	s_cselect_b32 s8, -1, 0
	s_add_co_i32 s9, s24, s3
	s_cmp_lt_i32 s9, s6
	s_cselect_b32 s9, -1, 0
	s_delay_alu instid0(SALU_CYCLE_1) | instskip(NEXT) | instid1(SALU_CYCLE_1)
	s_and_b32 s8, s8, s9
	s_and_not1_b32 vcc_lo, exec_lo, s8
	s_cbranch_vccnz .LBB70_24
; %bb.8:
	s_mul_i32 s4, s7, s4
	s_load_b128 s[8:11], s[0:1], 0x0
	s_wait_xcnt 0x0
	s_add_co_i32 s0, s4, s15
	s_mul_i32 s21, s21, s6
	s_mul_i32 s0, s0, s5
	s_mul_i32 s1, s5, s25
	s_add_co_i32 s0, s0, s3
	s_lshl_b32 s1, s1, 7
	s_add_co_i32 s0, s0, s21
	s_add_co_i32 s15, s15, s3
	s_add_co_i32 s0, s0, s24
	v_lshl_or_b32 v6, s15, 6, v0
	s_lshl_b32 s0, s0, 6
	v_cvt_f32_u32_e32 v4, s16
	s_add_co_i32 s1, s1, s0
	s_lshl_b32 s24, s16, 3
	v_or_b32_e32 v2, s1, v0
	s_add_nc_u64 s[0:1], s[16:17], 0
	v_rcp_iflag_f32_e32 v4, v4
	s_xor_b64 s[6:7], s[0:1], 0
	s_lshl_b32 s0, s2, 1
	s_cvt_f32_u32 s3, s6
	s_add_co_i32 s0, s0, s15
	s_cvt_f32_u32 s4, s7
	s_ashr_i32 s1, s0, 31
	s_mov_b32 s25, 0
	s_lshl_b64 s[0:1], s[0:1], 3
	s_fmamk_f32 s3, s4, 0x4f800000, s3
	s_wait_kmcnt 0x0
	s_add_nc_u64 s[0:1], s[10:11], s[0:1]
	s_add_co_i32 s36, s2, -1
	s_load_b64 s[28:29], s[0:1], 0x0
	v_s_rcp_f32 s3, s3
	s_wait_xcnt 0x0
	s_lshl_b64 s[0:1], s[24:25], 2
	s_sub_nc_u64 s[34:35], 0, s[6:7]
	s_add_nc_u64 s[26:27], s[10:11], s[0:1]
	v_mul_f32_e32 v4, 0x4f7ffffe, v4
	s_delay_alu instid0(TRANS32_DEP_1) | instskip(NEXT) | instid1(VALU_DEP_1)
	s_mul_f32 s3, s3, 0x5f7ffffc
	v_cvt_u32_f32_e32 v7, v4
	s_delay_alu instid0(SALU_CYCLE_2) | instskip(NEXT) | instid1(SALU_CYCLE_3)
	s_mul_f32 s4, s3, 0x2f800000
	s_trunc_f32 s4, s4
	s_wait_kmcnt 0x0
	v_mov_b32_e32 v0, s29
	global_load_b32 v1, v2, s[8:9] scale_offset
	v_ashrrev_i32_e32 v3, 31, v2
	s_fmamk_f32 s0, s4, 0xcf800000, s3
	s_cvt_u32_f32 s31, s4
	s_wait_xcnt 0x0
	s_delay_alu instid0(VALU_DEP_1)
	v_lshl_add_u64 v[2:3], v[2:3], 2, s[8:9]
	s_cvt_u32_f32 s30, s0
	s_mov_b64 s[8:9], 0xffffffff
.LBB70_9:                               ; =>This Inner Loop Header: Depth=1
	s_ashr_i32 s37, s36, 31
                                        ; implicit-def: $sgpr40_sgpr41
	s_delay_alu instid0(SALU_CYCLE_1) | instskip(NEXT) | instid1(SALU_CYCLE_1)
	s_mul_u64 s[0:1], s[36:37], s[18:19]
	s_and_b64 s[2:3], s[0:1], 0xffffffff00000000
	s_delay_alu instid0(SALU_CYCLE_1)
	s_cmp_lg_u64 s[2:3], 0
	s_mov_b32 s2, -1
	s_cbranch_scc0 .LBB70_11
; %bb.10:                               ;   in Loop: Header=BB70_9 Depth=1
	s_mul_u64 s[2:3], s[34:35], s[30:31]
	s_delay_alu instid0(SALU_CYCLE_1)
	s_mul_hi_u32 s5, s30, s3
	s_mul_i32 s4, s30, s3
	s_mul_hi_u32 s24, s30, s2
	s_mul_hi_u32 s17, s31, s2
	s_add_nc_u64 s[4:5], s[24:25], s[4:5]
	s_mul_i32 s2, s31, s2
	s_mul_hi_u32 s21, s31, s3
	s_add_co_u32 s2, s4, s2
	s_add_co_ci_u32 s24, s5, s17
	s_add_co_ci_u32 s5, s21, 0
	s_mul_i32 s4, s31, s3
	s_delay_alu instid0(SALU_CYCLE_1) | instskip(NEXT) | instid1(SALU_CYCLE_1)
	s_add_nc_u64 s[2:3], s[24:25], s[4:5]
	s_add_co_u32 s2, s30, s2
	s_cselect_b32 s4, -1, 0
	s_delay_alu instid0(SALU_CYCLE_1) | instskip(SKIP_1) | instid1(SALU_CYCLE_1)
	s_cmp_lg_u32 s4, 0
	s_add_co_ci_u32 s3, s31, s3
	s_mul_u64 s[4:5], s[34:35], s[2:3]
	s_delay_alu instid0(SALU_CYCLE_1)
	s_mul_hi_u32 s39, s2, s5
	s_mul_i32 s38, s2, s5
	s_mul_hi_u32 s24, s2, s4
	s_mul_hi_u32 s17, s3, s4
	s_mul_i32 s4, s3, s4
	s_add_nc_u64 s[38:39], s[24:25], s[38:39]
	s_mul_hi_u32 s21, s3, s5
	s_add_co_u32 s4, s38, s4
	s_add_co_ci_u32 s24, s39, s17
	s_mul_i32 s4, s3, s5
	s_add_co_ci_u32 s5, s21, 0
	s_delay_alu instid0(SALU_CYCLE_1) | instskip(NEXT) | instid1(SALU_CYCLE_1)
	s_add_nc_u64 s[4:5], s[24:25], s[4:5]
	s_add_co_u32 s17, s2, s4
	s_cselect_b32 s2, -1, 0
	s_delay_alu instid0(SALU_CYCLE_1) | instskip(SKIP_2) | instid1(SALU_CYCLE_1)
	s_cmp_lg_u32 s2, 0
	s_add_co_ci_u32 s21, s3, s5
	s_ashr_i32 s2, s1, 31
	s_mov_b32 s3, s2
	s_delay_alu instid0(SALU_CYCLE_1) | instskip(NEXT) | instid1(SALU_CYCLE_1)
	s_add_nc_u64 s[4:5], s[0:1], s[2:3]
	s_xor_b64 s[4:5], s[4:5], s[2:3]
	s_delay_alu instid0(SALU_CYCLE_1)
	s_mul_hi_u32 s39, s4, s21
	s_mul_i32 s38, s4, s21
	s_mul_hi_u32 s24, s4, s17
	s_mul_hi_u32 s29, s5, s17
	s_mul_i32 s17, s5, s17
	s_add_nc_u64 s[38:39], s[24:25], s[38:39]
	s_mul_hi_u32 s1, s5, s21
	s_add_co_u32 s17, s38, s17
	s_add_co_ci_u32 s24, s39, s29
	s_mul_i32 s40, s5, s21
	s_add_co_ci_u32 s41, s1, 0
	s_delay_alu instid0(SALU_CYCLE_1) | instskip(NEXT) | instid1(SALU_CYCLE_1)
	s_add_nc_u64 s[38:39], s[24:25], s[40:41]
	s_and_b64 s[40:41], s[38:39], 0xffffffff00000000
	s_delay_alu instid0(SALU_CYCLE_1) | instskip(NEXT) | instid1(SALU_CYCLE_1)
	s_or_b32 s40, s40, s38
	s_mul_u64 s[38:39], s[6:7], s[40:41]
	s_add_nc_u64 s[42:43], s[40:41], 1
	s_sub_co_u32 s1, s4, s38
	s_cselect_b32 s4, -1, 0
	s_sub_co_i32 s17, s5, s39
	s_cmp_lg_u32 s4, 0
	s_add_nc_u64 s[44:45], s[40:41], 2
	s_sub_co_ci_u32 s17, s17, s7
	s_sub_co_u32 s21, s1, s6
	s_cselect_b32 s24, -1, 0
	s_delay_alu instid0(SALU_CYCLE_1) | instskip(SKIP_1) | instid1(SALU_CYCLE_1)
	s_cmp_lg_u32 s24, 0
	s_sub_co_ci_u32 s17, s17, 0
	s_cmp_ge_u32 s17, s7
	s_cselect_b32 s24, -1, 0
	s_cmp_ge_u32 s21, s6
	s_cselect_b32 s21, -1, 0
	s_cmp_eq_u32 s17, s7
	s_cselect_b32 s17, s21, s24
	s_delay_alu instid0(SALU_CYCLE_1) | instskip(SKIP_4) | instid1(SALU_CYCLE_1)
	s_cmp_lg_u32 s17, 0
	s_cselect_b32 s17, s44, s42
	s_cselect_b32 s21, s45, s43
	s_cmp_lg_u32 s4, 0
	s_sub_co_ci_u32 s4, s5, s39
	s_cmp_ge_u32 s4, s7
	s_cselect_b32 s5, -1, 0
	s_cmp_ge_u32 s1, s6
	s_cselect_b32 s1, -1, 0
	s_cmp_eq_u32 s4, s7
	s_cselect_b32 s1, s1, s5
	s_delay_alu instid0(SALU_CYCLE_1) | instskip(SKIP_3) | instid1(SALU_CYCLE_1)
	s_cmp_lg_u32 s1, 0
	s_cselect_b32 s5, s21, s41
	s_cselect_b32 s4, s17, s40
	s_xor_b64 s[2:3], s[2:3], 0
	s_xor_b64 s[4:5], s[4:5], s[2:3]
	s_delay_alu instid0(SALU_CYCLE_1)
	s_sub_nc_u64 s[40:41], s[4:5], s[2:3]
	s_mov_b32 s2, 0
.LBB70_11:                              ;   in Loop: Header=BB70_9 Depth=1
	s_delay_alu instid0(SALU_CYCLE_1)
	s_and_not1_b32 vcc_lo, exec_lo, s2
	s_cbranch_vccnz .LBB70_13
; %bb.12:                               ;   in Loop: Header=BB70_9 Depth=1
	v_readfirstlane_b32 s1, v7
	s_sub_co_i32 s2, 0, s16
	s_delay_alu instid0(SALU_CYCLE_1) | instskip(NEXT) | instid1(SALU_CYCLE_1)
	s_mul_i32 s2, s2, s1
	s_mul_hi_u32 s2, s1, s2
	s_delay_alu instid0(SALU_CYCLE_1) | instskip(NEXT) | instid1(SALU_CYCLE_1)
	s_add_co_i32 s1, s1, s2
	s_mul_hi_u32 s1, s0, s1
	s_delay_alu instid0(SALU_CYCLE_1) | instskip(NEXT) | instid1(SALU_CYCLE_1)
	s_mul_i32 s2, s1, s16
	s_sub_co_i32 s0, s0, s2
	s_add_co_i32 s2, s1, 1
	s_sub_co_i32 s3, s0, s16
	s_cmp_ge_u32 s0, s16
	s_cselect_b32 s1, s2, s1
	s_cselect_b32 s0, s3, s0
	s_add_co_i32 s2, s1, 1
	s_cmp_ge_u32 s0, s16
	s_cselect_b32 s24, s2, s1
	s_delay_alu instid0(SALU_CYCLE_1)
	s_mov_b64 s[40:41], s[24:25]
.LBB70_13:                              ;   in Loop: Header=BB70_9 Depth=1
	s_delay_alu instid0(SALU_CYCLE_1)
	s_cmp_lg_u32 s20, s40
	s_mov_b32 s0, -1
                                        ; implicit-def: $vgpr4_vgpr5
                                        ; implicit-def: $sgpr24
                                        ; implicit-def: $sgpr17
                                        ; implicit-def: $sgpr21
                                        ; implicit-def: $sgpr29
	s_cbranch_scc0 .LBB70_18
; %bb.14:                               ;   in Loop: Header=BB70_9 Depth=1
	s_add_co_i32 s0, s36, s16
	v_max_num_f32_e64 v4, s28, s28
	s_lshl_b32 s0, s0, 1
	s_mov_b32 s29, s20
	s_add_co_i32 s0, s0, s15
	s_load_b64 s[38:39], s[10:11], s0 offset:0x0 scale_offset
	s_wait_xcnt 0x0
	v_readfirstlane_b32 s0, v4
	s_wait_kmcnt 0x0
	v_max_num_f32_e64 v5, s38, s38
	s_delay_alu instid0(VALU_DEP_1) | instskip(SKIP_1) | instid1(SALU_CYCLE_3)
	v_readfirstlane_b32 s1, v5
	s_max_num_f32 s17, s0, s1
	s_sub_f32 s33, s28, s17
	s_sub_f32 s37, s38, s17
	s_delay_alu instid0(SALU_CYCLE_2)
	s_cmp_nlt_f32 s33, 0xc2ce8ed0
	s_cselect_b32 s1, -1, 0
	s_cmp_ngt_f32 s33, 0x42b17218
	s_cselect_b32 s2, -1, 0
	s_cmp_ge_f32 s33, 0xc1a00000
	s_cselect_b32 s0, -1, 0
	s_cmp_nlt_f32 s37, 0xc2ce8ed0
	s_cselect_b32 s3, -1, 0
	s_cmp_ngt_f32 s37, 0x42b17218
	s_cselect_b32 s4, -1, 0
	s_cmp_ge_f32 s37, 0xc1a00000
	s_cselect_b32 s5, -1, 0
	s_and_b64 s[42:43], s[40:41], s[8:9]
	s_delay_alu instid0(SALU_CYCLE_1) | instskip(NEXT) | instid1(SALU_CYCLE_1)
	s_mul_u64 s[42:43], s[42:43], s[22:23]
	s_add_co_i32 s21, s43, s40
	s_delay_alu instid0(SALU_CYCLE_1) | instskip(NEXT) | instid1(SALU_CYCLE_1)
	s_lshr_b32 s21, s21, s13
	s_mul_i32 s24, s21, s14
	s_delay_alu instid0(SALU_CYCLE_1) | instskip(SKIP_3) | instid1(SALU_CYCLE_1)
	s_cmp_eq_u32 s24, s40
	s_cselect_b32 s24, -1, 0
	s_cmp_lt_u32 s21, s12
	s_cselect_b32 s21, -1, 0
	s_or_b32 s21, s21, s24
	s_mov_b32 s24, -1
	s_and_b32 vcc_lo, exec_lo, s21
	s_mov_b32 s21, s36
	s_cbranch_vccnz .LBB70_16
; %bb.15:                               ;   in Loop: Header=BB70_9 Depth=1
	s_add_co_i32 s21, s36, -1
	s_mov_b32 s24, 0
	s_mov_b32 s29, s40
.LBB70_16:                              ;   in Loop: Header=BB70_9 Depth=1
	v_lshl_add_u32 v4, s36, 7, v6
	s_mul_f32 s40, s33, 0x3fb8aa3b
	s_mul_f32 s38, s37, 0x3fb8aa3b
	s_delay_alu instid0(SALU_CYCLE_2)
	s_xor_b32 s42, s40, 0x80000000
	global_load_b32 v5, v4, s[26:27] scale_offset
	s_fmamk_f32 s42, s33, 0x3fb8aa3b, s42
	s_rndne_f32 s44, s40
	s_xor_b32 s41, s38, 0x80000000
	s_rndne_f32 s43, s38
	s_fmamk_f32 s33, s33, 0x32a5705f, s42
	s_sub_f32 s40, s40, s44
	s_fmamk_f32 s41, s37, 0x3fb8aa3b, s41
	s_sub_f32 s38, s38, s43
	s_delay_alu instid0(SALU_CYCLE_1) | instskip(NEXT) | instid1(SALU_CYCLE_1)
	s_add_f32 s33, s40, s33
	s_fmamk_f32 s37, s37, 0x32a5705f, s41
	s_cvt_i32_f32 s40, s44
	s_delay_alu instid0(SALU_CYCLE_1) | instskip(NEXT) | instid1(SALU_CYCLE_1)
	v_s_exp_f32 s33, s33
	s_add_f32 s37, s38, s37
	s_cvt_i32_f32 s38, s43
	s_delay_alu instid0(SALU_CYCLE_2) | instskip(NEXT) | instid1(TRANS32_DEP_2)
	v_s_exp_f32 s37, s37
	v_ldexp_f32 v8, s33, s40
	s_wait_xcnt 0x0
	s_delay_alu instid0(TRANS32_DEP_1) | instskip(NEXT) | instid1(VALU_DEP_2)
	v_ldexp_f32 v4, s37, s38
	v_cndmask_b32_e64 v8, 0, v8, s1
	s_delay_alu instid0(VALU_DEP_1) | instskip(NEXT) | instid1(VALU_DEP_1)
	v_cndmask_b32_e64 v9, 0x7f800000, v8, s2
	v_dual_cndmask_b32 v4, 0, v4, s3 :: v_dual_cndmask_b32 v10, 0, v9, s0
	s_delay_alu instid0(VALU_DEP_1) | instskip(NEXT) | instid1(VALU_DEP_1)
	v_cndmask_b32_e64 v4, 0x7f800000, v4, s4
	v_dual_cndmask_b32 v8, 0, v4, s5 :: v_dual_mov_b32 v4, s39
	s_wait_loadcnt 0x0
	s_delay_alu instid0(VALU_DEP_1) | instskip(NEXT) | instid1(VALU_DEP_1)
	v_pk_mul_f32 v[4:5], v[4:5], v[8:9] op_sel_hi:[1,0]
	v_pk_fma_f32 v[4:5], v[0:1], v[10:11], v[4:5] op_sel_hi:[1,0,1]
	s_cbranch_execz .LBB70_19
.LBB70_17:                              ;   in Loop: Header=BB70_9 Depth=1
	s_and_not1_b32 vcc_lo, exec_lo, s24
	s_cbranch_vccnz .LBB70_20
	s_branch .LBB70_23
.LBB70_18:                              ;   in Loop: Header=BB70_9 Depth=1
	s_and_not1_b32 vcc_lo, exec_lo, s0
	s_cbranch_vccnz .LBB70_17
.LBB70_19:                              ;   in Loop: Header=BB70_9 Depth=1
	s_wait_loadcnt 0x0
	v_mov_b64_e32 v[4:5], v[0:1]
	s_add_co_i32 s21, s36, -1
	s_mov_b32 s29, s20
	s_mov_b32 s17, s28
	s_cbranch_execz .LBB70_23
.LBB70_20:                              ;   in Loop: Header=BB70_9 Depth=1
	s_wait_loadcnt 0x0
	s_delay_alu instid0(VALU_DEP_1)
	v_mov_b64_e32 v[0:1], v[4:5]
	s_mov_b32 s20, s29
	s_mov_b32 s36, s21
	;; [unrolled: 1-line block ×3, first 2 shown]
	s_branch .LBB70_9
.LBB70_21:
                                        ; implicit-def: $sgpr20_sgpr21
	s_branch .LBB70_2
.LBB70_22:
                                        ; implicit-def: $sgpr24_sgpr25
	s_load_b96 s[12:14], s[0:1], 0x44
	s_branch .LBB70_5
.LBB70_23:
	s_delay_alu instid0(VALU_DEP_1) | instskip(SKIP_1) | instid1(VALU_DEP_1)
	v_div_scale_f32 v0, null, v4, v4, v5
	s_wait_loadcnt 0x0
	v_rcp_f32_e32 v1, v0
	v_nop
	s_delay_alu instid0(TRANS32_DEP_1) | instskip(NEXT) | instid1(VALU_DEP_1)
	v_fma_f32 v6, -v0, v1, 1.0
	v_fmac_f32_e32 v1, v6, v1
	v_div_scale_f32 v6, vcc_lo, v5, v4, v5
	s_delay_alu instid0(VALU_DEP_1) | instskip(NEXT) | instid1(VALU_DEP_1)
	v_mul_f32_e32 v7, v6, v1
	v_fma_f32 v8, -v0, v7, v6
	s_delay_alu instid0(VALU_DEP_1) | instskip(NEXT) | instid1(VALU_DEP_1)
	v_fmac_f32_e32 v7, v8, v1
	v_fma_f32 v0, -v0, v7, v6
	s_delay_alu instid0(VALU_DEP_1) | instskip(NEXT) | instid1(VALU_DEP_1)
	v_div_fmas_f32 v0, v0, v1, v7
	v_div_fixup_f32 v0, v0, v4, v5
	global_store_b32 v[2:3], v0, off
.LBB70_24:
	s_endpgm
	.section	.rodata,"a",@progbits
	.p2align	6, 0x0
	.amdhsa_kernel _ZL33flash_attn_stream_k_fixup_generalILi64ELi2ELi1EEvPfPK15HIP_vector_typeIfLj2EEiiiiS1_IjLj3EES5_S5_S5_
		.amdhsa_group_segment_fixed_size 0
		.amdhsa_private_segment_fixed_size 0
		.amdhsa_kernarg_size 336
		.amdhsa_user_sgpr_count 2
		.amdhsa_user_sgpr_dispatch_ptr 0
		.amdhsa_user_sgpr_queue_ptr 0
		.amdhsa_user_sgpr_kernarg_segment_ptr 1
		.amdhsa_user_sgpr_dispatch_id 0
		.amdhsa_user_sgpr_kernarg_preload_length 0
		.amdhsa_user_sgpr_kernarg_preload_offset 0
		.amdhsa_user_sgpr_private_segment_size 0
		.amdhsa_wavefront_size32 1
		.amdhsa_uses_dynamic_stack 0
		.amdhsa_enable_private_segment 0
		.amdhsa_system_sgpr_workgroup_id_x 1
		.amdhsa_system_sgpr_workgroup_id_y 1
		.amdhsa_system_sgpr_workgroup_id_z 1
		.amdhsa_system_sgpr_workgroup_info 0
		.amdhsa_system_vgpr_workitem_id 0
		.amdhsa_next_free_vgpr 12
		.amdhsa_next_free_sgpr 46
		.amdhsa_named_barrier_count 0
		.amdhsa_reserve_vcc 1
		.amdhsa_float_round_mode_32 0
		.amdhsa_float_round_mode_16_64 0
		.amdhsa_float_denorm_mode_32 3
		.amdhsa_float_denorm_mode_16_64 3
		.amdhsa_fp16_overflow 0
		.amdhsa_memory_ordered 1
		.amdhsa_forward_progress 1
		.amdhsa_inst_pref_size 27
		.amdhsa_round_robin_scheduling 0
		.amdhsa_exception_fp_ieee_invalid_op 0
		.amdhsa_exception_fp_denorm_src 0
		.amdhsa_exception_fp_ieee_div_zero 0
		.amdhsa_exception_fp_ieee_overflow 0
		.amdhsa_exception_fp_ieee_underflow 0
		.amdhsa_exception_fp_ieee_inexact 0
		.amdhsa_exception_int_div_zero 0
	.end_amdhsa_kernel
	.section	.text._ZL33flash_attn_stream_k_fixup_generalILi64ELi2ELi1EEvPfPK15HIP_vector_typeIfLj2EEiiiiS1_IjLj3EES5_S5_S5_,"axG",@progbits,_ZL33flash_attn_stream_k_fixup_generalILi64ELi2ELi1EEvPfPK15HIP_vector_typeIfLj2EEiiiiS1_IjLj3EES5_S5_S5_,comdat
.Lfunc_end70:
	.size	_ZL33flash_attn_stream_k_fixup_generalILi64ELi2ELi1EEvPfPK15HIP_vector_typeIfLj2EEiiiiS1_IjLj3EES5_S5_S5_, .Lfunc_end70-_ZL33flash_attn_stream_k_fixup_generalILi64ELi2ELi1EEvPfPK15HIP_vector_typeIfLj2EEiiiiS1_IjLj3EES5_S5_S5_
                                        ; -- End function
	.set _ZL33flash_attn_stream_k_fixup_generalILi64ELi2ELi1EEvPfPK15HIP_vector_typeIfLj2EEiiiiS1_IjLj3EES5_S5_S5_.num_vgpr, 12
	.set _ZL33flash_attn_stream_k_fixup_generalILi64ELi2ELi1EEvPfPK15HIP_vector_typeIfLj2EEiiiiS1_IjLj3EES5_S5_S5_.num_agpr, 0
	.set _ZL33flash_attn_stream_k_fixup_generalILi64ELi2ELi1EEvPfPK15HIP_vector_typeIfLj2EEiiiiS1_IjLj3EES5_S5_S5_.numbered_sgpr, 46
	.set _ZL33flash_attn_stream_k_fixup_generalILi64ELi2ELi1EEvPfPK15HIP_vector_typeIfLj2EEiiiiS1_IjLj3EES5_S5_S5_.num_named_barrier, 0
	.set _ZL33flash_attn_stream_k_fixup_generalILi64ELi2ELi1EEvPfPK15HIP_vector_typeIfLj2EEiiiiS1_IjLj3EES5_S5_S5_.private_seg_size, 0
	.set _ZL33flash_attn_stream_k_fixup_generalILi64ELi2ELi1EEvPfPK15HIP_vector_typeIfLj2EEiiiiS1_IjLj3EES5_S5_S5_.uses_vcc, 1
	.set _ZL33flash_attn_stream_k_fixup_generalILi64ELi2ELi1EEvPfPK15HIP_vector_typeIfLj2EEiiiiS1_IjLj3EES5_S5_S5_.uses_flat_scratch, 0
	.set _ZL33flash_attn_stream_k_fixup_generalILi64ELi2ELi1EEvPfPK15HIP_vector_typeIfLj2EEiiiiS1_IjLj3EES5_S5_S5_.has_dyn_sized_stack, 0
	.set _ZL33flash_attn_stream_k_fixup_generalILi64ELi2ELi1EEvPfPK15HIP_vector_typeIfLj2EEiiiiS1_IjLj3EES5_S5_S5_.has_recursion, 0
	.set _ZL33flash_attn_stream_k_fixup_generalILi64ELi2ELi1EEvPfPK15HIP_vector_typeIfLj2EEiiiiS1_IjLj3EES5_S5_S5_.has_indirect_call, 0
	.section	.AMDGPU.csdata,"",@progbits
; Kernel info:
; codeLenInByte = 3352
; TotalNumSgprs: 48
; NumVgprs: 12
; ScratchSize: 0
; MemoryBound: 0
; FloatMode: 240
; IeeeMode: 1
; LDSByteSize: 0 bytes/workgroup (compile time only)
; SGPRBlocks: 0
; VGPRBlocks: 0
; NumSGPRsForWavesPerEU: 48
; NumVGPRsForWavesPerEU: 12
; NamedBarCnt: 0
; Occupancy: 16
; WaveLimiterHint : 0
; COMPUTE_PGM_RSRC2:SCRATCH_EN: 0
; COMPUTE_PGM_RSRC2:USER_SGPR: 2
; COMPUTE_PGM_RSRC2:TRAP_HANDLER: 0
; COMPUTE_PGM_RSRC2:TGID_X_EN: 1
; COMPUTE_PGM_RSRC2:TGID_Y_EN: 1
; COMPUTE_PGM_RSRC2:TGID_Z_EN: 1
; COMPUTE_PGM_RSRC2:TIDIG_COMP_CNT: 0
	.text
	.p2align	2                               ; -- Begin function __ockl_printf_append_string_n
	.type	__ockl_printf_append_string_n,@function
__ockl_printf_append_string_n:          ; @__ockl_printf_append_string_n
; %bb.0:
	s_wait_loadcnt_dscnt 0x0
	s_wait_kmcnt 0x0
	v_mov_b32_e32 v2, v0
	v_mbcnt_lo_u32_b32 v30, -1, 0
	s_get_pc_i64 s[0:1]
	s_add_nc_u64 s[0:1], s[0:1], __FUNCTION__._ZL15flash_attn_tileILi64ELi64ELi8ELi8ELb1EEvPKcS1_S1_S1_S1_PKiPfP15HIP_vector_typeIfLj2EEffffjfiS5_IjLj3EEiiiiiiiiiiiliiliiiiil@rel64+4
	s_delay_alu instid0(SALU_CYCLE_1)
	s_cmp_lg_u64 s[0:1], 0
	s_cbranch_scc0 .LBB71_87
; %bb.1:
	s_load_b64 s[2:3], s[8:9], 0x50
	v_dual_mov_b32 v11, 0 :: v_dual_bitop2_b32 v0, -3, v2 bitop3:0x40
	v_mov_b64_e32 v[12:13], 0x100000002
	v_mov_b64_e32 v[34:35], s[0:1]
	v_and_b32_e32 v32, 2, v2
	s_delay_alu instid0(VALU_DEP_4)
	v_mov_b64_e32 v[6:7], v[0:1]
	s_mov_b32 s7, 0
	s_mov_b32 s6, 0
	s_branch .LBB71_3
.LBB71_2:                               ;   in Loop: Header=BB71_3 Depth=1
	s_or_b32 exec_lo, exec_lo, s10
	v_sub_nc_u64_e32 v[4:5], v[4:5], v[36:37]
	v_add_nc_u64_e32 v[34:35], v[34:35], v[36:37]
	s_delay_alu instid0(VALU_DEP_2) | instskip(SKIP_1) | instid1(SALU_CYCLE_1)
	v_cmp_eq_u64_e32 vcc_lo, 0, v[4:5]
	s_or_b32 s6, vcc_lo, s6
	s_and_not1_b32 exec_lo, exec_lo, s6
	s_cbranch_execz .LBB71_85
.LBB71_3:                               ; =>This Loop Header: Depth=1
                                        ;     Child Loop BB71_6 Depth 2
                                        ;     Child Loop BB71_14 Depth 2
	;; [unrolled: 1-line block ×11, first 2 shown]
	v_min_u64 v[36:37], v[4:5], 56
	s_delay_alu instid0(VALU_DEP_3)
	v_add_nc_u64_e32 v[16:17], 8, v[34:35]
	s_mov_b32 s0, exec_lo
	v_cmpx_gt_u64_e32 8, v[4:5]
	s_xor_b32 s4, exec_lo, s0
	s_cbranch_execz .LBB71_9
; %bb.4:                                ;   in Loop: Header=BB71_3 Depth=1
	v_mov_b64_e32 v[8:9], 0
	s_mov_b32 s5, exec_lo
	v_cmpx_ne_u64_e32 0, v[4:5]
	s_cbranch_execz .LBB71_8
; %bb.5:                                ;   in Loop: Header=BB71_3 Depth=1
	v_mov_b64_e32 v[8:9], 0
	v_mov_b64_e32 v[14:15], v[34:35]
	v_lshlrev_b32_e32 v0, 3, v36
	s_mov_b64 s[0:1], 0
	s_mov_b32 s10, 0
.LBB71_6:                               ;   Parent Loop BB71_3 Depth=1
                                        ; =>  This Inner Loop Header: Depth=2
	global_load_u8 v3, v[14:15], off
	v_mov_b32_e32 v17, s7
	s_wait_xcnt 0x0
	v_add_nc_u64_e32 v[14:15], 1, v[14:15]
	s_wait_loadcnt 0x0
	v_and_b32_e32 v16, 0xffff, v3
	s_delay_alu instid0(VALU_DEP_1) | instskip(SKIP_1) | instid1(SALU_CYCLE_1)
	v_lshlrev_b64_e32 v[16:17], s0, v[16:17]
	s_add_nc_u64 s[0:1], s[0:1], 8
	v_cmp_eq_u32_e32 vcc_lo, s0, v0
	s_delay_alu instid0(VALU_DEP_2) | instskip(NEXT) | instid1(VALU_DEP_3)
	v_or_b32_e32 v9, v17, v9
	v_or_b32_e32 v8, v16, v8
	s_or_b32 s10, vcc_lo, s10
	s_delay_alu instid0(SALU_CYCLE_1)
	s_and_not1_b32 exec_lo, exec_lo, s10
	s_cbranch_execnz .LBB71_6
; %bb.7:                                ;   in Loop: Header=BB71_3 Depth=1
	s_or_b32 exec_lo, exec_lo, s10
.LBB71_8:                               ;   in Loop: Header=BB71_3 Depth=1
	s_delay_alu instid0(SALU_CYCLE_1)
	s_or_b32 exec_lo, exec_lo, s5
	v_mov_b64_e32 v[16:17], v[34:35]
.LBB71_9:                               ;   in Loop: Header=BB71_3 Depth=1
	s_or_saveexec_b32 s0, s4
	v_mov_b32_e32 v0, 0
	s_xor_b32 exec_lo, exec_lo, s0
	s_cbranch_execz .LBB71_11
; %bb.10:                               ;   in Loop: Header=BB71_3 Depth=1
	global_load_b64 v[8:9], v[34:35], off
	v_add_nc_u32_e32 v0, -8, v36
.LBB71_11:                              ;   in Loop: Header=BB71_3 Depth=1
	s_wait_xcnt 0x0
	s_or_b32 exec_lo, exec_lo, s0
	v_add_nc_u64_e32 v[18:19], 8, v[16:17]
                                        ; implicit-def: $vgpr14_vgpr15
	s_mov_b32 s0, exec_lo
	v_cmpx_gt_u32_e32 8, v0
	s_xor_b32 s10, exec_lo, s0
	s_cbranch_execz .LBB71_17
; %bb.12:                               ;   in Loop: Header=BB71_3 Depth=1
	v_mov_b64_e32 v[14:15], 0
	s_mov_b32 s11, exec_lo
	v_cmpx_ne_u32_e32 0, v0
	s_cbranch_execz .LBB71_16
; %bb.13:                               ;   in Loop: Header=BB71_3 Depth=1
	v_mov_b64_e32 v[14:15], 0
	s_mov_b64 s[0:1], 0
	s_mov_b32 s12, 0
	s_mov_b64 s[4:5], 0
.LBB71_14:                              ;   Parent Loop BB71_3 Depth=1
                                        ; =>  This Inner Loop Header: Depth=2
	s_delay_alu instid0(SALU_CYCLE_1) | instskip(SKIP_1) | instid1(SALU_CYCLE_1)
	v_add_nc_u64_e32 v[18:19], s[4:5], v[16:17]
	s_add_nc_u64 s[4:5], s[4:5], 1
	v_cmp_eq_u32_e32 vcc_lo, s4, v0
	global_load_u8 v3, v[18:19], off
	s_wait_xcnt 0x0
	v_mov_b32_e32 v19, s7
	s_or_b32 s12, vcc_lo, s12
	s_wait_loadcnt 0x0
	v_and_b32_e32 v18, 0xffff, v3
	s_delay_alu instid0(VALU_DEP_1) | instskip(SKIP_1) | instid1(VALU_DEP_1)
	v_lshlrev_b64_e32 v[18:19], s0, v[18:19]
	s_add_nc_u64 s[0:1], s[0:1], 8
	v_or_b32_e32 v15, v19, v15
	s_delay_alu instid0(VALU_DEP_2)
	v_or_b32_e32 v14, v18, v14
	s_and_not1_b32 exec_lo, exec_lo, s12
	s_cbranch_execnz .LBB71_14
; %bb.15:                               ;   in Loop: Header=BB71_3 Depth=1
	s_or_b32 exec_lo, exec_lo, s12
.LBB71_16:                              ;   in Loop: Header=BB71_3 Depth=1
	s_delay_alu instid0(SALU_CYCLE_1)
	s_or_b32 exec_lo, exec_lo, s11
	v_mov_b64_e32 v[18:19], v[16:17]
                                        ; implicit-def: $vgpr0
.LBB71_17:                              ;   in Loop: Header=BB71_3 Depth=1
	s_or_saveexec_b32 s0, s10
	v_mov_b32_e32 v3, 0
	s_xor_b32 exec_lo, exec_lo, s0
	s_cbranch_execz .LBB71_19
; %bb.18:                               ;   in Loop: Header=BB71_3 Depth=1
	global_load_b64 v[14:15], v[16:17], off
	v_add_nc_u32_e32 v3, -8, v0
.LBB71_19:                              ;   in Loop: Header=BB71_3 Depth=1
	s_wait_xcnt 0x0
	s_or_b32 exec_lo, exec_lo, s0
	v_add_nc_u64_e32 v[20:21], 8, v[18:19]
	s_mov_b32 s0, exec_lo
	v_cmpx_gt_u32_e32 8, v3
	s_xor_b32 s10, exec_lo, s0
	s_cbranch_execz .LBB71_25
; %bb.20:                               ;   in Loop: Header=BB71_3 Depth=1
	v_mov_b64_e32 v[16:17], 0
	s_mov_b32 s11, exec_lo
	v_cmpx_ne_u32_e32 0, v3
	s_cbranch_execz .LBB71_24
; %bb.21:                               ;   in Loop: Header=BB71_3 Depth=1
	v_mov_b64_e32 v[16:17], 0
	s_mov_b64 s[0:1], 0
	s_mov_b32 s12, 0
	s_mov_b64 s[4:5], 0
.LBB71_22:                              ;   Parent Loop BB71_3 Depth=1
                                        ; =>  This Inner Loop Header: Depth=2
	s_delay_alu instid0(SALU_CYCLE_1) | instskip(SKIP_1) | instid1(SALU_CYCLE_1)
	v_add_nc_u64_e32 v[20:21], s[4:5], v[18:19]
	s_add_nc_u64 s[4:5], s[4:5], 1
	v_cmp_eq_u32_e32 vcc_lo, s4, v3
	global_load_u8 v0, v[20:21], off
	s_wait_xcnt 0x0
	v_mov_b32_e32 v21, s7
	s_or_b32 s12, vcc_lo, s12
	s_wait_loadcnt 0x0
	v_and_b32_e32 v20, 0xffff, v0
	s_delay_alu instid0(VALU_DEP_1) | instskip(SKIP_1) | instid1(VALU_DEP_1)
	v_lshlrev_b64_e32 v[20:21], s0, v[20:21]
	s_add_nc_u64 s[0:1], s[0:1], 8
	v_or_b32_e32 v17, v21, v17
	s_delay_alu instid0(VALU_DEP_2)
	v_or_b32_e32 v16, v20, v16
	s_and_not1_b32 exec_lo, exec_lo, s12
	s_cbranch_execnz .LBB71_22
; %bb.23:                               ;   in Loop: Header=BB71_3 Depth=1
	s_or_b32 exec_lo, exec_lo, s12
.LBB71_24:                              ;   in Loop: Header=BB71_3 Depth=1
	s_delay_alu instid0(SALU_CYCLE_1)
	s_or_b32 exec_lo, exec_lo, s11
	v_mov_b64_e32 v[20:21], v[18:19]
                                        ; implicit-def: $vgpr3
.LBB71_25:                              ;   in Loop: Header=BB71_3 Depth=1
	s_or_saveexec_b32 s0, s10
	v_mov_b32_e32 v0, 0
	s_xor_b32 exec_lo, exec_lo, s0
	s_cbranch_execz .LBB71_27
; %bb.26:                               ;   in Loop: Header=BB71_3 Depth=1
	global_load_b64 v[16:17], v[18:19], off
	v_add_nc_u32_e32 v0, -8, v3
.LBB71_27:                              ;   in Loop: Header=BB71_3 Depth=1
	s_wait_xcnt 0x0
	s_or_b32 exec_lo, exec_lo, s0
	v_add_nc_u64_e32 v[22:23], 8, v[20:21]
                                        ; implicit-def: $vgpr18_vgpr19
	s_mov_b32 s0, exec_lo
	v_cmpx_gt_u32_e32 8, v0
	s_xor_b32 s10, exec_lo, s0
	s_cbranch_execz .LBB71_33
; %bb.28:                               ;   in Loop: Header=BB71_3 Depth=1
	v_mov_b64_e32 v[18:19], 0
	s_mov_b32 s11, exec_lo
	v_cmpx_ne_u32_e32 0, v0
	s_cbranch_execz .LBB71_32
; %bb.29:                               ;   in Loop: Header=BB71_3 Depth=1
	v_mov_b64_e32 v[18:19], 0
	s_mov_b64 s[0:1], 0
	s_mov_b32 s12, 0
	s_mov_b64 s[4:5], 0
.LBB71_30:                              ;   Parent Loop BB71_3 Depth=1
                                        ; =>  This Inner Loop Header: Depth=2
	s_delay_alu instid0(SALU_CYCLE_1) | instskip(SKIP_1) | instid1(SALU_CYCLE_1)
	v_add_nc_u64_e32 v[22:23], s[4:5], v[20:21]
	s_add_nc_u64 s[4:5], s[4:5], 1
	v_cmp_eq_u32_e32 vcc_lo, s4, v0
	global_load_u8 v3, v[22:23], off
	s_wait_xcnt 0x0
	v_mov_b32_e32 v23, s7
	s_or_b32 s12, vcc_lo, s12
	s_wait_loadcnt 0x0
	v_and_b32_e32 v22, 0xffff, v3
	s_delay_alu instid0(VALU_DEP_1) | instskip(SKIP_1) | instid1(VALU_DEP_1)
	v_lshlrev_b64_e32 v[22:23], s0, v[22:23]
	s_add_nc_u64 s[0:1], s[0:1], 8
	v_or_b32_e32 v19, v23, v19
	s_delay_alu instid0(VALU_DEP_2)
	v_or_b32_e32 v18, v22, v18
	s_and_not1_b32 exec_lo, exec_lo, s12
	s_cbranch_execnz .LBB71_30
; %bb.31:                               ;   in Loop: Header=BB71_3 Depth=1
	s_or_b32 exec_lo, exec_lo, s12
.LBB71_32:                              ;   in Loop: Header=BB71_3 Depth=1
	s_delay_alu instid0(SALU_CYCLE_1)
	s_or_b32 exec_lo, exec_lo, s11
	v_mov_b64_e32 v[22:23], v[20:21]
                                        ; implicit-def: $vgpr0
.LBB71_33:                              ;   in Loop: Header=BB71_3 Depth=1
	s_or_saveexec_b32 s0, s10
	v_mov_b32_e32 v3, 0
	s_xor_b32 exec_lo, exec_lo, s0
	s_cbranch_execz .LBB71_35
; %bb.34:                               ;   in Loop: Header=BB71_3 Depth=1
	global_load_b64 v[18:19], v[20:21], off
	v_add_nc_u32_e32 v3, -8, v0
.LBB71_35:                              ;   in Loop: Header=BB71_3 Depth=1
	s_wait_xcnt 0x0
	s_or_b32 exec_lo, exec_lo, s0
	v_add_nc_u64_e32 v[24:25], 8, v[22:23]
	s_mov_b32 s0, exec_lo
	v_cmpx_gt_u32_e32 8, v3
	s_xor_b32 s10, exec_lo, s0
	s_cbranch_execz .LBB71_41
; %bb.36:                               ;   in Loop: Header=BB71_3 Depth=1
	v_mov_b64_e32 v[20:21], 0
	s_mov_b32 s11, exec_lo
	v_cmpx_ne_u32_e32 0, v3
	s_cbranch_execz .LBB71_40
; %bb.37:                               ;   in Loop: Header=BB71_3 Depth=1
	v_mov_b64_e32 v[20:21], 0
	s_mov_b64 s[0:1], 0
	s_mov_b32 s12, 0
	s_mov_b64 s[4:5], 0
.LBB71_38:                              ;   Parent Loop BB71_3 Depth=1
                                        ; =>  This Inner Loop Header: Depth=2
	s_delay_alu instid0(SALU_CYCLE_1) | instskip(SKIP_1) | instid1(SALU_CYCLE_1)
	v_add_nc_u64_e32 v[24:25], s[4:5], v[22:23]
	s_add_nc_u64 s[4:5], s[4:5], 1
	v_cmp_eq_u32_e32 vcc_lo, s4, v3
	global_load_u8 v0, v[24:25], off
	s_wait_xcnt 0x0
	v_mov_b32_e32 v25, s7
	s_or_b32 s12, vcc_lo, s12
	s_wait_loadcnt 0x0
	v_and_b32_e32 v24, 0xffff, v0
	s_delay_alu instid0(VALU_DEP_1) | instskip(SKIP_1) | instid1(VALU_DEP_1)
	v_lshlrev_b64_e32 v[24:25], s0, v[24:25]
	s_add_nc_u64 s[0:1], s[0:1], 8
	v_or_b32_e32 v21, v25, v21
	s_delay_alu instid0(VALU_DEP_2)
	v_or_b32_e32 v20, v24, v20
	s_and_not1_b32 exec_lo, exec_lo, s12
	s_cbranch_execnz .LBB71_38
; %bb.39:                               ;   in Loop: Header=BB71_3 Depth=1
	s_or_b32 exec_lo, exec_lo, s12
.LBB71_40:                              ;   in Loop: Header=BB71_3 Depth=1
	s_delay_alu instid0(SALU_CYCLE_1)
	s_or_b32 exec_lo, exec_lo, s11
	v_mov_b64_e32 v[24:25], v[22:23]
                                        ; implicit-def: $vgpr3
.LBB71_41:                              ;   in Loop: Header=BB71_3 Depth=1
	s_or_saveexec_b32 s0, s10
	v_mov_b32_e32 v0, 0
	s_xor_b32 exec_lo, exec_lo, s0
	s_cbranch_execz .LBB71_43
; %bb.42:                               ;   in Loop: Header=BB71_3 Depth=1
	global_load_b64 v[20:21], v[22:23], off
	v_add_nc_u32_e32 v0, -8, v3
.LBB71_43:                              ;   in Loop: Header=BB71_3 Depth=1
	s_wait_xcnt 0x0
	s_or_b32 exec_lo, exec_lo, s0
	v_add_nc_u64_e32 v[26:27], 8, v[24:25]
                                        ; implicit-def: $vgpr22_vgpr23
	s_mov_b32 s0, exec_lo
	v_cmpx_gt_u32_e32 8, v0
	s_xor_b32 s10, exec_lo, s0
	s_cbranch_execz .LBB71_49
; %bb.44:                               ;   in Loop: Header=BB71_3 Depth=1
	v_mov_b64_e32 v[22:23], 0
	s_mov_b32 s11, exec_lo
	v_cmpx_ne_u32_e32 0, v0
	s_cbranch_execz .LBB71_48
; %bb.45:                               ;   in Loop: Header=BB71_3 Depth=1
	v_mov_b64_e32 v[22:23], 0
	s_mov_b64 s[0:1], 0
	s_mov_b32 s12, 0
	s_mov_b64 s[4:5], 0
.LBB71_46:                              ;   Parent Loop BB71_3 Depth=1
                                        ; =>  This Inner Loop Header: Depth=2
	s_delay_alu instid0(SALU_CYCLE_1) | instskip(SKIP_1) | instid1(SALU_CYCLE_1)
	v_add_nc_u64_e32 v[26:27], s[4:5], v[24:25]
	s_add_nc_u64 s[4:5], s[4:5], 1
	v_cmp_eq_u32_e32 vcc_lo, s4, v0
	global_load_u8 v3, v[26:27], off
	s_wait_xcnt 0x0
	v_mov_b32_e32 v27, s7
	s_or_b32 s12, vcc_lo, s12
	s_wait_loadcnt 0x0
	v_and_b32_e32 v26, 0xffff, v3
	s_delay_alu instid0(VALU_DEP_1) | instskip(SKIP_1) | instid1(VALU_DEP_1)
	v_lshlrev_b64_e32 v[26:27], s0, v[26:27]
	s_add_nc_u64 s[0:1], s[0:1], 8
	v_or_b32_e32 v23, v27, v23
	s_delay_alu instid0(VALU_DEP_2)
	v_or_b32_e32 v22, v26, v22
	s_and_not1_b32 exec_lo, exec_lo, s12
	s_cbranch_execnz .LBB71_46
; %bb.47:                               ;   in Loop: Header=BB71_3 Depth=1
	s_or_b32 exec_lo, exec_lo, s12
.LBB71_48:                              ;   in Loop: Header=BB71_3 Depth=1
	s_delay_alu instid0(SALU_CYCLE_1)
	s_or_b32 exec_lo, exec_lo, s11
	v_mov_b64_e32 v[26:27], v[24:25]
                                        ; implicit-def: $vgpr0
.LBB71_49:                              ;   in Loop: Header=BB71_3 Depth=1
	s_or_saveexec_b32 s0, s10
	v_mov_b32_e32 v3, 0
	s_xor_b32 exec_lo, exec_lo, s0
	s_cbranch_execz .LBB71_51
; %bb.50:                               ;   in Loop: Header=BB71_3 Depth=1
	global_load_b64 v[22:23], v[24:25], off
	v_add_nc_u32_e32 v3, -8, v0
.LBB71_51:                              ;   in Loop: Header=BB71_3 Depth=1
	s_wait_xcnt 0x0
	s_or_b32 exec_lo, exec_lo, s0
	s_delay_alu instid0(SALU_CYCLE_1) | instskip(NEXT) | instid1(VALU_DEP_1)
	s_mov_b32 s0, exec_lo
	v_cmpx_gt_u32_e32 8, v3
	s_xor_b32 s4, exec_lo, s0
	s_cbranch_execz .LBB71_57
; %bb.52:                               ;   in Loop: Header=BB71_3 Depth=1
	v_mov_b64_e32 v[24:25], 0
	s_mov_b32 s5, exec_lo
	v_cmpx_ne_u32_e32 0, v3
	s_cbranch_execz .LBB71_56
; %bb.53:                               ;   in Loop: Header=BB71_3 Depth=1
	v_mov_b64_e32 v[24:25], 0
	s_mov_b64 s[0:1], 0
	s_mov_b32 s10, 0
.LBB71_54:                              ;   Parent Loop BB71_3 Depth=1
                                        ; =>  This Inner Loop Header: Depth=2
	global_load_u8 v0, v[26:27], off
	v_dual_mov_b32 v29, s7 :: v_dual_add_nc_u32 v3, -1, v3
	s_wait_xcnt 0x0
	v_add_nc_u64_e32 v[26:27], 1, v[26:27]
	s_delay_alu instid0(VALU_DEP_2) | instskip(SKIP_3) | instid1(VALU_DEP_1)
	v_cmp_eq_u32_e32 vcc_lo, 0, v3
	s_or_b32 s10, vcc_lo, s10
	s_wait_loadcnt 0x0
	v_and_b32_e32 v28, 0xffff, v0
	v_lshlrev_b64_e32 v[28:29], s0, v[28:29]
	s_add_nc_u64 s[0:1], s[0:1], 8
	s_delay_alu instid0(VALU_DEP_1) | instskip(NEXT) | instid1(VALU_DEP_2)
	v_or_b32_e32 v25, v29, v25
	v_or_b32_e32 v24, v28, v24
	s_and_not1_b32 exec_lo, exec_lo, s10
	s_cbranch_execnz .LBB71_54
; %bb.55:                               ;   in Loop: Header=BB71_3 Depth=1
	s_or_b32 exec_lo, exec_lo, s10
.LBB71_56:                              ;   in Loop: Header=BB71_3 Depth=1
	s_delay_alu instid0(SALU_CYCLE_1)
	s_or_b32 exec_lo, exec_lo, s5
                                        ; implicit-def: $vgpr26_vgpr27
.LBB71_57:                              ;   in Loop: Header=BB71_3 Depth=1
	s_and_not1_saveexec_b32 s0, s4
	s_cbranch_execz .LBB71_59
; %bb.58:                               ;   in Loop: Header=BB71_3 Depth=1
	global_load_b64 v[24:25], v[26:27], off
.LBB71_59:                              ;   in Loop: Header=BB71_3 Depth=1
	s_wait_xcnt 0x0
	s_or_b32 exec_lo, exec_lo, s0
	v_readfirstlane_b32 s0, v30
	v_mov_b64_e32 v[38:39], 0
	s_delay_alu instid0(VALU_DEP_2)
	v_cmp_eq_u32_e64 s0, s0, v30
	s_and_saveexec_b32 s1, s0
	s_cbranch_execz .LBB71_65
; %bb.60:                               ;   in Loop: Header=BB71_3 Depth=1
	s_wait_kmcnt 0x0
	global_load_b64 v[28:29], v11, s[2:3] offset:24 scope:SCOPE_SYS
	s_wait_loadcnt 0x0
	global_inv scope:SCOPE_SYS
	s_clause 0x1
	global_load_b64 v[26:27], v11, s[2:3] offset:40
	global_load_b64 v[38:39], v11, s[2:3]
	s_mov_b32 s4, exec_lo
	s_wait_loadcnt 0x1
	v_and_b32_e32 v26, v26, v28
	v_and_b32_e32 v27, v27, v29
	s_delay_alu instid0(VALU_DEP_1) | instskip(SKIP_1) | instid1(VALU_DEP_1)
	v_mul_u64_e32 v[26:27], 24, v[26:27]
	s_wait_loadcnt 0x0
	v_add_nc_u64_e32 v[26:27], v[38:39], v[26:27]
	global_load_b64 v[26:27], v[26:27], off scope:SCOPE_SYS
	s_wait_xcnt 0x0
	s_wait_loadcnt 0x0
	global_atomic_cmpswap_b64 v[38:39], v11, v[26:29], s[2:3] offset:24 th:TH_ATOMIC_RETURN scope:SCOPE_SYS
	s_wait_loadcnt 0x0
	global_inv scope:SCOPE_SYS
	s_wait_xcnt 0x0
	v_cmpx_ne_u64_e64 v[38:39], v[28:29]
	s_cbranch_execz .LBB71_64
; %bb.61:                               ;   in Loop: Header=BB71_3 Depth=1
	s_mov_b32 s5, 0
.LBB71_62:                              ;   Parent Loop BB71_3 Depth=1
                                        ; =>  This Inner Loop Header: Depth=2
	s_sleep 1
	s_clause 0x1
	global_load_b64 v[26:27], v11, s[2:3] offset:40
	global_load_b64 v[48:49], v11, s[2:3]
	v_mov_b64_e32 v[28:29], v[38:39]
	s_wait_loadcnt 0x1
	s_delay_alu instid0(VALU_DEP_1) | instskip(SKIP_1) | instid1(VALU_DEP_1)
	v_and_b32_e32 v0, v26, v28
	s_wait_loadcnt 0x0
	v_mad_nc_u64_u32 v[38:39], v0, 24, v[48:49]
	s_delay_alu instid0(VALU_DEP_3) | instskip(NEXT) | instid1(VALU_DEP_1)
	v_and_b32_e32 v0, v27, v29
	v_mad_u32 v39, v0, 24, v39
	global_load_b64 v[26:27], v[38:39], off scope:SCOPE_SYS
	s_wait_xcnt 0x0
	s_wait_loadcnt 0x0
	global_atomic_cmpswap_b64 v[38:39], v11, v[26:29], s[2:3] offset:24 th:TH_ATOMIC_RETURN scope:SCOPE_SYS
	s_wait_loadcnt 0x0
	global_inv scope:SCOPE_SYS
	v_cmp_eq_u64_e32 vcc_lo, v[38:39], v[28:29]
	s_or_b32 s5, vcc_lo, s5
	s_wait_xcnt 0x0
	s_and_not1_b32 exec_lo, exec_lo, s5
	s_cbranch_execnz .LBB71_62
; %bb.63:                               ;   in Loop: Header=BB71_3 Depth=1
	s_or_b32 exec_lo, exec_lo, s5
.LBB71_64:                              ;   in Loop: Header=BB71_3 Depth=1
	s_delay_alu instid0(SALU_CYCLE_1)
	s_or_b32 exec_lo, exec_lo, s4
.LBB71_65:                              ;   in Loop: Header=BB71_3 Depth=1
	s_delay_alu instid0(SALU_CYCLE_1)
	s_or_b32 exec_lo, exec_lo, s1
	s_wait_kmcnt 0x0
	s_clause 0x1
	global_load_b64 v[48:49], v11, s[2:3] offset:40
	global_load_b128 v[26:29], v11, s[2:3]
	v_readfirstlane_b32 s4, v38
	v_readfirstlane_b32 s5, v39
	s_mov_b32 s1, exec_lo
	s_wait_loadcnt 0x1
	v_and_b32_e32 v48, s4, v48
	v_and_b32_e32 v49, s5, v49
	s_delay_alu instid0(VALU_DEP_1) | instskip(SKIP_1) | instid1(VALU_DEP_1)
	v_mul_u64_e32 v[38:39], 24, v[48:49]
	s_wait_loadcnt 0x0
	v_add_nc_u64_e32 v[38:39], v[26:27], v[38:39]
	s_wait_xcnt 0x0
	s_and_saveexec_b32 s10, s0
	s_cbranch_execz .LBB71_67
; %bb.66:                               ;   in Loop: Header=BB71_3 Depth=1
	v_mov_b32_e32 v10, s1
	global_store_b128 v[38:39], v[10:13], off offset:8
.LBB71_67:                              ;   in Loop: Header=BB71_3 Depth=1
	s_wait_xcnt 0x0
	s_or_b32 exec_lo, exec_lo, s10
	v_cmp_gt_u64_e32 vcc_lo, 57, v[4:5]
	v_lshlrev_b64_e32 v[48:49], 12, v[48:49]
	v_and_b32_e32 v3, 0xffffff1f, v6
	v_lshl_add_u32 v6, v36, 2, 28
	v_dual_lshlrev_b32 v10, 6, v30 :: v_dual_cndmask_b32 v0, 0, v32, vcc_lo
	s_delay_alu instid0(VALU_DEP_4) | instskip(NEXT) | instid1(VALU_DEP_2)
	v_add_nc_u64_e32 v[28:29], v[28:29], v[48:49]
	v_or_b32_e32 v0, v3, v0
	s_delay_alu instid0(VALU_DEP_2) | instskip(NEXT) | instid1(VALU_DEP_3)
	v_readfirstlane_b32 s10, v28
	v_readfirstlane_b32 s11, v29
	s_delay_alu instid0(VALU_DEP_3)
	v_and_or_b32 v6, 0x1e0, v6, v0
	s_clause 0x3
	global_store_b128 v10, v[6:9], s[10:11]
	global_store_b128 v10, v[14:17], s[10:11] offset:16
	global_store_b128 v10, v[18:21], s[10:11] offset:32
	;; [unrolled: 1-line block ×3, first 2 shown]
	s_wait_xcnt 0x0
	s_and_saveexec_b32 s1, s0
	s_cbranch_execz .LBB71_75
; %bb.68:                               ;   in Loop: Header=BB71_3 Depth=1
	s_clause 0x1
	global_load_b64 v[18:19], v11, s[2:3] offset:32 scope:SCOPE_SYS
	global_load_b64 v[6:7], v11, s[2:3] offset:40
	s_mov_b32 s10, exec_lo
	v_dual_mov_b32 v16, s4 :: v_dual_mov_b32 v17, s5
	s_wait_loadcnt 0x0
	v_and_b32_e32 v7, s5, v7
	v_and_b32_e32 v6, s4, v6
	s_delay_alu instid0(VALU_DEP_1) | instskip(NEXT) | instid1(VALU_DEP_1)
	v_mul_u64_e32 v[6:7], 24, v[6:7]
	v_add_nc_u64_e32 v[14:15], v[26:27], v[6:7]
	global_store_b64 v[14:15], v[18:19], off
	global_wb scope:SCOPE_SYS
	s_wait_storecnt 0x0
	s_wait_xcnt 0x0
	global_atomic_cmpswap_b64 v[8:9], v11, v[16:19], s[2:3] offset:32 th:TH_ATOMIC_RETURN scope:SCOPE_SYS
	s_wait_loadcnt 0x0
	v_cmpx_ne_u64_e64 v[8:9], v[18:19]
	s_cbranch_execz .LBB71_71
; %bb.69:                               ;   in Loop: Header=BB71_3 Depth=1
	s_mov_b32 s11, 0
.LBB71_70:                              ;   Parent Loop BB71_3 Depth=1
                                        ; =>  This Inner Loop Header: Depth=2
	v_dual_mov_b32 v6, s4 :: v_dual_mov_b32 v7, s5
	s_sleep 1
	global_store_b64 v[14:15], v[8:9], off
	global_wb scope:SCOPE_SYS
	s_wait_storecnt 0x0
	s_wait_xcnt 0x0
	global_atomic_cmpswap_b64 v[6:7], v11, v[6:9], s[2:3] offset:32 th:TH_ATOMIC_RETURN scope:SCOPE_SYS
	s_wait_loadcnt 0x0
	v_cmp_eq_u64_e32 vcc_lo, v[6:7], v[8:9]
	v_mov_b64_e32 v[8:9], v[6:7]
	s_or_b32 s11, vcc_lo, s11
	s_delay_alu instid0(SALU_CYCLE_1)
	s_and_not1_b32 exec_lo, exec_lo, s11
	s_cbranch_execnz .LBB71_70
.LBB71_71:                              ;   in Loop: Header=BB71_3 Depth=1
	s_or_b32 exec_lo, exec_lo, s10
	global_load_b64 v[6:7], v11, s[2:3] offset:16
	s_mov_b32 s11, exec_lo
	s_mov_b32 s10, exec_lo
	v_mbcnt_lo_u32_b32 v0, s11, 0
	s_wait_xcnt 0x0
	s_delay_alu instid0(VALU_DEP_1)
	v_cmpx_eq_u32_e32 0, v0
	s_cbranch_execz .LBB71_73
; %bb.72:                               ;   in Loop: Header=BB71_3 Depth=1
	s_bcnt1_i32_b32 s11, s11
	s_delay_alu instid0(SALU_CYCLE_1)
	v_dual_mov_b32 v9, v11 :: v_dual_mov_b32 v8, s11
	global_wb scope:SCOPE_SYS
	s_wait_loadcnt 0x0
	s_wait_storecnt 0x0
	global_atomic_add_u64 v[6:7], v[8:9], off offset:8 scope:SCOPE_SYS
.LBB71_73:                              ;   in Loop: Header=BB71_3 Depth=1
	s_wait_xcnt 0x0
	s_or_b32 exec_lo, exec_lo, s10
	s_wait_loadcnt 0x0
	global_load_b64 v[8:9], v[6:7], off offset:16
	s_wait_loadcnt 0x0
	v_cmp_eq_u64_e32 vcc_lo, 0, v[8:9]
	s_cbranch_vccnz .LBB71_75
; %bb.74:                               ;   in Loop: Header=BB71_3 Depth=1
	global_load_b32 v6, v[6:7], off offset:24
	s_wait_xcnt 0x0
	v_mov_b32_e32 v7, v11
	s_wait_loadcnt 0x0
	v_readfirstlane_b32 s10, v6
	global_wb scope:SCOPE_SYS
	s_wait_storecnt 0x0
	global_store_b64 v[8:9], v[6:7], off scope:SCOPE_SYS
	s_and_b32 m0, s10, 0xffffff
	s_sendmsg sendmsg(MSG_INTERRUPT)
.LBB71_75:                              ;   in Loop: Header=BB71_3 Depth=1
	s_wait_xcnt 0x0
	s_or_b32 exec_lo, exec_lo, s1
	v_add_nc_u64_e32 v[6:7], v[28:29], v[10:11]
	s_branch .LBB71_79
.LBB71_76:                              ;   in Loop: Header=BB71_79 Depth=2
	s_wait_xcnt 0x0
	s_or_b32 exec_lo, exec_lo, s1
	s_delay_alu instid0(VALU_DEP_1)
	v_readfirstlane_b32 s1, v0
	s_cmp_eq_u32 s1, 0
	s_cbranch_scc1 .LBB71_78
; %bb.77:                               ;   in Loop: Header=BB71_79 Depth=2
	s_sleep 1
	s_cbranch_execnz .LBB71_79
	s_branch .LBB71_81
.LBB71_78:                              ;   in Loop: Header=BB71_3 Depth=1
	s_branch .LBB71_81
.LBB71_79:                              ;   Parent Loop BB71_3 Depth=1
                                        ; =>  This Inner Loop Header: Depth=2
	v_mov_b32_e32 v0, 1
	s_and_saveexec_b32 s1, s0
	s_cbranch_execz .LBB71_76
; %bb.80:                               ;   in Loop: Header=BB71_79 Depth=2
	global_load_b32 v0, v[38:39], off offset:20 scope:SCOPE_SYS
	s_wait_loadcnt 0x0
	global_inv scope:SCOPE_SYS
	v_and_b32_e32 v0, 1, v0
	s_branch .LBB71_76
.LBB71_81:                              ;   in Loop: Header=BB71_3 Depth=1
	global_load_b64 v[6:7], v[6:7], off
	s_wait_xcnt 0x0
	s_and_saveexec_b32 s10, s0
	s_cbranch_execz .LBB71_2
; %bb.82:                               ;   in Loop: Header=BB71_3 Depth=1
	s_clause 0x2
	global_load_b64 v[8:9], v11, s[2:3] offset:40
	global_load_b64 v[18:19], v11, s[2:3] offset:24 scope:SCOPE_SYS
	global_load_b64 v[14:15], v11, s[2:3]
	s_wait_loadcnt 0x2
	v_readfirstlane_b32 s12, v8
	v_readfirstlane_b32 s13, v9
	s_add_nc_u64 s[0:1], s[12:13], 1
	s_delay_alu instid0(SALU_CYCLE_1) | instskip(NEXT) | instid1(SALU_CYCLE_1)
	s_add_nc_u64 s[4:5], s[0:1], s[4:5]
	s_cmp_eq_u64 s[4:5], 0
	s_cselect_b32 s1, s1, s5
	s_cselect_b32 s0, s0, s4
	s_delay_alu instid0(SALU_CYCLE_1) | instskip(SKIP_1) | instid1(SALU_CYCLE_1)
	v_dual_mov_b32 v17, s1 :: v_dual_mov_b32 v16, s0
	s_and_b64 s[4:5], s[0:1], s[12:13]
	s_mul_u64 s[4:5], s[4:5], 24
	s_wait_loadcnt 0x0
	v_add_nc_u64_e32 v[8:9], s[4:5], v[14:15]
	global_store_b64 v[8:9], v[18:19], off
	global_wb scope:SCOPE_SYS
	s_wait_storecnt 0x0
	s_wait_xcnt 0x0
	global_atomic_cmpswap_b64 v[16:17], v11, v[16:19], s[2:3] offset:24 th:TH_ATOMIC_RETURN scope:SCOPE_SYS
	s_wait_loadcnt 0x0
	v_cmp_ne_u64_e32 vcc_lo, v[16:17], v[18:19]
	s_and_b32 exec_lo, exec_lo, vcc_lo
	s_cbranch_execz .LBB71_2
; %bb.83:                               ;   in Loop: Header=BB71_3 Depth=1
	s_mov_b32 s4, 0
.LBB71_84:                              ;   Parent Loop BB71_3 Depth=1
                                        ; =>  This Inner Loop Header: Depth=2
	v_dual_mov_b32 v14, s0 :: v_dual_mov_b32 v15, s1
	s_sleep 1
	global_store_b64 v[8:9], v[16:17], off
	global_wb scope:SCOPE_SYS
	s_wait_storecnt 0x0
	s_wait_xcnt 0x0
	global_atomic_cmpswap_b64 v[14:15], v11, v[14:17], s[2:3] offset:24 th:TH_ATOMIC_RETURN scope:SCOPE_SYS
	s_wait_loadcnt 0x0
	v_cmp_eq_u64_e32 vcc_lo, v[14:15], v[16:17]
	v_mov_b64_e32 v[16:17], v[14:15]
	s_or_b32 s4, vcc_lo, s4
	s_delay_alu instid0(SALU_CYCLE_1)
	s_and_not1_b32 exec_lo, exec_lo, s4
	s_cbranch_execnz .LBB71_84
	s_branch .LBB71_2
.LBB71_85:
	s_or_b32 exec_lo, exec_lo, s6
.LBB71_86:
	s_wait_loadcnt 0x0
	v_dual_mov_b32 v0, v6 :: v_dual_mov_b32 v1, v7
	s_wait_kmcnt 0x0
	s_set_pc_i64 s[30:31]
.LBB71_87:
                                        ; implicit-def: $vgpr6_vgpr7
	s_cbranch_execz .LBB71_86
; %bb.88:
	s_load_b64 s[2:3], s[8:9], 0x50
	v_readfirstlane_b32 s0, v30
	s_wait_loadcnt 0x0
	v_mov_b64_e32 v[6:7], 0
	s_delay_alu instid0(VALU_DEP_2)
	v_cmp_eq_u32_e64 s0, s0, v30
	s_and_saveexec_b32 s1, s0
	s_cbranch_execz .LBB71_94
; %bb.89:
	v_mov_b32_e32 v0, 0
	s_mov_b32 s4, exec_lo
	s_wait_kmcnt 0x0
	global_load_b64 v[8:9], v0, s[2:3] offset:24 scope:SCOPE_SYS
	s_wait_loadcnt 0x0
	global_inv scope:SCOPE_SYS
	s_clause 0x1
	global_load_b64 v[4:5], v0, s[2:3] offset:40
	global_load_b64 v[6:7], v0, s[2:3]
	s_wait_loadcnt 0x1
	v_and_b32_e32 v4, v4, v8
	v_and_b32_e32 v5, v5, v9
	s_delay_alu instid0(VALU_DEP_1) | instskip(SKIP_1) | instid1(VALU_DEP_1)
	v_mul_u64_e32 v[4:5], 24, v[4:5]
	s_wait_loadcnt 0x0
	v_add_nc_u64_e32 v[4:5], v[6:7], v[4:5]
	global_load_b64 v[6:7], v[4:5], off scope:SCOPE_SYS
	s_wait_xcnt 0x0
	s_wait_loadcnt 0x0
	global_atomic_cmpswap_b64 v[6:7], v0, v[6:9], s[2:3] offset:24 th:TH_ATOMIC_RETURN scope:SCOPE_SYS
	s_wait_loadcnt 0x0
	global_inv scope:SCOPE_SYS
	s_wait_xcnt 0x0
	v_cmpx_ne_u64_e64 v[6:7], v[8:9]
	s_cbranch_execz .LBB71_93
; %bb.90:
	s_mov_b32 s5, 0
.LBB71_91:                              ; =>This Inner Loop Header: Depth=1
	s_sleep 1
	s_clause 0x1
	global_load_b64 v[4:5], v0, s[2:3] offset:40
	global_load_b64 v[10:11], v0, s[2:3]
	v_mov_b64_e32 v[8:9], v[6:7]
	s_wait_loadcnt 0x1
	s_delay_alu instid0(VALU_DEP_1) | instskip(SKIP_1) | instid1(VALU_DEP_1)
	v_and_b32_e32 v3, v4, v8
	s_wait_loadcnt 0x0
	v_mad_nc_u64_u32 v[6:7], v3, 24, v[10:11]
	s_delay_alu instid0(VALU_DEP_3) | instskip(NEXT) | instid1(VALU_DEP_1)
	v_and_b32_e32 v3, v5, v9
	v_mad_u32 v7, v3, 24, v7
	global_load_b64 v[6:7], v[6:7], off scope:SCOPE_SYS
	s_wait_xcnt 0x0
	s_wait_loadcnt 0x0
	global_atomic_cmpswap_b64 v[6:7], v0, v[6:9], s[2:3] offset:24 th:TH_ATOMIC_RETURN scope:SCOPE_SYS
	s_wait_loadcnt 0x0
	global_inv scope:SCOPE_SYS
	v_cmp_eq_u64_e32 vcc_lo, v[6:7], v[8:9]
	s_or_b32 s5, vcc_lo, s5
	s_wait_xcnt 0x0
	s_and_not1_b32 exec_lo, exec_lo, s5
	s_cbranch_execnz .LBB71_91
; %bb.92:
	s_or_b32 exec_lo, exec_lo, s5
.LBB71_93:
	s_delay_alu instid0(SALU_CYCLE_1)
	s_or_b32 exec_lo, exec_lo, s4
.LBB71_94:
	s_delay_alu instid0(SALU_CYCLE_1)
	s_or_b32 exec_lo, exec_lo, s1
	v_readfirstlane_b32 s4, v6
	v_mov_b32_e32 v5, 0
	v_readfirstlane_b32 s5, v7
	s_mov_b32 s1, exec_lo
	s_wait_kmcnt 0x0
	s_clause 0x1
	global_load_b64 v[12:13], v5, s[2:3] offset:40
	global_load_b128 v[8:11], v5, s[2:3]
	s_wait_loadcnt 0x1
	v_and_b32_e32 v14, s4, v12
	v_and_b32_e32 v15, s5, v13
	s_delay_alu instid0(VALU_DEP_1) | instskip(SKIP_1) | instid1(VALU_DEP_1)
	v_mul_u64_e32 v[6:7], 24, v[14:15]
	s_wait_loadcnt 0x0
	v_add_nc_u64_e32 v[12:13], v[8:9], v[6:7]
	s_wait_xcnt 0x0
	s_and_saveexec_b32 s6, s0
	s_cbranch_execz .LBB71_96
; %bb.95:
	v_mov_b64_e32 v[6:7], 0x100000002
	v_mov_b32_e32 v4, s1
	global_store_b128 v[12:13], v[4:7], off offset:8
.LBB71_96:
	s_wait_xcnt 0x0
	s_or_b32 exec_lo, exec_lo, s6
	v_lshlrev_b64_e32 v[6:7], 12, v[14:15]
	s_mov_b32 s8, 0
	v_and_or_b32 v0, 0xffffff1f, v2, 32
	s_mov_b32 s10, s8
	s_mov_b32 s11, s8
	s_mov_b32 s9, s8
	v_mov_b64_e32 v[16:17], s[10:11]
	v_add_nc_u64_e32 v[6:7], v[10:11], v[6:7]
	v_mov_b64_e32 v[14:15], s[8:9]
	v_dual_lshlrev_b32 v4, 6, v30 :: v_dual_mov_b32 v2, v5
	v_mov_b32_e32 v3, v5
	s_delay_alu instid0(VALU_DEP_4)
	v_readfirstlane_b32 s6, v6
	v_readfirstlane_b32 s7, v7
	s_clause 0x3
	global_store_b128 v4, v[0:3], s[6:7]
	global_store_b128 v4, v[14:17], s[6:7] offset:16
	global_store_b128 v4, v[14:17], s[6:7] offset:32
	;; [unrolled: 1-line block ×3, first 2 shown]
	s_wait_xcnt 0x0
	s_and_saveexec_b32 s1, s0
	s_cbranch_execz .LBB71_104
; %bb.97:
	v_dual_mov_b32 v10, 0 :: v_dual_mov_b32 v15, s5
	s_mov_b32 s6, exec_lo
	s_clause 0x1
	global_load_b64 v[16:17], v10, s[2:3] offset:32 scope:SCOPE_SYS
	global_load_b64 v[0:1], v10, s[2:3] offset:40
	s_wait_loadcnt 0x0
	v_dual_mov_b32 v14, s4 :: v_dual_bitop2_b32 v1, s5, v1 bitop3:0x40
	v_and_b32_e32 v0, s4, v0
	s_delay_alu instid0(VALU_DEP_1) | instskip(NEXT) | instid1(VALU_DEP_1)
	v_mul_u64_e32 v[0:1], 24, v[0:1]
	v_add_nc_u64_e32 v[8:9], v[8:9], v[0:1]
	global_store_b64 v[8:9], v[16:17], off
	global_wb scope:SCOPE_SYS
	s_wait_storecnt 0x0
	s_wait_xcnt 0x0
	global_atomic_cmpswap_b64 v[2:3], v10, v[14:17], s[2:3] offset:32 th:TH_ATOMIC_RETURN scope:SCOPE_SYS
	s_wait_loadcnt 0x0
	v_cmpx_ne_u64_e64 v[2:3], v[16:17]
	s_cbranch_execz .LBB71_100
; %bb.98:
	s_mov_b32 s7, 0
.LBB71_99:                              ; =>This Inner Loop Header: Depth=1
	v_dual_mov_b32 v0, s4 :: v_dual_mov_b32 v1, s5
	s_sleep 1
	global_store_b64 v[8:9], v[2:3], off
	global_wb scope:SCOPE_SYS
	s_wait_storecnt 0x0
	s_wait_xcnt 0x0
	global_atomic_cmpswap_b64 v[0:1], v10, v[0:3], s[2:3] offset:32 th:TH_ATOMIC_RETURN scope:SCOPE_SYS
	s_wait_loadcnt 0x0
	v_cmp_eq_u64_e32 vcc_lo, v[0:1], v[2:3]
	v_mov_b64_e32 v[2:3], v[0:1]
	s_or_b32 s7, vcc_lo, s7
	s_delay_alu instid0(SALU_CYCLE_1)
	s_and_not1_b32 exec_lo, exec_lo, s7
	s_cbranch_execnz .LBB71_99
.LBB71_100:
	s_or_b32 exec_lo, exec_lo, s6
	v_mov_b32_e32 v3, 0
	s_mov_b32 s7, exec_lo
	s_mov_b32 s6, exec_lo
	v_mbcnt_lo_u32_b32 v2, s7, 0
	global_load_b64 v[0:1], v3, s[2:3] offset:16
	s_wait_xcnt 0x0
	v_cmpx_eq_u32_e32 0, v2
	s_cbranch_execz .LBB71_102
; %bb.101:
	s_bcnt1_i32_b32 s7, s7
	s_delay_alu instid0(SALU_CYCLE_1)
	v_mov_b32_e32 v2, s7
	global_wb scope:SCOPE_SYS
	s_wait_loadcnt 0x0
	s_wait_storecnt 0x0
	global_atomic_add_u64 v[0:1], v[2:3], off offset:8 scope:SCOPE_SYS
.LBB71_102:
	s_wait_xcnt 0x0
	s_or_b32 exec_lo, exec_lo, s6
	s_wait_loadcnt 0x0
	global_load_b64 v[2:3], v[0:1], off offset:16
	s_wait_loadcnt 0x0
	v_cmp_eq_u64_e32 vcc_lo, 0, v[2:3]
	s_cbranch_vccnz .LBB71_104
; %bb.103:
	global_load_b32 v0, v[0:1], off offset:24
	s_wait_xcnt 0x0
	v_mov_b32_e32 v1, 0
	s_wait_loadcnt 0x0
	v_readfirstlane_b32 s6, v0
	global_wb scope:SCOPE_SYS
	s_wait_storecnt 0x0
	global_store_b64 v[2:3], v[0:1], off scope:SCOPE_SYS
	s_and_b32 m0, s6, 0xffffff
	s_sendmsg sendmsg(MSG_INTERRUPT)
.LBB71_104:
	s_wait_xcnt 0x0
	s_or_b32 exec_lo, exec_lo, s1
	v_add_nc_u64_e32 v[0:1], v[6:7], v[4:5]
	s_branch .LBB71_108
.LBB71_105:                             ;   in Loop: Header=BB71_108 Depth=1
	s_wait_xcnt 0x0
	s_or_b32 exec_lo, exec_lo, s1
	s_delay_alu instid0(VALU_DEP_1)
	v_readfirstlane_b32 s1, v2
	s_cmp_eq_u32 s1, 0
	s_cbranch_scc1 .LBB71_107
; %bb.106:                              ;   in Loop: Header=BB71_108 Depth=1
	s_sleep 1
	s_cbranch_execnz .LBB71_108
	s_branch .LBB71_110
.LBB71_107:
	s_branch .LBB71_110
.LBB71_108:                             ; =>This Inner Loop Header: Depth=1
	v_mov_b32_e32 v2, 1
	s_and_saveexec_b32 s1, s0
	s_cbranch_execz .LBB71_105
; %bb.109:                              ;   in Loop: Header=BB71_108 Depth=1
	global_load_b32 v2, v[12:13], off offset:20 scope:SCOPE_SYS
	s_wait_loadcnt 0x0
	global_inv scope:SCOPE_SYS
	v_and_b32_e32 v2, 1, v2
	s_branch .LBB71_105
.LBB71_110:
	global_load_b64 v[6:7], v[0:1], off
	s_wait_xcnt 0x0
	s_and_saveexec_b32 s6, s0
	s_cbranch_execz .LBB71_114
; %bb.111:
	v_mov_b32_e32 v8, 0
	s_clause 0x2
	global_load_b64 v[0:1], v8, s[2:3] offset:40
	global_load_b64 v[12:13], v8, s[2:3] offset:24 scope:SCOPE_SYS
	global_load_b64 v[2:3], v8, s[2:3]
	s_wait_loadcnt 0x2
	v_readfirstlane_b32 s8, v0
	v_readfirstlane_b32 s9, v1
	s_add_nc_u64 s[0:1], s[8:9], 1
	s_delay_alu instid0(SALU_CYCLE_1) | instskip(NEXT) | instid1(SALU_CYCLE_1)
	s_add_nc_u64 s[4:5], s[0:1], s[4:5]
	s_cmp_eq_u64 s[4:5], 0
	s_cselect_b32 s1, s1, s5
	s_cselect_b32 s0, s0, s4
	v_mov_b32_e32 v11, s1
	s_and_b64 s[4:5], s[0:1], s[8:9]
	v_mov_b32_e32 v10, s0
	s_mul_u64 s[4:5], s[4:5], 24
	s_wait_loadcnt 0x0
	v_add_nc_u64_e32 v[4:5], s[4:5], v[2:3]
	global_store_b64 v[4:5], v[12:13], off
	global_wb scope:SCOPE_SYS
	s_wait_storecnt 0x0
	s_wait_xcnt 0x0
	global_atomic_cmpswap_b64 v[2:3], v8, v[10:13], s[2:3] offset:24 th:TH_ATOMIC_RETURN scope:SCOPE_SYS
	s_wait_loadcnt 0x0
	v_cmp_ne_u64_e32 vcc_lo, v[2:3], v[12:13]
	s_and_b32 exec_lo, exec_lo, vcc_lo
	s_cbranch_execz .LBB71_114
; %bb.112:
	s_mov_b32 s4, 0
.LBB71_113:                             ; =>This Inner Loop Header: Depth=1
	v_dual_mov_b32 v0, s0 :: v_dual_mov_b32 v1, s1
	s_sleep 1
	global_store_b64 v[4:5], v[2:3], off
	global_wb scope:SCOPE_SYS
	s_wait_storecnt 0x0
	s_wait_xcnt 0x0
	global_atomic_cmpswap_b64 v[0:1], v8, v[0:3], s[2:3] offset:24 th:TH_ATOMIC_RETURN scope:SCOPE_SYS
	s_wait_loadcnt 0x0
	v_cmp_eq_u64_e32 vcc_lo, v[0:1], v[2:3]
	v_mov_b64_e32 v[2:3], v[0:1]
	s_or_b32 s4, vcc_lo, s4
	s_delay_alu instid0(SALU_CYCLE_1)
	s_and_not1_b32 exec_lo, exec_lo, s4
	s_cbranch_execnz .LBB71_113
.LBB71_114:
	s_or_b32 exec_lo, exec_lo, s6
	s_wait_loadcnt 0x0
	v_dual_mov_b32 v0, v6 :: v_dual_mov_b32 v1, v7
	s_wait_kmcnt 0x0
	s_set_pc_i64 s[30:31]
.Lfunc_end71:
	.size	__ockl_printf_append_string_n, .Lfunc_end71-__ockl_printf_append_string_n
                                        ; -- End function
	.set .L__ockl_printf_append_string_n.num_vgpr, 50
	.set .L__ockl_printf_append_string_n.num_agpr, 0
	.set .L__ockl_printf_append_string_n.numbered_sgpr, 32
	.set .L__ockl_printf_append_string_n.num_named_barrier, 0
	.set .L__ockl_printf_append_string_n.private_seg_size, 0
	.set .L__ockl_printf_append_string_n.uses_vcc, 1
	.set .L__ockl_printf_append_string_n.uses_flat_scratch, 0
	.set .L__ockl_printf_append_string_n.has_dyn_sized_stack, 0
	.set .L__ockl_printf_append_string_n.has_recursion, 0
	.set .L__ockl_printf_append_string_n.has_indirect_call, 0
	.section	.AMDGPU.csdata,"",@progbits
; Function info:
; codeLenInByte = 4348
; TotalNumSgprs: 34
; NumVgprs: 50
; ScratchSize: 0
; MemoryBound: 0
	.text
	.p2align	2                               ; -- Begin function __ockl_printf_append_args
	.type	__ockl_printf_append_args,@function
__ockl_printf_append_args:              ; @__ockl_printf_append_args
; %bb.0:
	s_wait_loadcnt_dscnt 0x0
	s_wait_kmcnt 0x0
	s_load_b64 s[2:3], s[8:9], 0x50
	v_mbcnt_lo_u32_b32 v5, -1, 0
	v_mov_b64_e32 v[12:13], 0
	s_delay_alu instid0(VALU_DEP_2) | instskip(NEXT) | instid1(VALU_DEP_1)
	v_readfirstlane_b32 s0, v5
	v_cmp_eq_u32_e64 s0, s0, v5
	s_and_saveexec_b32 s1, s0
	s_cbranch_execz .LBB72_6
; %bb.1:
	v_mov_b32_e32 v6, 0
	s_mov_b32 s4, exec_lo
	s_wait_kmcnt 0x0
	global_load_b64 v[10:11], v6, s[2:3] offset:24 scope:SCOPE_SYS
	s_wait_loadcnt 0x0
	global_inv scope:SCOPE_SYS
	s_clause 0x1
	global_load_b64 v[8:9], v6, s[2:3] offset:40
	global_load_b64 v[12:13], v6, s[2:3]
	s_wait_loadcnt 0x1
	v_and_b32_e32 v8, v8, v10
	v_and_b32_e32 v9, v9, v11
	s_delay_alu instid0(VALU_DEP_1) | instskip(SKIP_1) | instid1(VALU_DEP_1)
	v_mul_u64_e32 v[8:9], 24, v[8:9]
	s_wait_loadcnt 0x0
	v_add_nc_u64_e32 v[8:9], v[12:13], v[8:9]
	global_load_b64 v[8:9], v[8:9], off scope:SCOPE_SYS
	s_wait_xcnt 0x0
	s_wait_loadcnt 0x0
	global_atomic_cmpswap_b64 v[12:13], v6, v[8:11], s[2:3] offset:24 th:TH_ATOMIC_RETURN scope:SCOPE_SYS
	s_wait_loadcnt 0x0
	global_inv scope:SCOPE_SYS
	s_wait_xcnt 0x0
	v_cmpx_ne_u64_e64 v[12:13], v[10:11]
	s_cbranch_execz .LBB72_5
; %bb.2:
	s_mov_b32 s5, 0
.LBB72_3:                               ; =>This Inner Loop Header: Depth=1
	s_sleep 1
	s_clause 0x1
	global_load_b64 v[8:9], v6, s[2:3] offset:40
	global_load_b64 v[14:15], v6, s[2:3]
	v_mov_b64_e32 v[10:11], v[12:13]
	s_wait_loadcnt 0x1
	s_delay_alu instid0(VALU_DEP_1) | instskip(SKIP_1) | instid1(VALU_DEP_1)
	v_and_b32_e32 v7, v8, v10
	s_wait_loadcnt 0x0
	v_mad_nc_u64_u32 v[12:13], v7, 24, v[14:15]
	s_delay_alu instid0(VALU_DEP_3) | instskip(NEXT) | instid1(VALU_DEP_1)
	v_and_b32_e32 v7, v9, v11
	v_mad_u32 v13, v7, 24, v13
	global_load_b64 v[8:9], v[12:13], off scope:SCOPE_SYS
	s_wait_xcnt 0x0
	s_wait_loadcnt 0x0
	global_atomic_cmpswap_b64 v[12:13], v6, v[8:11], s[2:3] offset:24 th:TH_ATOMIC_RETURN scope:SCOPE_SYS
	s_wait_loadcnt 0x0
	global_inv scope:SCOPE_SYS
	v_cmp_eq_u64_e32 vcc_lo, v[12:13], v[10:11]
	s_or_b32 s5, vcc_lo, s5
	s_wait_xcnt 0x0
	s_and_not1_b32 exec_lo, exec_lo, s5
	s_cbranch_execnz .LBB72_3
; %bb.4:
	s_or_b32 exec_lo, exec_lo, s5
.LBB72_5:
	s_delay_alu instid0(SALU_CYCLE_1)
	s_or_b32 exec_lo, exec_lo, s4
.LBB72_6:
	s_delay_alu instid0(SALU_CYCLE_1)
	s_or_b32 exec_lo, exec_lo, s1
	v_readfirstlane_b32 s4, v12
	v_mov_b32_e32 v11, 0
	v_readfirstlane_b32 s5, v13
	s_mov_b32 s1, exec_lo
	s_wait_kmcnt 0x0
	s_clause 0x1
	global_load_b64 v[14:15], v11, s[2:3] offset:40
	global_load_b128 v[6:9], v11, s[2:3]
	s_wait_loadcnt 0x1
	v_and_b32_e32 v16, s4, v14
	v_and_b32_e32 v17, s5, v15
	s_delay_alu instid0(VALU_DEP_1) | instskip(SKIP_1) | instid1(VALU_DEP_1)
	v_mul_u64_e32 v[12:13], 24, v[16:17]
	s_wait_loadcnt 0x0
	v_add_nc_u64_e32 v[14:15], v[6:7], v[12:13]
	s_wait_xcnt 0x0
	s_and_saveexec_b32 s6, s0
	s_cbranch_execz .LBB72_8
; %bb.7:
	v_mov_b64_e32 v[12:13], 0x100000002
	v_mov_b32_e32 v10, s1
	global_store_b128 v[14:15], v[10:13], off offset:8
.LBB72_8:
	s_wait_xcnt 0x0
	s_or_b32 exec_lo, exec_lo, s6
	v_lshlrev_b64_e32 v[10:11], 12, v[16:17]
	v_or_b32_e32 v12, 2, v0
	v_cmp_eq_u32_e32 vcc_lo, 0, v4
	s_mov_b32 s8, 0
	v_lshlrev_b32_e32 v4, 6, v5
	s_mov_b32 s9, s8
	s_mov_b32 s10, s8
	v_add_nc_u64_e32 v[8:9], v[8:9], v[10:11]
	v_cndmask_b32_e32 v0, v12, v0, vcc_lo
	s_mov_b32 s11, s8
	s_delay_alu instid0(VALU_DEP_1) | instskip(NEXT) | instid1(VALU_DEP_3)
	v_and_or_b32 v0, 0xffffff1f, v0, 32
	v_readfirstlane_b32 s6, v8
	s_delay_alu instid0(VALU_DEP_4)
	v_readfirstlane_b32 s7, v9
	v_mov_b64_e32 v[8:9], s[8:9]
	v_mov_b64_e32 v[10:11], s[10:11]
	s_clause 0x3
	global_store_b128 v4, v[0:3], s[6:7]
	global_store_b128 v4, v[8:11], s[6:7] offset:16
	global_store_b128 v4, v[8:11], s[6:7] offset:32
	;; [unrolled: 1-line block ×3, first 2 shown]
	s_wait_xcnt 0x0
	s_and_saveexec_b32 s1, s0
	s_cbranch_execz .LBB72_16
; %bb.9:
	v_dual_mov_b32 v8, 0 :: v_dual_mov_b32 v11, s5
	s_mov_b32 s6, exec_lo
	s_clause 0x1
	global_load_b64 v[12:13], v8, s[2:3] offset:32 scope:SCOPE_SYS
	global_load_b64 v[0:1], v8, s[2:3] offset:40
	s_wait_loadcnt 0x0
	v_dual_mov_b32 v10, s4 :: v_dual_bitop2_b32 v1, s5, v1 bitop3:0x40
	v_and_b32_e32 v0, s4, v0
	s_delay_alu instid0(VALU_DEP_1) | instskip(NEXT) | instid1(VALU_DEP_1)
	v_mul_u64_e32 v[0:1], 24, v[0:1]
	v_add_nc_u64_e32 v[4:5], v[6:7], v[0:1]
	global_store_b64 v[4:5], v[12:13], off
	global_wb scope:SCOPE_SYS
	s_wait_storecnt 0x0
	s_wait_xcnt 0x0
	global_atomic_cmpswap_b64 v[2:3], v8, v[10:13], s[2:3] offset:32 th:TH_ATOMIC_RETURN scope:SCOPE_SYS
	s_wait_loadcnt 0x0
	v_cmpx_ne_u64_e64 v[2:3], v[12:13]
	s_cbranch_execz .LBB72_12
; %bb.10:
	s_mov_b32 s7, 0
.LBB72_11:                              ; =>This Inner Loop Header: Depth=1
	v_dual_mov_b32 v0, s4 :: v_dual_mov_b32 v1, s5
	s_sleep 1
	global_store_b64 v[4:5], v[2:3], off
	global_wb scope:SCOPE_SYS
	s_wait_storecnt 0x0
	s_wait_xcnt 0x0
	global_atomic_cmpswap_b64 v[0:1], v8, v[0:3], s[2:3] offset:32 th:TH_ATOMIC_RETURN scope:SCOPE_SYS
	s_wait_loadcnt 0x0
	v_cmp_eq_u64_e32 vcc_lo, v[0:1], v[2:3]
	v_mov_b64_e32 v[2:3], v[0:1]
	s_or_b32 s7, vcc_lo, s7
	s_delay_alu instid0(SALU_CYCLE_1)
	s_and_not1_b32 exec_lo, exec_lo, s7
	s_cbranch_execnz .LBB72_11
.LBB72_12:
	s_or_b32 exec_lo, exec_lo, s6
	v_mov_b32_e32 v3, 0
	s_mov_b32 s7, exec_lo
	s_mov_b32 s6, exec_lo
	v_mbcnt_lo_u32_b32 v2, s7, 0
	global_load_b64 v[0:1], v3, s[2:3] offset:16
	s_wait_xcnt 0x0
	v_cmpx_eq_u32_e32 0, v2
	s_cbranch_execz .LBB72_14
; %bb.13:
	s_bcnt1_i32_b32 s7, s7
	s_delay_alu instid0(SALU_CYCLE_1)
	v_mov_b32_e32 v2, s7
	global_wb scope:SCOPE_SYS
	s_wait_loadcnt 0x0
	s_wait_storecnt 0x0
	global_atomic_add_u64 v[0:1], v[2:3], off offset:8 scope:SCOPE_SYS
.LBB72_14:
	s_wait_xcnt 0x0
	s_or_b32 exec_lo, exec_lo, s6
	s_wait_loadcnt 0x0
	global_load_b64 v[2:3], v[0:1], off offset:16
	s_wait_loadcnt 0x0
	v_cmp_eq_u64_e32 vcc_lo, 0, v[2:3]
	s_cbranch_vccnz .LBB72_16
; %bb.15:
	global_load_b32 v0, v[0:1], off offset:24
	s_wait_xcnt 0x0
	v_mov_b32_e32 v1, 0
	s_wait_loadcnt 0x0
	v_readfirstlane_b32 s6, v0
	global_wb scope:SCOPE_SYS
	s_wait_storecnt 0x0
	global_store_b64 v[2:3], v[0:1], off scope:SCOPE_SYS
	s_and_b32 m0, s6, 0xffffff
	s_sendmsg sendmsg(MSG_INTERRUPT)
.LBB72_16:
	s_wait_xcnt 0x0
	s_or_b32 exec_lo, exec_lo, s1
	s_branch .LBB72_20
.LBB72_17:                              ;   in Loop: Header=BB72_20 Depth=1
	s_wait_xcnt 0x0
	s_or_b32 exec_lo, exec_lo, s1
	s_delay_alu instid0(VALU_DEP_1)
	v_readfirstlane_b32 s1, v0
	s_cmp_eq_u32 s1, 0
	s_cbranch_scc1 .LBB72_19
; %bb.18:                               ;   in Loop: Header=BB72_20 Depth=1
	s_sleep 1
	s_cbranch_execnz .LBB72_20
	s_branch .LBB72_22
.LBB72_19:
	s_branch .LBB72_22
.LBB72_20:                              ; =>This Inner Loop Header: Depth=1
	v_mov_b32_e32 v0, 1
	s_and_saveexec_b32 s1, s0
	s_cbranch_execz .LBB72_17
; %bb.21:                               ;   in Loop: Header=BB72_20 Depth=1
	global_load_b32 v0, v[14:15], off offset:20 scope:SCOPE_SYS
	s_wait_loadcnt 0x0
	global_inv scope:SCOPE_SYS
	v_and_b32_e32 v0, 1, v0
	s_branch .LBB72_17
.LBB72_22:
	s_and_saveexec_b32 s6, s0
	s_cbranch_execz .LBB72_26
; %bb.23:
	v_mov_b32_e32 v6, 0
	s_clause 0x2
	global_load_b64 v[0:1], v6, s[2:3] offset:40
	global_load_b64 v[10:11], v6, s[2:3] offset:24 scope:SCOPE_SYS
	global_load_b64 v[2:3], v6, s[2:3]
	s_wait_loadcnt 0x2
	v_readfirstlane_b32 s8, v0
	v_readfirstlane_b32 s9, v1
	s_add_nc_u64 s[0:1], s[8:9], 1
	s_delay_alu instid0(SALU_CYCLE_1) | instskip(NEXT) | instid1(SALU_CYCLE_1)
	s_add_nc_u64 s[4:5], s[0:1], s[4:5]
	s_cmp_eq_u64 s[4:5], 0
	s_cselect_b32 s1, s1, s5
	s_cselect_b32 s0, s0, s4
	v_mov_b32_e32 v9, s1
	s_and_b64 s[4:5], s[0:1], s[8:9]
	v_mov_b32_e32 v8, s0
	s_mul_u64 s[4:5], s[4:5], 24
	s_wait_loadcnt 0x0
	v_add_nc_u64_e32 v[4:5], s[4:5], v[2:3]
	global_store_b64 v[4:5], v[10:11], off
	global_wb scope:SCOPE_SYS
	s_wait_storecnt 0x0
	s_wait_xcnt 0x0
	global_atomic_cmpswap_b64 v[2:3], v6, v[8:11], s[2:3] offset:24 th:TH_ATOMIC_RETURN scope:SCOPE_SYS
	s_wait_loadcnt 0x0
	v_cmp_ne_u64_e32 vcc_lo, v[2:3], v[10:11]
	s_and_b32 exec_lo, exec_lo, vcc_lo
	s_cbranch_execz .LBB72_26
; %bb.24:
	s_mov_b32 s4, 0
.LBB72_25:                              ; =>This Inner Loop Header: Depth=1
	v_dual_mov_b32 v0, s0 :: v_dual_mov_b32 v1, s1
	s_sleep 1
	global_store_b64 v[4:5], v[2:3], off
	global_wb scope:SCOPE_SYS
	s_wait_storecnt 0x0
	s_wait_xcnt 0x0
	global_atomic_cmpswap_b64 v[0:1], v6, v[0:3], s[2:3] offset:24 th:TH_ATOMIC_RETURN scope:SCOPE_SYS
	s_wait_loadcnt 0x0
	v_cmp_eq_u64_e32 vcc_lo, v[0:1], v[2:3]
	v_mov_b64_e32 v[2:3], v[0:1]
	s_or_b32 s4, vcc_lo, s4
	s_delay_alu instid0(SALU_CYCLE_1)
	s_and_not1_b32 exec_lo, exec_lo, s4
	s_cbranch_execnz .LBB72_25
.LBB72_26:
	s_or_b32 exec_lo, exec_lo, s6
	s_wait_loadcnt 0x0
	s_wait_kmcnt 0x0
	s_set_pc_i64 s[30:31]
.Lfunc_end72:
	.size	__ockl_printf_append_args, .Lfunc_end72-__ockl_printf_append_args
                                        ; -- End function
	.set .L__ockl_printf_append_args.num_vgpr, 18
	.set .L__ockl_printf_append_args.num_agpr, 0
	.set .L__ockl_printf_append_args.numbered_sgpr, 32
	.set .L__ockl_printf_append_args.num_named_barrier, 0
	.set .L__ockl_printf_append_args.private_seg_size, 0
	.set .L__ockl_printf_append_args.uses_vcc, 1
	.set .L__ockl_printf_append_args.uses_flat_scratch, 0
	.set .L__ockl_printf_append_args.has_dyn_sized_stack, 0
	.set .L__ockl_printf_append_args.has_recursion, 0
	.set .L__ockl_printf_append_args.has_indirect_call, 0
	.section	.AMDGPU.csdata,"",@progbits
; Function info:
; codeLenInByte = 1436
; TotalNumSgprs: 34
; NumVgprs: 18
; ScratchSize: 0
; MemoryBound: 0
	.text
	.p2align	2                               ; -- Begin function _ZL14no_device_codePKciS0_iS0_
	.type	_ZL14no_device_codePKciS0_iS0_,@function
_ZL14no_device_codePKciS0_iS0_:         ; @_ZL14no_device_codePKciS0_iS0_
; %bb.0:
	s_wait_loadcnt_dscnt 0x0
	s_wait_kmcnt 0x0
	s_mov_b32 s20, s33
	s_mov_b32 s33, s32
	s_or_saveexec_b32 s0, -1
	scratch_store_b32 off, v40, s33         ; 4-byte Folded Spill
	s_wait_xcnt 0x0
	s_mov_b32 exec_lo, s0
	v_writelane_b32 v40, s30, 0
	s_add_co_i32 s32, s32, 16
	v_writelane_b32 v40, s31, 1
	s_load_b64 s[2:3], s[8:9], 0x50
	v_mbcnt_lo_u32_b32 v29, -1, 0
	v_mov_b64_e32 v[2:3], 0
	s_delay_alu instid0(VALU_DEP_2) | instskip(NEXT) | instid1(VALU_DEP_1)
	v_readfirstlane_b32 s0, v29
	v_cmp_eq_u32_e64 s0, s0, v29
	s_and_saveexec_b32 s1, s0
	s_cbranch_execz .LBB73_6
; %bb.1:
	v_mov_b32_e32 v0, 0
	s_mov_b32 s4, exec_lo
	s_wait_kmcnt 0x0
	global_load_b64 v[4:5], v0, s[2:3] offset:24 scope:SCOPE_SYS
	s_wait_loadcnt 0x0
	global_inv scope:SCOPE_SYS
	s_clause 0x1
	global_load_b64 v[2:3], v0, s[2:3] offset:40
	global_load_b64 v[6:7], v0, s[2:3]
	s_wait_loadcnt 0x1
	v_and_b32_e32 v2, v2, v4
	v_and_b32_e32 v3, v3, v5
	s_delay_alu instid0(VALU_DEP_1) | instskip(SKIP_1) | instid1(VALU_DEP_1)
	v_mul_u64_e32 v[2:3], 24, v[2:3]
	s_wait_loadcnt 0x0
	v_add_nc_u64_e32 v[2:3], v[6:7], v[2:3]
	global_load_b64 v[2:3], v[2:3], off scope:SCOPE_SYS
	s_wait_xcnt 0x0
	s_wait_loadcnt 0x0
	global_atomic_cmpswap_b64 v[2:3], v0, v[2:5], s[2:3] offset:24 th:TH_ATOMIC_RETURN scope:SCOPE_SYS
	s_wait_loadcnt 0x0
	global_inv scope:SCOPE_SYS
	s_wait_xcnt 0x0
	v_cmpx_ne_u64_e64 v[2:3], v[4:5]
	s_cbranch_execz .LBB73_5
; %bb.2:
	s_mov_b32 s5, 0
.LBB73_3:                               ; =>This Inner Loop Header: Depth=1
	s_sleep 1
	s_clause 0x1
	global_load_b64 v[6:7], v0, s[2:3] offset:40
	global_load_b64 v[8:9], v0, s[2:3]
	v_mov_b64_e32 v[4:5], v[2:3]
	s_wait_loadcnt 0x1
	s_delay_alu instid0(VALU_DEP_1) | instskip(SKIP_1) | instid1(VALU_DEP_1)
	v_and_b32_e32 v1, v6, v4
	s_wait_loadcnt 0x0
	v_mad_nc_u64_u32 v[2:3], v1, 24, v[8:9]
	s_delay_alu instid0(VALU_DEP_3) | instskip(NEXT) | instid1(VALU_DEP_1)
	v_and_b32_e32 v1, v7, v5
	v_mad_u32 v3, v1, 24, v3
	global_load_b64 v[2:3], v[2:3], off scope:SCOPE_SYS
	s_wait_xcnt 0x0
	s_wait_loadcnt 0x0
	global_atomic_cmpswap_b64 v[2:3], v0, v[2:5], s[2:3] offset:24 th:TH_ATOMIC_RETURN scope:SCOPE_SYS
	s_wait_loadcnt 0x0
	global_inv scope:SCOPE_SYS
	v_cmp_eq_u64_e32 vcc_lo, v[2:3], v[4:5]
	s_or_b32 s5, vcc_lo, s5
	s_wait_xcnt 0x0
	s_and_not1_b32 exec_lo, exec_lo, s5
	s_cbranch_execnz .LBB73_3
; %bb.4:
	s_or_b32 exec_lo, exec_lo, s5
.LBB73_5:
	s_delay_alu instid0(SALU_CYCLE_1)
	s_or_b32 exec_lo, exec_lo, s4
.LBB73_6:
	s_delay_alu instid0(SALU_CYCLE_1)
	s_or_b32 exec_lo, exec_lo, s1
	v_readfirstlane_b32 s4, v2
	v_mov_b32_e32 v1, 0
	v_readfirstlane_b32 s5, v3
	s_mov_b32 s1, exec_lo
	s_wait_kmcnt 0x0
	s_clause 0x1
	global_load_b64 v[8:9], v1, s[2:3] offset:40
	global_load_b128 v[4:7], v1, s[2:3]
	s_wait_loadcnt 0x1
	v_and_b32_e32 v10, s4, v8
	v_and_b32_e32 v11, s5, v9
	s_delay_alu instid0(VALU_DEP_1) | instskip(SKIP_1) | instid1(VALU_DEP_1)
	v_mul_u64_e32 v[2:3], 24, v[10:11]
	s_wait_loadcnt 0x0
	v_add_nc_u64_e32 v[8:9], v[4:5], v[2:3]
	s_wait_xcnt 0x0
	s_and_saveexec_b32 s6, s0
	s_cbranch_execz .LBB73_8
; %bb.7:
	v_mov_b64_e32 v[2:3], 0x100000002
	v_mov_b32_e32 v0, s1
	global_store_b128 v[8:9], v[0:3], off offset:8
.LBB73_8:
	s_wait_xcnt 0x0
	s_or_b32 exec_lo, exec_lo, s6
	v_lshlrev_b64_e32 v[2:3], 12, v[10:11]
	s_mov_b32 s12, 0
	v_dual_lshlrev_b32 v0, 6, v29 :: v_dual_mov_b32 v10, 33
	s_mov_b32 s14, s12
	s_mov_b32 s15, s12
	;; [unrolled: 1-line block ×3, first 2 shown]
	s_delay_alu instid0(VALU_DEP_2)
	v_add_nc_u64_e32 v[6:7], v[6:7], v[2:3]
	v_mov_b64_e32 v[16:17], s[14:15]
	v_mov_b64_e32 v[14:15], s[12:13]
	v_dual_mov_b32 v11, v1 :: v_dual_mov_b32 v12, v1
	v_mov_b32_e32 v13, v1
	v_readfirstlane_b32 s6, v6
	v_readfirstlane_b32 s7, v7
	s_clause 0x3
	global_store_b128 v0, v[10:13], s[6:7]
	global_store_b128 v0, v[14:17], s[6:7] offset:16
	global_store_b128 v0, v[14:17], s[6:7] offset:32
	;; [unrolled: 1-line block ×3, first 2 shown]
	s_wait_xcnt 0x0
	s_and_saveexec_b32 s1, s0
	s_cbranch_execz .LBB73_16
; %bb.9:
	v_dual_mov_b32 v12, 0 :: v_dual_mov_b32 v15, s5
	s_mov_b32 s6, exec_lo
	s_clause 0x1
	global_load_b64 v[16:17], v12, s[2:3] offset:32 scope:SCOPE_SYS
	global_load_b64 v[2:3], v12, s[2:3] offset:40
	s_wait_loadcnt 0x0
	v_dual_mov_b32 v14, s4 :: v_dual_bitop2_b32 v3, s5, v3 bitop3:0x40
	v_and_b32_e32 v2, s4, v2
	s_delay_alu instid0(VALU_DEP_1) | instskip(NEXT) | instid1(VALU_DEP_1)
	v_mul_u64_e32 v[2:3], 24, v[2:3]
	v_add_nc_u64_e32 v[10:11], v[4:5], v[2:3]
	global_store_b64 v[10:11], v[16:17], off
	global_wb scope:SCOPE_SYS
	s_wait_storecnt 0x0
	s_wait_xcnt 0x0
	global_atomic_cmpswap_b64 v[4:5], v12, v[14:17], s[2:3] offset:32 th:TH_ATOMIC_RETURN scope:SCOPE_SYS
	s_wait_loadcnt 0x0
	v_cmpx_ne_u64_e64 v[4:5], v[16:17]
	s_cbranch_execz .LBB73_12
; %bb.10:
	s_mov_b32 s7, 0
.LBB73_11:                              ; =>This Inner Loop Header: Depth=1
	v_dual_mov_b32 v2, s4 :: v_dual_mov_b32 v3, s5
	s_sleep 1
	global_store_b64 v[10:11], v[4:5], off
	global_wb scope:SCOPE_SYS
	s_wait_storecnt 0x0
	s_wait_xcnt 0x0
	global_atomic_cmpswap_b64 v[2:3], v12, v[2:5], s[2:3] offset:32 th:TH_ATOMIC_RETURN scope:SCOPE_SYS
	s_wait_loadcnt 0x0
	v_cmp_eq_u64_e32 vcc_lo, v[2:3], v[4:5]
	v_mov_b64_e32 v[4:5], v[2:3]
	s_or_b32 s7, vcc_lo, s7
	s_delay_alu instid0(SALU_CYCLE_1)
	s_and_not1_b32 exec_lo, exec_lo, s7
	s_cbranch_execnz .LBB73_11
.LBB73_12:
	s_or_b32 exec_lo, exec_lo, s6
	v_mov_b32_e32 v5, 0
	s_mov_b32 s7, exec_lo
	s_mov_b32 s6, exec_lo
	v_mbcnt_lo_u32_b32 v4, s7, 0
	global_load_b64 v[2:3], v5, s[2:3] offset:16
	s_wait_xcnt 0x0
	v_cmpx_eq_u32_e32 0, v4
	s_cbranch_execz .LBB73_14
; %bb.13:
	s_bcnt1_i32_b32 s7, s7
	s_delay_alu instid0(SALU_CYCLE_1)
	v_mov_b32_e32 v4, s7
	global_wb scope:SCOPE_SYS
	s_wait_loadcnt 0x0
	s_wait_storecnt 0x0
	global_atomic_add_u64 v[2:3], v[4:5], off offset:8 scope:SCOPE_SYS
.LBB73_14:
	s_wait_xcnt 0x0
	s_or_b32 exec_lo, exec_lo, s6
	s_wait_loadcnt 0x0
	global_load_b64 v[4:5], v[2:3], off offset:16
	s_wait_loadcnt 0x0
	v_cmp_eq_u64_e32 vcc_lo, 0, v[4:5]
	s_cbranch_vccnz .LBB73_16
; %bb.15:
	global_load_b32 v2, v[2:3], off offset:24
	s_wait_xcnt 0x0
	v_mov_b32_e32 v3, 0
	s_wait_loadcnt 0x0
	v_readfirstlane_b32 s6, v2
	global_wb scope:SCOPE_SYS
	s_wait_storecnt 0x0
	global_store_b64 v[4:5], v[2:3], off scope:SCOPE_SYS
	s_and_b32 m0, s6, 0xffffff
	s_sendmsg sendmsg(MSG_INTERRUPT)
.LBB73_16:
	s_wait_xcnt 0x0
	s_or_b32 exec_lo, exec_lo, s1
	v_add_nc_u64_e32 v[2:3], v[6:7], v[0:1]
	s_branch .LBB73_20
.LBB73_17:                              ;   in Loop: Header=BB73_20 Depth=1
	s_wait_xcnt 0x0
	s_or_b32 exec_lo, exec_lo, s1
	s_delay_alu instid0(VALU_DEP_1)
	v_readfirstlane_b32 s1, v1
	s_cmp_eq_u32 s1, 0
	s_cbranch_scc1 .LBB73_19
; %bb.18:                               ;   in Loop: Header=BB73_20 Depth=1
	s_sleep 1
	s_cbranch_execnz .LBB73_20
	s_branch .LBB73_22
.LBB73_19:
	s_branch .LBB73_22
.LBB73_20:                              ; =>This Inner Loop Header: Depth=1
	v_mov_b32_e32 v1, 1
	s_and_saveexec_b32 s1, s0
	s_cbranch_execz .LBB73_17
; %bb.21:                               ;   in Loop: Header=BB73_20 Depth=1
	global_load_b32 v1, v[8:9], off offset:20 scope:SCOPE_SYS
	s_wait_loadcnt 0x0
	global_inv scope:SCOPE_SYS
	v_and_b32_e32 v1, 1, v1
	s_branch .LBB73_17
.LBB73_22:
	global_load_b64 v[6:7], v[2:3], off
	s_wait_xcnt 0x0
	s_and_saveexec_b32 s6, s0
	s_cbranch_execz .LBB73_26
; %bb.23:
	v_mov_b32_e32 v1, 0
	s_clause 0x2
	global_load_b64 v[2:3], v1, s[2:3] offset:40
	global_load_b64 v[12:13], v1, s[2:3] offset:24 scope:SCOPE_SYS
	global_load_b64 v[4:5], v1, s[2:3]
	s_wait_loadcnt 0x2
	v_readfirstlane_b32 s10, v2
	v_readfirstlane_b32 s11, v3
	s_add_nc_u64 s[0:1], s[10:11], 1
	s_delay_alu instid0(SALU_CYCLE_1) | instskip(NEXT) | instid1(SALU_CYCLE_1)
	s_add_nc_u64 s[4:5], s[0:1], s[4:5]
	s_cmp_eq_u64 s[4:5], 0
	s_cselect_b32 s1, s1, s5
	s_cselect_b32 s0, s0, s4
	v_mov_b32_e32 v11, s1
	s_and_b64 s[4:5], s[0:1], s[10:11]
	v_mov_b32_e32 v10, s0
	s_mul_u64 s[4:5], s[4:5], 24
	s_wait_loadcnt 0x0
	v_add_nc_u64_e32 v[8:9], s[4:5], v[4:5]
	global_store_b64 v[8:9], v[12:13], off
	global_wb scope:SCOPE_SYS
	s_wait_storecnt 0x0
	s_wait_xcnt 0x0
	global_atomic_cmpswap_b64 v[4:5], v1, v[10:13], s[2:3] offset:24 th:TH_ATOMIC_RETURN scope:SCOPE_SYS
	s_wait_loadcnt 0x0
	v_cmp_ne_u64_e32 vcc_lo, v[4:5], v[12:13]
	s_and_b32 exec_lo, exec_lo, vcc_lo
	s_cbranch_execz .LBB73_26
; %bb.24:
	s_mov_b32 s4, 0
.LBB73_25:                              ; =>This Inner Loop Header: Depth=1
	v_dual_mov_b32 v2, s0 :: v_dual_mov_b32 v3, s1
	s_sleep 1
	global_store_b64 v[8:9], v[4:5], off
	global_wb scope:SCOPE_SYS
	s_wait_storecnt 0x0
	s_wait_xcnt 0x0
	global_atomic_cmpswap_b64 v[2:3], v1, v[2:5], s[2:3] offset:24 th:TH_ATOMIC_RETURN scope:SCOPE_SYS
	s_wait_loadcnt 0x0
	v_cmp_eq_u64_e32 vcc_lo, v[2:3], v[4:5]
	v_mov_b64_e32 v[4:5], v[2:3]
	s_or_b32 s4, vcc_lo, s4
	s_delay_alu instid0(SALU_CYCLE_1)
	s_and_not1_b32 exec_lo, exec_lo, s4
	s_cbranch_execnz .LBB73_25
.LBB73_26:
	s_or_b32 exec_lo, exec_lo, s6
	s_get_pc_i64 s[4:5]
	s_add_nc_u64 s[4:5], s[4:5], .str.5@rel64+4
	s_delay_alu instid0(SALU_CYCLE_1)
	s_cmp_lg_u64 s[4:5], 0
	s_cbranch_scc0 .LBB73_104
; %bb.27:
	v_mov_b64_e32 v[10:11], 0x100000002
	s_wait_loadcnt 0x0
	v_dual_mov_b32 v9, 0 :: v_dual_bitop2_b32 v28, 2, v6 bitop3:0x40
	v_dual_mov_b32 v3, v7 :: v_dual_bitop2_b32 v2, -3, v6 bitop3:0x40
	s_mov_b64 s[6:7], 0x4d
	s_branch .LBB73_29
.LBB73_28:                              ;   in Loop: Header=BB73_29 Depth=1
	s_or_b32 exec_lo, exec_lo, s14
	s_sub_nc_u64 s[6:7], s[6:7], s[10:11]
	s_add_nc_u64 s[4:5], s[4:5], s[10:11]
	s_cmp_lg_u64 s[6:7], 0
	s_cbranch_scc0 .LBB73_105
.LBB73_29:                              ; =>This Loop Header: Depth=1
                                        ;     Child Loop BB73_32 Depth 2
                                        ;     Child Loop BB73_39 Depth 2
                                        ;     Child Loop BB73_46 Depth 2
                                        ;     Child Loop BB73_53 Depth 2
                                        ;     Child Loop BB73_60 Depth 2
                                        ;     Child Loop BB73_67 Depth 2
                                        ;     Child Loop BB73_74 Depth 2
                                        ;     Child Loop BB73_81 Depth 2
                                        ;     Child Loop BB73_89 Depth 2
                                        ;     Child Loop BB73_98 Depth 2
                                        ;     Child Loop BB73_103 Depth 2
	v_min_u64 v[4:5], s[6:7], 56
	v_cmp_gt_u64_e64 s0, s[6:7], 7
	s_and_b32 vcc_lo, exec_lo, s0
	v_readfirstlane_b32 s10, v4
	v_readfirstlane_b32 s11, v5
	s_cbranch_vccnz .LBB73_34
; %bb.30:                               ;   in Loop: Header=BB73_29 Depth=1
	v_mov_b64_e32 v[4:5], 0
	s_cmp_eq_u64 s[6:7], 0
	s_cbranch_scc1 .LBB73_33
; %bb.31:                               ;   in Loop: Header=BB73_29 Depth=1
	s_mov_b64 s[0:1], 0
	s_mov_b64 s[12:13], 0
.LBB73_32:                              ;   Parent Loop BB73_29 Depth=1
                                        ; =>  This Inner Loop Header: Depth=2
	s_wait_xcnt 0x0
	s_add_nc_u64 s[14:15], s[4:5], s[12:13]
	s_add_nc_u64 s[12:13], s[12:13], 1
	global_load_u8 v1, v9, s[14:15]
	s_cmp_lg_u32 s10, s12
	s_wait_loadcnt 0x0
	v_and_b32_e32 v8, 0xffff, v1
	s_delay_alu instid0(VALU_DEP_1) | instskip(SKIP_1) | instid1(VALU_DEP_1)
	v_lshlrev_b64_e32 v[12:13], s0, v[8:9]
	s_add_nc_u64 s[0:1], s[0:1], 8
	v_or_b32_e32 v4, v12, v4
	s_delay_alu instid0(VALU_DEP_2)
	v_or_b32_e32 v5, v13, v5
	s_cbranch_scc1 .LBB73_32
.LBB73_33:                              ;   in Loop: Header=BB73_29 Depth=1
	s_mov_b64 s[12:13], s[4:5]
	s_mov_b32 s16, 0
	s_cbranch_execz .LBB73_35
	s_branch .LBB73_36
.LBB73_34:                              ;   in Loop: Header=BB73_29 Depth=1
	s_add_nc_u64 s[12:13], s[4:5], 8
	s_mov_b32 s16, 0
.LBB73_35:                              ;   in Loop: Header=BB73_29 Depth=1
	global_load_b64 v[4:5], v9, s[4:5]
	s_add_co_i32 s16, s10, -8
.LBB73_36:                              ;   in Loop: Header=BB73_29 Depth=1
	s_delay_alu instid0(SALU_CYCLE_1)
	s_cmp_gt_u32 s16, 7
	s_cbranch_scc1 .LBB73_41
; %bb.37:                               ;   in Loop: Header=BB73_29 Depth=1
	v_mov_b64_e32 v[12:13], 0
	s_cmp_eq_u32 s16, 0
	s_cbranch_scc1 .LBB73_40
; %bb.38:                               ;   in Loop: Header=BB73_29 Depth=1
	s_mov_b64 s[0:1], 0
	s_wait_xcnt 0x0
	s_mov_b64 s[14:15], 0
.LBB73_39:                              ;   Parent Loop BB73_29 Depth=1
                                        ; =>  This Inner Loop Header: Depth=2
	s_wait_xcnt 0x0
	s_add_nc_u64 s[18:19], s[12:13], s[14:15]
	s_add_nc_u64 s[14:15], s[14:15], 1
	global_load_u8 v1, v9, s[18:19]
	s_cmp_lg_u32 s16, s14
	s_wait_loadcnt 0x0
	v_and_b32_e32 v8, 0xffff, v1
	s_delay_alu instid0(VALU_DEP_1) | instskip(SKIP_1) | instid1(VALU_DEP_1)
	v_lshlrev_b64_e32 v[14:15], s0, v[8:9]
	s_add_nc_u64 s[0:1], s[0:1], 8
	v_or_b32_e32 v12, v14, v12
	s_delay_alu instid0(VALU_DEP_2)
	v_or_b32_e32 v13, v15, v13
	s_cbranch_scc1 .LBB73_39
.LBB73_40:                              ;   in Loop: Header=BB73_29 Depth=1
	s_wait_xcnt 0x0
	s_mov_b64 s[0:1], s[12:13]
	s_mov_b32 s17, 0
	s_cbranch_execz .LBB73_42
	s_branch .LBB73_43
.LBB73_41:                              ;   in Loop: Header=BB73_29 Depth=1
	s_add_nc_u64 s[0:1], s[12:13], 8
	s_wait_xcnt 0x0
                                        ; implicit-def: $vgpr12_vgpr13
	s_mov_b32 s17, 0
.LBB73_42:                              ;   in Loop: Header=BB73_29 Depth=1
	global_load_b64 v[12:13], v9, s[12:13]
	s_add_co_i32 s17, s16, -8
.LBB73_43:                              ;   in Loop: Header=BB73_29 Depth=1
	s_delay_alu instid0(SALU_CYCLE_1)
	s_cmp_gt_u32 s17, 7
	s_cbranch_scc1 .LBB73_48
; %bb.44:                               ;   in Loop: Header=BB73_29 Depth=1
	v_mov_b64_e32 v[14:15], 0
	s_cmp_eq_u32 s17, 0
	s_cbranch_scc1 .LBB73_47
; %bb.45:                               ;   in Loop: Header=BB73_29 Depth=1
	s_wait_xcnt 0x0
	s_mov_b64 s[12:13], 0
	s_mov_b64 s[14:15], 0
.LBB73_46:                              ;   Parent Loop BB73_29 Depth=1
                                        ; =>  This Inner Loop Header: Depth=2
	s_wait_xcnt 0x0
	s_add_nc_u64 s[18:19], s[0:1], s[14:15]
	s_add_nc_u64 s[14:15], s[14:15], 1
	global_load_u8 v1, v9, s[18:19]
	s_cmp_lg_u32 s17, s14
	s_wait_loadcnt 0x0
	v_and_b32_e32 v8, 0xffff, v1
	s_delay_alu instid0(VALU_DEP_1) | instskip(SKIP_1) | instid1(VALU_DEP_1)
	v_lshlrev_b64_e32 v[16:17], s12, v[8:9]
	s_add_nc_u64 s[12:13], s[12:13], 8
	v_or_b32_e32 v14, v16, v14
	s_delay_alu instid0(VALU_DEP_2)
	v_or_b32_e32 v15, v17, v15
	s_cbranch_scc1 .LBB73_46
.LBB73_47:                              ;   in Loop: Header=BB73_29 Depth=1
	s_wait_xcnt 0x0
	s_mov_b64 s[12:13], s[0:1]
	s_mov_b32 s16, 0
	s_cbranch_execz .LBB73_49
	s_branch .LBB73_50
.LBB73_48:                              ;   in Loop: Header=BB73_29 Depth=1
	s_wait_xcnt 0x0
	s_add_nc_u64 s[12:13], s[0:1], 8
	s_mov_b32 s16, 0
.LBB73_49:                              ;   in Loop: Header=BB73_29 Depth=1
	global_load_b64 v[14:15], v9, s[0:1]
	s_add_co_i32 s16, s17, -8
.LBB73_50:                              ;   in Loop: Header=BB73_29 Depth=1
	s_delay_alu instid0(SALU_CYCLE_1)
	s_cmp_gt_u32 s16, 7
	s_cbranch_scc1 .LBB73_55
; %bb.51:                               ;   in Loop: Header=BB73_29 Depth=1
	v_mov_b64_e32 v[16:17], 0
	s_cmp_eq_u32 s16, 0
	s_cbranch_scc1 .LBB73_54
; %bb.52:                               ;   in Loop: Header=BB73_29 Depth=1
	s_wait_xcnt 0x0
	s_mov_b64 s[0:1], 0
	s_mov_b64 s[14:15], 0
.LBB73_53:                              ;   Parent Loop BB73_29 Depth=1
                                        ; =>  This Inner Loop Header: Depth=2
	s_wait_xcnt 0x0
	s_add_nc_u64 s[18:19], s[12:13], s[14:15]
	s_add_nc_u64 s[14:15], s[14:15], 1
	global_load_u8 v1, v9, s[18:19]
	s_cmp_lg_u32 s16, s14
	s_wait_loadcnt 0x0
	v_and_b32_e32 v8, 0xffff, v1
	s_delay_alu instid0(VALU_DEP_1) | instskip(SKIP_1) | instid1(VALU_DEP_1)
	v_lshlrev_b64_e32 v[18:19], s0, v[8:9]
	s_add_nc_u64 s[0:1], s[0:1], 8
	v_or_b32_e32 v16, v18, v16
	s_delay_alu instid0(VALU_DEP_2)
	v_or_b32_e32 v17, v19, v17
	s_cbranch_scc1 .LBB73_53
.LBB73_54:                              ;   in Loop: Header=BB73_29 Depth=1
	s_wait_xcnt 0x0
	s_mov_b64 s[0:1], s[12:13]
	s_mov_b32 s17, 0
	s_cbranch_execz .LBB73_56
	s_branch .LBB73_57
.LBB73_55:                              ;   in Loop: Header=BB73_29 Depth=1
	s_wait_xcnt 0x0
	s_add_nc_u64 s[0:1], s[12:13], 8
                                        ; implicit-def: $vgpr16_vgpr17
	s_mov_b32 s17, 0
.LBB73_56:                              ;   in Loop: Header=BB73_29 Depth=1
	global_load_b64 v[16:17], v9, s[12:13]
	s_add_co_i32 s17, s16, -8
.LBB73_57:                              ;   in Loop: Header=BB73_29 Depth=1
	s_delay_alu instid0(SALU_CYCLE_1)
	s_cmp_gt_u32 s17, 7
	s_cbranch_scc1 .LBB73_62
; %bb.58:                               ;   in Loop: Header=BB73_29 Depth=1
	v_mov_b64_e32 v[18:19], 0
	s_cmp_eq_u32 s17, 0
	s_cbranch_scc1 .LBB73_61
; %bb.59:                               ;   in Loop: Header=BB73_29 Depth=1
	s_wait_xcnt 0x0
	s_mov_b64 s[12:13], 0
	s_mov_b64 s[14:15], 0
.LBB73_60:                              ;   Parent Loop BB73_29 Depth=1
                                        ; =>  This Inner Loop Header: Depth=2
	s_wait_xcnt 0x0
	s_add_nc_u64 s[18:19], s[0:1], s[14:15]
	s_add_nc_u64 s[14:15], s[14:15], 1
	global_load_u8 v1, v9, s[18:19]
	s_cmp_lg_u32 s17, s14
	s_wait_loadcnt 0x0
	v_and_b32_e32 v8, 0xffff, v1
	s_delay_alu instid0(VALU_DEP_1) | instskip(SKIP_1) | instid1(VALU_DEP_1)
	v_lshlrev_b64_e32 v[20:21], s12, v[8:9]
	s_add_nc_u64 s[12:13], s[12:13], 8
	v_or_b32_e32 v18, v20, v18
	s_delay_alu instid0(VALU_DEP_2)
	v_or_b32_e32 v19, v21, v19
	s_cbranch_scc1 .LBB73_60
.LBB73_61:                              ;   in Loop: Header=BB73_29 Depth=1
	s_wait_xcnt 0x0
	s_mov_b64 s[12:13], s[0:1]
	s_mov_b32 s16, 0
	s_cbranch_execz .LBB73_63
	s_branch .LBB73_64
.LBB73_62:                              ;   in Loop: Header=BB73_29 Depth=1
	s_wait_xcnt 0x0
	s_add_nc_u64 s[12:13], s[0:1], 8
	s_mov_b32 s16, 0
.LBB73_63:                              ;   in Loop: Header=BB73_29 Depth=1
	global_load_b64 v[18:19], v9, s[0:1]
	s_add_co_i32 s16, s17, -8
.LBB73_64:                              ;   in Loop: Header=BB73_29 Depth=1
	s_delay_alu instid0(SALU_CYCLE_1)
	s_cmp_gt_u32 s16, 7
	s_cbranch_scc1 .LBB73_69
; %bb.65:                               ;   in Loop: Header=BB73_29 Depth=1
	v_mov_b64_e32 v[20:21], 0
	s_cmp_eq_u32 s16, 0
	s_cbranch_scc1 .LBB73_68
; %bb.66:                               ;   in Loop: Header=BB73_29 Depth=1
	s_wait_xcnt 0x0
	s_mov_b64 s[0:1], 0
	s_mov_b64 s[14:15], 0
.LBB73_67:                              ;   Parent Loop BB73_29 Depth=1
                                        ; =>  This Inner Loop Header: Depth=2
	s_wait_xcnt 0x0
	s_add_nc_u64 s[18:19], s[12:13], s[14:15]
	s_add_nc_u64 s[14:15], s[14:15], 1
	global_load_u8 v1, v9, s[18:19]
	s_cmp_lg_u32 s16, s14
	s_wait_loadcnt 0x0
	v_and_b32_e32 v8, 0xffff, v1
	s_delay_alu instid0(VALU_DEP_1) | instskip(SKIP_1) | instid1(VALU_DEP_1)
	v_lshlrev_b64_e32 v[22:23], s0, v[8:9]
	s_add_nc_u64 s[0:1], s[0:1], 8
	v_or_b32_e32 v20, v22, v20
	s_delay_alu instid0(VALU_DEP_2)
	v_or_b32_e32 v21, v23, v21
	s_cbranch_scc1 .LBB73_67
.LBB73_68:                              ;   in Loop: Header=BB73_29 Depth=1
	s_wait_xcnt 0x0
	s_mov_b64 s[0:1], s[12:13]
	s_mov_b32 s17, 0
	s_cbranch_execz .LBB73_70
	s_branch .LBB73_71
.LBB73_69:                              ;   in Loop: Header=BB73_29 Depth=1
	s_wait_xcnt 0x0
	s_add_nc_u64 s[0:1], s[12:13], 8
                                        ; implicit-def: $vgpr20_vgpr21
	s_mov_b32 s17, 0
.LBB73_70:                              ;   in Loop: Header=BB73_29 Depth=1
	global_load_b64 v[20:21], v9, s[12:13]
	s_add_co_i32 s17, s16, -8
.LBB73_71:                              ;   in Loop: Header=BB73_29 Depth=1
	s_delay_alu instid0(SALU_CYCLE_1)
	s_cmp_gt_u32 s17, 7
	s_cbranch_scc1 .LBB73_76
; %bb.72:                               ;   in Loop: Header=BB73_29 Depth=1
	v_mov_b64_e32 v[22:23], 0
	s_cmp_eq_u32 s17, 0
	s_cbranch_scc1 .LBB73_75
; %bb.73:                               ;   in Loop: Header=BB73_29 Depth=1
	s_wait_xcnt 0x0
	s_mov_b64 s[12:13], 0
	s_mov_b64 s[14:15], s[0:1]
.LBB73_74:                              ;   Parent Loop BB73_29 Depth=1
                                        ; =>  This Inner Loop Header: Depth=2
	global_load_u8 v1, v9, s[14:15]
	s_add_co_i32 s17, s17, -1
	s_wait_xcnt 0x0
	s_add_nc_u64 s[14:15], s[14:15], 1
	s_cmp_lg_u32 s17, 0
	s_wait_loadcnt 0x0
	v_and_b32_e32 v8, 0xffff, v1
	s_delay_alu instid0(VALU_DEP_1) | instskip(SKIP_1) | instid1(VALU_DEP_1)
	v_lshlrev_b64_e32 v[24:25], s12, v[8:9]
	s_add_nc_u64 s[12:13], s[12:13], 8
	v_or_b32_e32 v22, v24, v22
	s_delay_alu instid0(VALU_DEP_2)
	v_or_b32_e32 v23, v25, v23
	s_cbranch_scc1 .LBB73_74
.LBB73_75:                              ;   in Loop: Header=BB73_29 Depth=1
	s_wait_xcnt 0x0
	s_cbranch_execz .LBB73_77
	s_branch .LBB73_78
.LBB73_76:                              ;   in Loop: Header=BB73_29 Depth=1
	s_wait_xcnt 0x0
.LBB73_77:                              ;   in Loop: Header=BB73_29 Depth=1
	global_load_b64 v[22:23], v9, s[0:1]
.LBB73_78:                              ;   in Loop: Header=BB73_29 Depth=1
	s_wait_xcnt 0x0
	v_readfirstlane_b32 s0, v29
	v_mov_b64_e32 v[30:31], 0
	s_delay_alu instid0(VALU_DEP_2)
	v_cmp_eq_u32_e64 s0, s0, v29
	s_and_saveexec_b32 s1, s0
	s_cbranch_execz .LBB73_84
; %bb.79:                               ;   in Loop: Header=BB73_29 Depth=1
	global_load_b64 v[26:27], v9, s[2:3] offset:24 scope:SCOPE_SYS
	s_wait_loadcnt 0x0
	global_inv scope:SCOPE_SYS
	s_clause 0x1
	global_load_b64 v[24:25], v9, s[2:3] offset:40
	global_load_b64 v[30:31], v9, s[2:3]
	s_mov_b32 s12, exec_lo
	s_wait_loadcnt 0x1
	v_and_b32_e32 v24, v24, v26
	v_and_b32_e32 v25, v25, v27
	s_delay_alu instid0(VALU_DEP_1) | instskip(SKIP_1) | instid1(VALU_DEP_1)
	v_mul_u64_e32 v[24:25], 24, v[24:25]
	s_wait_loadcnt 0x0
	v_add_nc_u64_e32 v[24:25], v[30:31], v[24:25]
	global_load_b64 v[24:25], v[24:25], off scope:SCOPE_SYS
	s_wait_xcnt 0x0
	s_wait_loadcnt 0x0
	global_atomic_cmpswap_b64 v[30:31], v9, v[24:27], s[2:3] offset:24 th:TH_ATOMIC_RETURN scope:SCOPE_SYS
	s_wait_loadcnt 0x0
	global_inv scope:SCOPE_SYS
	s_wait_xcnt 0x0
	v_cmpx_ne_u64_e64 v[30:31], v[26:27]
	s_cbranch_execz .LBB73_83
; %bb.80:                               ;   in Loop: Header=BB73_29 Depth=1
	s_mov_b32 s13, 0
.LBB73_81:                              ;   Parent Loop BB73_29 Depth=1
                                        ; =>  This Inner Loop Header: Depth=2
	s_sleep 1
	s_clause 0x1
	global_load_b64 v[24:25], v9, s[2:3] offset:40
	global_load_b64 v[32:33], v9, s[2:3]
	v_mov_b64_e32 v[26:27], v[30:31]
	s_wait_loadcnt 0x1
	s_delay_alu instid0(VALU_DEP_1) | instskip(SKIP_1) | instid1(VALU_DEP_1)
	v_and_b32_e32 v1, v24, v26
	s_wait_loadcnt 0x0
	v_mad_nc_u64_u32 v[30:31], v1, 24, v[32:33]
	s_delay_alu instid0(VALU_DEP_3) | instskip(NEXT) | instid1(VALU_DEP_1)
	v_and_b32_e32 v1, v25, v27
	v_mad_u32 v31, v1, 24, v31
	global_load_b64 v[24:25], v[30:31], off scope:SCOPE_SYS
	s_wait_xcnt 0x0
	s_wait_loadcnt 0x0
	global_atomic_cmpswap_b64 v[30:31], v9, v[24:27], s[2:3] offset:24 th:TH_ATOMIC_RETURN scope:SCOPE_SYS
	s_wait_loadcnt 0x0
	global_inv scope:SCOPE_SYS
	v_cmp_eq_u64_e32 vcc_lo, v[30:31], v[26:27]
	s_or_b32 s13, vcc_lo, s13
	s_wait_xcnt 0x0
	s_and_not1_b32 exec_lo, exec_lo, s13
	s_cbranch_execnz .LBB73_81
; %bb.82:                               ;   in Loop: Header=BB73_29 Depth=1
	s_or_b32 exec_lo, exec_lo, s13
.LBB73_83:                              ;   in Loop: Header=BB73_29 Depth=1
	s_delay_alu instid0(SALU_CYCLE_1)
	s_or_b32 exec_lo, exec_lo, s12
.LBB73_84:                              ;   in Loop: Header=BB73_29 Depth=1
	s_delay_alu instid0(SALU_CYCLE_1)
	s_or_b32 exec_lo, exec_lo, s1
	s_clause 0x1
	global_load_b64 v[32:33], v9, s[2:3] offset:40
	global_load_b128 v[24:27], v9, s[2:3]
	v_readfirstlane_b32 s12, v30
	v_readfirstlane_b32 s13, v31
	s_mov_b32 s1, exec_lo
	s_wait_loadcnt 0x1
	v_and_b32_e32 v32, s12, v32
	v_and_b32_e32 v33, s13, v33
	s_delay_alu instid0(VALU_DEP_1) | instskip(SKIP_1) | instid1(VALU_DEP_1)
	v_mul_u64_e32 v[30:31], 24, v[32:33]
	s_wait_loadcnt 0x0
	v_add_nc_u64_e32 v[30:31], v[24:25], v[30:31]
	s_wait_xcnt 0x0
	s_and_saveexec_b32 s14, s0
	s_cbranch_execz .LBB73_86
; %bb.85:                               ;   in Loop: Header=BB73_29 Depth=1
	v_mov_b32_e32 v8, s1
	global_store_b128 v[30:31], v[8:11], off offset:8
.LBB73_86:                              ;   in Loop: Header=BB73_29 Depth=1
	s_wait_xcnt 0x0
	s_or_b32 exec_lo, exec_lo, s14
	v_cmp_lt_u64_e64 vcc_lo, s[6:7], 57
	v_lshlrev_b64_e32 v[32:33], 12, v[32:33]
	v_and_b32_e32 v2, 0xffffff1f, v2
	s_lshl_b32 s1, s10, 2
	s_delay_alu instid0(SALU_CYCLE_1) | instskip(SKIP_1) | instid1(VALU_DEP_3)
	s_add_co_i32 s1, s1, 28
	v_cndmask_b32_e32 v1, 0, v28, vcc_lo
	v_add_nc_u64_e32 v[26:27], v[26:27], v[32:33]
	s_delay_alu instid0(VALU_DEP_2) | instskip(NEXT) | instid1(VALU_DEP_2)
	v_or_b32_e32 v1, v2, v1
	v_readfirstlane_b32 s14, v26
	s_delay_alu instid0(VALU_DEP_3) | instskip(NEXT) | instid1(VALU_DEP_3)
	v_readfirstlane_b32 s15, v27
	v_and_or_b32 v2, 0x1e0, s1, v1
	s_clause 0x3
	global_store_b128 v0, v[2:5], s[14:15]
	global_store_b128 v0, v[12:15], s[14:15] offset:16
	global_store_b128 v0, v[16:19], s[14:15] offset:32
	;; [unrolled: 1-line block ×3, first 2 shown]
	s_wait_xcnt 0x0
	s_and_saveexec_b32 s1, s0
	s_cbranch_execz .LBB73_94
; %bb.87:                               ;   in Loop: Header=BB73_29 Depth=1
	s_clause 0x1
	global_load_b64 v[16:17], v9, s[2:3] offset:32 scope:SCOPE_SYS
	global_load_b64 v[2:3], v9, s[2:3] offset:40
	s_mov_b32 s14, exec_lo
	v_dual_mov_b32 v14, s12 :: v_dual_mov_b32 v15, s13
	s_wait_loadcnt 0x0
	v_and_b32_e32 v3, s13, v3
	v_and_b32_e32 v2, s12, v2
	s_delay_alu instid0(VALU_DEP_1) | instskip(NEXT) | instid1(VALU_DEP_1)
	v_mul_u64_e32 v[2:3], 24, v[2:3]
	v_add_nc_u64_e32 v[12:13], v[24:25], v[2:3]
	global_store_b64 v[12:13], v[16:17], off
	global_wb scope:SCOPE_SYS
	s_wait_storecnt 0x0
	s_wait_xcnt 0x0
	global_atomic_cmpswap_b64 v[4:5], v9, v[14:17], s[2:3] offset:32 th:TH_ATOMIC_RETURN scope:SCOPE_SYS
	s_wait_loadcnt 0x0
	v_cmpx_ne_u64_e64 v[4:5], v[16:17]
	s_cbranch_execz .LBB73_90
; %bb.88:                               ;   in Loop: Header=BB73_29 Depth=1
	s_mov_b32 s15, 0
.LBB73_89:                              ;   Parent Loop BB73_29 Depth=1
                                        ; =>  This Inner Loop Header: Depth=2
	v_dual_mov_b32 v2, s12 :: v_dual_mov_b32 v3, s13
	s_sleep 1
	global_store_b64 v[12:13], v[4:5], off
	global_wb scope:SCOPE_SYS
	s_wait_storecnt 0x0
	s_wait_xcnt 0x0
	global_atomic_cmpswap_b64 v[2:3], v9, v[2:5], s[2:3] offset:32 th:TH_ATOMIC_RETURN scope:SCOPE_SYS
	s_wait_loadcnt 0x0
	v_cmp_eq_u64_e32 vcc_lo, v[2:3], v[4:5]
	v_mov_b64_e32 v[4:5], v[2:3]
	s_or_b32 s15, vcc_lo, s15
	s_delay_alu instid0(SALU_CYCLE_1)
	s_and_not1_b32 exec_lo, exec_lo, s15
	s_cbranch_execnz .LBB73_89
.LBB73_90:                              ;   in Loop: Header=BB73_29 Depth=1
	s_or_b32 exec_lo, exec_lo, s14
	global_load_b64 v[2:3], v9, s[2:3] offset:16
	s_mov_b32 s15, exec_lo
	s_mov_b32 s14, exec_lo
	v_mbcnt_lo_u32_b32 v1, s15, 0
	s_wait_xcnt 0x0
	s_delay_alu instid0(VALU_DEP_1)
	v_cmpx_eq_u32_e32 0, v1
	s_cbranch_execz .LBB73_92
; %bb.91:                               ;   in Loop: Header=BB73_29 Depth=1
	s_bcnt1_i32_b32 s15, s15
	s_delay_alu instid0(SALU_CYCLE_1)
	v_mov_b32_e32 v8, s15
	global_wb scope:SCOPE_SYS
	s_wait_loadcnt 0x0
	s_wait_storecnt 0x0
	global_atomic_add_u64 v[2:3], v[8:9], off offset:8 scope:SCOPE_SYS
.LBB73_92:                              ;   in Loop: Header=BB73_29 Depth=1
	s_wait_xcnt 0x0
	s_or_b32 exec_lo, exec_lo, s14
	s_wait_loadcnt 0x0
	global_load_b64 v[4:5], v[2:3], off offset:16
	s_wait_loadcnt 0x0
	v_cmp_eq_u64_e32 vcc_lo, 0, v[4:5]
	s_cbranch_vccnz .LBB73_94
; %bb.93:                               ;   in Loop: Header=BB73_29 Depth=1
	global_load_b32 v8, v[2:3], off offset:24
	s_wait_loadcnt 0x0
	v_readfirstlane_b32 s14, v8
	global_wb scope:SCOPE_SYS
	s_wait_storecnt 0x0
	s_wait_xcnt 0x0
	global_store_b64 v[4:5], v[8:9], off scope:SCOPE_SYS
	s_and_b32 m0, s14, 0xffffff
	s_sendmsg sendmsg(MSG_INTERRUPT)
.LBB73_94:                              ;   in Loop: Header=BB73_29 Depth=1
	s_wait_xcnt 0x0
	s_or_b32 exec_lo, exec_lo, s1
	v_mov_b32_e32 v1, v9
	s_delay_alu instid0(VALU_DEP_1)
	v_add_nc_u64_e32 v[2:3], v[26:27], v[0:1]
	s_branch .LBB73_98
.LBB73_95:                              ;   in Loop: Header=BB73_98 Depth=2
	s_wait_xcnt 0x0
	s_or_b32 exec_lo, exec_lo, s1
	s_delay_alu instid0(VALU_DEP_1)
	v_readfirstlane_b32 s1, v1
	s_cmp_eq_u32 s1, 0
	s_cbranch_scc1 .LBB73_97
; %bb.96:                               ;   in Loop: Header=BB73_98 Depth=2
	s_sleep 1
	s_cbranch_execnz .LBB73_98
	s_branch .LBB73_100
.LBB73_97:                              ;   in Loop: Header=BB73_29 Depth=1
	s_branch .LBB73_100
.LBB73_98:                              ;   Parent Loop BB73_29 Depth=1
                                        ; =>  This Inner Loop Header: Depth=2
	v_mov_b32_e32 v1, 1
	s_and_saveexec_b32 s1, s0
	s_cbranch_execz .LBB73_95
; %bb.99:                               ;   in Loop: Header=BB73_98 Depth=2
	global_load_b32 v1, v[30:31], off offset:20 scope:SCOPE_SYS
	s_wait_loadcnt 0x0
	global_inv scope:SCOPE_SYS
	v_and_b32_e32 v1, 1, v1
	s_branch .LBB73_95
.LBB73_100:                             ;   in Loop: Header=BB73_29 Depth=1
	global_load_b64 v[2:3], v[2:3], off
	s_wait_xcnt 0x0
	s_and_saveexec_b32 s14, s0
	s_cbranch_execz .LBB73_28
; %bb.101:                              ;   in Loop: Header=BB73_29 Depth=1
	s_clause 0x2
	global_load_b64 v[4:5], v9, s[2:3] offset:40
	global_load_b64 v[16:17], v9, s[2:3] offset:24 scope:SCOPE_SYS
	global_load_b64 v[12:13], v9, s[2:3]
	s_wait_loadcnt 0x2
	v_readfirstlane_b32 s16, v4
	v_readfirstlane_b32 s17, v5
	s_add_nc_u64 s[0:1], s[16:17], 1
	s_delay_alu instid0(SALU_CYCLE_1) | instskip(NEXT) | instid1(SALU_CYCLE_1)
	s_add_nc_u64 s[12:13], s[0:1], s[12:13]
	s_cmp_eq_u64 s[12:13], 0
	s_cselect_b32 s1, s1, s13
	s_cselect_b32 s0, s0, s12
	s_delay_alu instid0(SALU_CYCLE_1) | instskip(SKIP_1) | instid1(SALU_CYCLE_1)
	v_dual_mov_b32 v15, s1 :: v_dual_mov_b32 v14, s0
	s_and_b64 s[12:13], s[0:1], s[16:17]
	s_mul_u64 s[12:13], s[12:13], 24
	s_wait_loadcnt 0x0
	v_add_nc_u64_e32 v[4:5], s[12:13], v[12:13]
	global_store_b64 v[4:5], v[16:17], off
	global_wb scope:SCOPE_SYS
	s_wait_storecnt 0x0
	s_wait_xcnt 0x0
	global_atomic_cmpswap_b64 v[14:15], v9, v[14:17], s[2:3] offset:24 th:TH_ATOMIC_RETURN scope:SCOPE_SYS
	s_wait_loadcnt 0x0
	v_cmp_ne_u64_e32 vcc_lo, v[14:15], v[16:17]
	s_and_b32 exec_lo, exec_lo, vcc_lo
	s_cbranch_execz .LBB73_28
; %bb.102:                              ;   in Loop: Header=BB73_29 Depth=1
	s_mov_b32 s12, 0
.LBB73_103:                             ;   Parent Loop BB73_29 Depth=1
                                        ; =>  This Inner Loop Header: Depth=2
	v_dual_mov_b32 v12, s0 :: v_dual_mov_b32 v13, s1
	s_sleep 1
	global_store_b64 v[4:5], v[14:15], off
	global_wb scope:SCOPE_SYS
	s_wait_storecnt 0x0
	s_wait_xcnt 0x0
	global_atomic_cmpswap_b64 v[12:13], v9, v[12:15], s[2:3] offset:24 th:TH_ATOMIC_RETURN scope:SCOPE_SYS
	s_wait_loadcnt 0x0
	v_cmp_eq_u64_e32 vcc_lo, v[12:13], v[14:15]
	v_mov_b64_e32 v[14:15], v[12:13]
	s_or_b32 s12, vcc_lo, s12
	s_delay_alu instid0(SALU_CYCLE_1)
	s_and_not1_b32 exec_lo, exec_lo, s12
	s_cbranch_execnz .LBB73_103
	s_branch .LBB73_28
.LBB73_104:
                                        ; implicit-def: $vgpr2_vgpr3
	s_cbranch_execnz .LBB73_106
	s_branch .LBB73_133
.LBB73_105:
	s_branch .LBB73_133
.LBB73_106:
	v_readfirstlane_b32 s0, v29
	v_mov_b64_e32 v[8:9], 0
	s_delay_alu instid0(VALU_DEP_2)
	v_cmp_eq_u32_e64 s0, s0, v29
	s_and_saveexec_b32 s1, s0
	s_cbranch_execz .LBB73_112
; %bb.107:
	v_mov_b32_e32 v1, 0
	s_mov_b32 s4, exec_lo
	global_load_b64 v[4:5], v1, s[2:3] offset:24 scope:SCOPE_SYS
	s_wait_loadcnt 0x0
	global_inv scope:SCOPE_SYS
	s_clause 0x1
	global_load_b64 v[2:3], v1, s[2:3] offset:40
	global_load_b64 v[8:9], v1, s[2:3]
	s_wait_loadcnt 0x1
	v_and_b32_e32 v2, v2, v4
	v_and_b32_e32 v3, v3, v5
	s_delay_alu instid0(VALU_DEP_1) | instskip(SKIP_1) | instid1(VALU_DEP_1)
	v_mul_u64_e32 v[2:3], 24, v[2:3]
	s_wait_loadcnt 0x0
	v_add_nc_u64_e32 v[2:3], v[8:9], v[2:3]
	global_load_b64 v[2:3], v[2:3], off scope:SCOPE_SYS
	s_wait_xcnt 0x0
	s_wait_loadcnt 0x0
	global_atomic_cmpswap_b64 v[8:9], v1, v[2:5], s[2:3] offset:24 th:TH_ATOMIC_RETURN scope:SCOPE_SYS
	s_wait_loadcnt 0x0
	global_inv scope:SCOPE_SYS
	s_wait_xcnt 0x0
	v_cmpx_ne_u64_e64 v[8:9], v[4:5]
	s_cbranch_execz .LBB73_111
; %bb.108:
	s_mov_b32 s5, 0
.LBB73_109:                             ; =>This Inner Loop Header: Depth=1
	s_sleep 1
	s_clause 0x1
	global_load_b64 v[2:3], v1, s[2:3] offset:40
	global_load_b64 v[10:11], v1, s[2:3]
	v_mov_b64_e32 v[4:5], v[8:9]
	s_wait_loadcnt 0x1
	s_delay_alu instid0(VALU_DEP_1) | instskip(SKIP_1) | instid1(VALU_DEP_1)
	v_and_b32_e32 v2, v2, v4
	s_wait_loadcnt 0x0
	v_mad_nc_u64_u32 v[8:9], v2, 24, v[10:11]
	s_delay_alu instid0(VALU_DEP_3) | instskip(NEXT) | instid1(VALU_DEP_1)
	v_and_b32_e32 v2, v3, v5
	v_mad_u32 v9, v2, 24, v9
	global_load_b64 v[2:3], v[8:9], off scope:SCOPE_SYS
	s_wait_xcnt 0x0
	s_wait_loadcnt 0x0
	global_atomic_cmpswap_b64 v[8:9], v1, v[2:5], s[2:3] offset:24 th:TH_ATOMIC_RETURN scope:SCOPE_SYS
	s_wait_loadcnt 0x0
	global_inv scope:SCOPE_SYS
	v_cmp_eq_u64_e32 vcc_lo, v[8:9], v[4:5]
	s_or_b32 s5, vcc_lo, s5
	s_wait_xcnt 0x0
	s_and_not1_b32 exec_lo, exec_lo, s5
	s_cbranch_execnz .LBB73_109
; %bb.110:
	s_or_b32 exec_lo, exec_lo, s5
.LBB73_111:
	s_delay_alu instid0(SALU_CYCLE_1)
	s_or_b32 exec_lo, exec_lo, s4
.LBB73_112:
	s_delay_alu instid0(SALU_CYCLE_1)
	s_or_b32 exec_lo, exec_lo, s1
	v_readfirstlane_b32 s4, v8
	v_mov_b32_e32 v1, 0
	v_readfirstlane_b32 s5, v9
	s_mov_b32 s1, exec_lo
	global_load_b64 v[10:11], v1, s[2:3] offset:40
	s_wait_loadcnt 0x1
	global_load_b128 v[2:5], v1, s[2:3]
	s_wait_loadcnt 0x1
	v_and_b32_e32 v8, s4, v10
	v_and_b32_e32 v9, s5, v11
	s_delay_alu instid0(VALU_DEP_1) | instskip(SKIP_1) | instid1(VALU_DEP_1)
	v_mul_u64_e32 v[10:11], 24, v[8:9]
	s_wait_loadcnt 0x0
	v_add_nc_u64_e32 v[10:11], v[2:3], v[10:11]
	s_wait_xcnt 0x0
	s_and_saveexec_b32 s6, s0
	s_cbranch_execz .LBB73_114
; %bb.113:
	v_mov_b64_e32 v[14:15], 0x100000002
	v_dual_mov_b32 v12, s1 :: v_dual_mov_b32 v13, v1
	global_store_b128 v[10:11], v[12:15], off offset:8
.LBB73_114:
	s_wait_xcnt 0x0
	s_or_b32 exec_lo, exec_lo, s6
	v_lshlrev_b64_e32 v[8:9], 12, v[8:9]
	s_mov_b32 s12, 0
	v_and_or_b32 v6, 0xffffff1f, v6, 32
	s_mov_b32 s14, s12
	s_mov_b32 s15, s12
	;; [unrolled: 1-line block ×3, first 2 shown]
	v_mov_b64_e32 v[16:17], s[14:15]
	v_add_nc_u64_e32 v[12:13], v[4:5], v[8:9]
	v_mov_b64_e32 v[14:15], s[12:13]
	v_dual_mov_b32 v8, v1 :: v_dual_mov_b32 v9, v1
	s_delay_alu instid0(VALU_DEP_3) | instskip(NEXT) | instid1(VALU_DEP_4)
	v_readfirstlane_b32 s6, v12
	v_readfirstlane_b32 s7, v13
	s_clause 0x3
	global_store_b128 v0, v[6:9], s[6:7]
	global_store_b128 v0, v[14:17], s[6:7] offset:16
	global_store_b128 v0, v[14:17], s[6:7] offset:32
	;; [unrolled: 1-line block ×3, first 2 shown]
	s_wait_xcnt 0x0
	s_and_saveexec_b32 s1, s0
	s_cbranch_execz .LBB73_122
; %bb.115:
	v_dual_mov_b32 v8, 0 :: v_dual_mov_b32 v15, s5
	s_mov_b32 s6, exec_lo
	s_clause 0x1
	global_load_b64 v[16:17], v8, s[2:3] offset:32 scope:SCOPE_SYS
	global_load_b64 v[4:5], v8, s[2:3] offset:40
	s_wait_loadcnt 0x0
	v_dual_mov_b32 v14, s4 :: v_dual_bitop2_b32 v5, s5, v5 bitop3:0x40
	v_and_b32_e32 v4, s4, v4
	s_delay_alu instid0(VALU_DEP_1) | instskip(NEXT) | instid1(VALU_DEP_1)
	v_mul_u64_e32 v[4:5], 24, v[4:5]
	v_add_nc_u64_e32 v[6:7], v[2:3], v[4:5]
	global_store_b64 v[6:7], v[16:17], off
	global_wb scope:SCOPE_SYS
	s_wait_storecnt 0x0
	s_wait_xcnt 0x0
	global_atomic_cmpswap_b64 v[4:5], v8, v[14:17], s[2:3] offset:32 th:TH_ATOMIC_RETURN scope:SCOPE_SYS
	s_wait_loadcnt 0x0
	v_cmpx_ne_u64_e64 v[4:5], v[16:17]
	s_cbranch_execz .LBB73_118
; %bb.116:
	s_mov_b32 s7, 0
.LBB73_117:                             ; =>This Inner Loop Header: Depth=1
	v_dual_mov_b32 v2, s4 :: v_dual_mov_b32 v3, s5
	s_sleep 1
	global_store_b64 v[6:7], v[4:5], off
	global_wb scope:SCOPE_SYS
	s_wait_storecnt 0x0
	s_wait_xcnt 0x0
	global_atomic_cmpswap_b64 v[2:3], v8, v[2:5], s[2:3] offset:32 th:TH_ATOMIC_RETURN scope:SCOPE_SYS
	s_wait_loadcnt 0x0
	v_cmp_eq_u64_e32 vcc_lo, v[2:3], v[4:5]
	v_mov_b64_e32 v[4:5], v[2:3]
	s_or_b32 s7, vcc_lo, s7
	s_delay_alu instid0(SALU_CYCLE_1)
	s_and_not1_b32 exec_lo, exec_lo, s7
	s_cbranch_execnz .LBB73_117
.LBB73_118:
	s_or_b32 exec_lo, exec_lo, s6
	v_mov_b32_e32 v5, 0
	s_mov_b32 s7, exec_lo
	s_mov_b32 s6, exec_lo
	v_mbcnt_lo_u32_b32 v4, s7, 0
	global_load_b64 v[2:3], v5, s[2:3] offset:16
	s_wait_xcnt 0x0
	v_cmpx_eq_u32_e32 0, v4
	s_cbranch_execz .LBB73_120
; %bb.119:
	s_bcnt1_i32_b32 s7, s7
	s_delay_alu instid0(SALU_CYCLE_1)
	v_mov_b32_e32 v4, s7
	global_wb scope:SCOPE_SYS
	s_wait_loadcnt 0x0
	s_wait_storecnt 0x0
	global_atomic_add_u64 v[2:3], v[4:5], off offset:8 scope:SCOPE_SYS
.LBB73_120:
	s_wait_xcnt 0x0
	s_or_b32 exec_lo, exec_lo, s6
	s_wait_loadcnt 0x0
	global_load_b64 v[4:5], v[2:3], off offset:16
	s_wait_loadcnt 0x0
	v_cmp_eq_u64_e32 vcc_lo, 0, v[4:5]
	s_cbranch_vccnz .LBB73_122
; %bb.121:
	global_load_b32 v2, v[2:3], off offset:24
	s_wait_xcnt 0x0
	v_mov_b32_e32 v3, 0
	s_wait_loadcnt 0x0
	v_readfirstlane_b32 s6, v2
	global_wb scope:SCOPE_SYS
	s_wait_storecnt 0x0
	global_store_b64 v[4:5], v[2:3], off scope:SCOPE_SYS
	s_and_b32 m0, s6, 0xffffff
	s_sendmsg sendmsg(MSG_INTERRUPT)
.LBB73_122:
	s_wait_xcnt 0x0
	s_or_b32 exec_lo, exec_lo, s1
	v_add_nc_u64_e32 v[2:3], v[12:13], v[0:1]
	s_branch .LBB73_126
.LBB73_123:                             ;   in Loop: Header=BB73_126 Depth=1
	s_wait_xcnt 0x0
	s_or_b32 exec_lo, exec_lo, s1
	s_delay_alu instid0(VALU_DEP_1)
	v_readfirstlane_b32 s1, v1
	s_cmp_eq_u32 s1, 0
	s_cbranch_scc1 .LBB73_125
; %bb.124:                              ;   in Loop: Header=BB73_126 Depth=1
	s_sleep 1
	s_cbranch_execnz .LBB73_126
	s_branch .LBB73_128
.LBB73_125:
	s_branch .LBB73_128
.LBB73_126:                             ; =>This Inner Loop Header: Depth=1
	v_mov_b32_e32 v1, 1
	s_and_saveexec_b32 s1, s0
	s_cbranch_execz .LBB73_123
; %bb.127:                              ;   in Loop: Header=BB73_126 Depth=1
	global_load_b32 v1, v[10:11], off offset:20 scope:SCOPE_SYS
	s_wait_loadcnt 0x0
	global_inv scope:SCOPE_SYS
	v_and_b32_e32 v1, 1, v1
	s_branch .LBB73_123
.LBB73_128:
	global_load_b64 v[2:3], v[2:3], off
	s_wait_xcnt 0x0
	s_and_saveexec_b32 s6, s0
	s_cbranch_execz .LBB73_132
; %bb.129:
	v_mov_b32_e32 v1, 0
	s_clause 0x2
	global_load_b64 v[4:5], v1, s[2:3] offset:40
	global_load_b64 v[12:13], v1, s[2:3] offset:24 scope:SCOPE_SYS
	global_load_b64 v[6:7], v1, s[2:3]
	s_wait_loadcnt 0x2
	v_readfirstlane_b32 s10, v4
	v_readfirstlane_b32 s11, v5
	s_add_nc_u64 s[0:1], s[10:11], 1
	s_delay_alu instid0(SALU_CYCLE_1) | instskip(NEXT) | instid1(SALU_CYCLE_1)
	s_add_nc_u64 s[4:5], s[0:1], s[4:5]
	s_cmp_eq_u64 s[4:5], 0
	s_cselect_b32 s1, s1, s5
	s_cselect_b32 s0, s0, s4
	v_mov_b32_e32 v11, s1
	s_and_b64 s[4:5], s[0:1], s[10:11]
	v_mov_b32_e32 v10, s0
	s_mul_u64 s[4:5], s[4:5], 24
	s_wait_loadcnt 0x0
	v_add_nc_u64_e32 v[8:9], s[4:5], v[6:7]
	global_store_b64 v[8:9], v[12:13], off
	global_wb scope:SCOPE_SYS
	s_wait_storecnt 0x0
	s_wait_xcnt 0x0
	global_atomic_cmpswap_b64 v[6:7], v1, v[10:13], s[2:3] offset:24 th:TH_ATOMIC_RETURN scope:SCOPE_SYS
	s_wait_loadcnt 0x0
	v_cmp_ne_u64_e32 vcc_lo, v[6:7], v[12:13]
	s_and_b32 exec_lo, exec_lo, vcc_lo
	s_cbranch_execz .LBB73_132
; %bb.130:
	s_mov_b32 s4, 0
.LBB73_131:                             ; =>This Inner Loop Header: Depth=1
	v_dual_mov_b32 v4, s0 :: v_dual_mov_b32 v5, s1
	s_sleep 1
	global_store_b64 v[8:9], v[6:7], off
	global_wb scope:SCOPE_SYS
	s_wait_storecnt 0x0
	s_wait_xcnt 0x0
	global_atomic_cmpswap_b64 v[4:5], v1, v[4:7], s[2:3] offset:24 th:TH_ATOMIC_RETURN scope:SCOPE_SYS
	s_wait_loadcnt 0x0
	v_cmp_eq_u64_e32 vcc_lo, v[4:5], v[6:7]
	v_mov_b64_e32 v[6:7], v[4:5]
	s_or_b32 s4, vcc_lo, s4
	s_delay_alu instid0(SALU_CYCLE_1)
	s_and_not1_b32 exec_lo, exec_lo, s4
	s_cbranch_execnz .LBB73_131
.LBB73_132:
	s_or_b32 exec_lo, exec_lo, s6
.LBB73_133:
	s_get_pc_i64 s[4:5]
	s_add_nc_u64 s[4:5], s[4:5], .str.3@rel64+4
	s_mov_b64 s[6:7], 0
	s_cmp_lg_u64 s[4:5], 0
	s_cselect_b32 s10, -1, 0
	s_cmp_eq_u64 s[4:5], 0
	s_cbranch_scc1 .LBB73_137
; %bb.134:
	s_get_pc_i64 s[0:1]
	s_add_nc_u64 s[0:1], s[0:1], .str.3@rel64+3
.LBB73_135:                             ; =>This Inner Loop Header: Depth=1
	s_load_u8 s6, s[0:1], 0x1
	s_wait_xcnt 0x0
	s_add_nc_u64 s[0:1], s[0:1], 1
	s_wait_kmcnt 0x0
	s_cmp_lg_u32 s6, 0
	s_cbranch_scc1 .LBB73_135
; %bb.136:
	s_get_pc_i64 s[6:7]
	s_add_nc_u64 s[6:7], s[6:7], .str.3@rel64+4
	s_delay_alu instid0(SALU_CYCLE_1) | instskip(NEXT) | instid1(SALU_CYCLE_1)
	s_sub_nc_u64 s[0:1], s[0:1], s[6:7]
	s_add_nc_u64 s[6:7], s[0:1], 1
.LBB73_137:
	s_and_b32 vcc_lo, exec_lo, s10
	s_cbranch_vccz .LBB73_215
; %bb.138:
	v_mov_b64_e32 v[10:11], 0x100000002
	s_wait_loadcnt 0x0
	v_dual_mov_b32 v9, 0 :: v_dual_bitop2_b32 v28, 2, v2 bitop3:0x40
	v_dual_mov_b32 v5, v3 :: v_dual_bitop2_b32 v4, -3, v2 bitop3:0x40
	s_branch .LBB73_140
.LBB73_139:                             ;   in Loop: Header=BB73_140 Depth=1
	s_or_b32 exec_lo, exec_lo, s14
	s_sub_nc_u64 s[6:7], s[6:7], s[10:11]
	s_add_nc_u64 s[4:5], s[4:5], s[10:11]
	s_cmp_lg_u64 s[6:7], 0
	s_cbranch_scc0 .LBB73_216
.LBB73_140:                             ; =>This Loop Header: Depth=1
                                        ;     Child Loop BB73_143 Depth 2
                                        ;     Child Loop BB73_150 Depth 2
	;; [unrolled: 1-line block ×11, first 2 shown]
	v_min_u64 v[6:7], s[6:7], 56
	v_cmp_gt_u64_e64 s0, s[6:7], 7
	s_and_b32 vcc_lo, exec_lo, s0
	v_readfirstlane_b32 s10, v6
	v_readfirstlane_b32 s11, v7
	s_cbranch_vccnz .LBB73_145
; %bb.141:                              ;   in Loop: Header=BB73_140 Depth=1
	v_mov_b64_e32 v[6:7], 0
	s_cmp_eq_u64 s[6:7], 0
	s_cbranch_scc1 .LBB73_144
; %bb.142:                              ;   in Loop: Header=BB73_140 Depth=1
	s_mov_b64 s[0:1], 0
	s_mov_b64 s[12:13], 0
.LBB73_143:                             ;   Parent Loop BB73_140 Depth=1
                                        ; =>  This Inner Loop Header: Depth=2
	s_wait_xcnt 0x0
	s_add_nc_u64 s[14:15], s[4:5], s[12:13]
	s_add_nc_u64 s[12:13], s[12:13], 1
	global_load_u8 v1, v9, s[14:15]
	s_cmp_lg_u32 s10, s12
	s_wait_loadcnt 0x0
	v_and_b32_e32 v8, 0xffff, v1
	s_delay_alu instid0(VALU_DEP_1) | instskip(SKIP_1) | instid1(VALU_DEP_1)
	v_lshlrev_b64_e32 v[12:13], s0, v[8:9]
	s_add_nc_u64 s[0:1], s[0:1], 8
	v_or_b32_e32 v6, v12, v6
	s_delay_alu instid0(VALU_DEP_2)
	v_or_b32_e32 v7, v13, v7
	s_cbranch_scc1 .LBB73_143
.LBB73_144:                             ;   in Loop: Header=BB73_140 Depth=1
	s_mov_b64 s[12:13], s[4:5]
	s_mov_b32 s16, 0
	s_cbranch_execz .LBB73_146
	s_branch .LBB73_147
.LBB73_145:                             ;   in Loop: Header=BB73_140 Depth=1
	s_add_nc_u64 s[12:13], s[4:5], 8
	s_mov_b32 s16, 0
.LBB73_146:                             ;   in Loop: Header=BB73_140 Depth=1
	global_load_b64 v[6:7], v9, s[4:5]
	s_add_co_i32 s16, s10, -8
.LBB73_147:                             ;   in Loop: Header=BB73_140 Depth=1
	s_delay_alu instid0(SALU_CYCLE_1)
	s_cmp_gt_u32 s16, 7
	s_cbranch_scc1 .LBB73_152
; %bb.148:                              ;   in Loop: Header=BB73_140 Depth=1
	v_mov_b64_e32 v[12:13], 0
	s_cmp_eq_u32 s16, 0
	s_cbranch_scc1 .LBB73_151
; %bb.149:                              ;   in Loop: Header=BB73_140 Depth=1
	s_mov_b64 s[0:1], 0
	s_wait_xcnt 0x0
	s_mov_b64 s[14:15], 0
.LBB73_150:                             ;   Parent Loop BB73_140 Depth=1
                                        ; =>  This Inner Loop Header: Depth=2
	s_wait_xcnt 0x0
	s_add_nc_u64 s[18:19], s[12:13], s[14:15]
	s_add_nc_u64 s[14:15], s[14:15], 1
	global_load_u8 v1, v9, s[18:19]
	s_cmp_lg_u32 s16, s14
	s_wait_loadcnt 0x0
	v_and_b32_e32 v8, 0xffff, v1
	s_delay_alu instid0(VALU_DEP_1) | instskip(SKIP_1) | instid1(VALU_DEP_1)
	v_lshlrev_b64_e32 v[14:15], s0, v[8:9]
	s_add_nc_u64 s[0:1], s[0:1], 8
	v_or_b32_e32 v12, v14, v12
	s_delay_alu instid0(VALU_DEP_2)
	v_or_b32_e32 v13, v15, v13
	s_cbranch_scc1 .LBB73_150
.LBB73_151:                             ;   in Loop: Header=BB73_140 Depth=1
	s_wait_xcnt 0x0
	s_mov_b64 s[0:1], s[12:13]
	s_mov_b32 s17, 0
	s_cbranch_execz .LBB73_153
	s_branch .LBB73_154
.LBB73_152:                             ;   in Loop: Header=BB73_140 Depth=1
	s_add_nc_u64 s[0:1], s[12:13], 8
	s_wait_xcnt 0x0
                                        ; implicit-def: $vgpr12_vgpr13
	s_mov_b32 s17, 0
.LBB73_153:                             ;   in Loop: Header=BB73_140 Depth=1
	global_load_b64 v[12:13], v9, s[12:13]
	s_add_co_i32 s17, s16, -8
.LBB73_154:                             ;   in Loop: Header=BB73_140 Depth=1
	s_delay_alu instid0(SALU_CYCLE_1)
	s_cmp_gt_u32 s17, 7
	s_cbranch_scc1 .LBB73_159
; %bb.155:                              ;   in Loop: Header=BB73_140 Depth=1
	v_mov_b64_e32 v[14:15], 0
	s_cmp_eq_u32 s17, 0
	s_cbranch_scc1 .LBB73_158
; %bb.156:                              ;   in Loop: Header=BB73_140 Depth=1
	s_wait_xcnt 0x0
	s_mov_b64 s[12:13], 0
	s_mov_b64 s[14:15], 0
.LBB73_157:                             ;   Parent Loop BB73_140 Depth=1
                                        ; =>  This Inner Loop Header: Depth=2
	s_wait_xcnt 0x0
	s_add_nc_u64 s[18:19], s[0:1], s[14:15]
	s_add_nc_u64 s[14:15], s[14:15], 1
	global_load_u8 v1, v9, s[18:19]
	s_cmp_lg_u32 s17, s14
	s_wait_loadcnt 0x0
	v_and_b32_e32 v8, 0xffff, v1
	s_delay_alu instid0(VALU_DEP_1) | instskip(SKIP_1) | instid1(VALU_DEP_1)
	v_lshlrev_b64_e32 v[16:17], s12, v[8:9]
	s_add_nc_u64 s[12:13], s[12:13], 8
	v_or_b32_e32 v14, v16, v14
	s_delay_alu instid0(VALU_DEP_2)
	v_or_b32_e32 v15, v17, v15
	s_cbranch_scc1 .LBB73_157
.LBB73_158:                             ;   in Loop: Header=BB73_140 Depth=1
	s_wait_xcnt 0x0
	s_mov_b64 s[12:13], s[0:1]
	s_mov_b32 s16, 0
	s_cbranch_execz .LBB73_160
	s_branch .LBB73_161
.LBB73_159:                             ;   in Loop: Header=BB73_140 Depth=1
	s_wait_xcnt 0x0
	s_add_nc_u64 s[12:13], s[0:1], 8
	s_mov_b32 s16, 0
.LBB73_160:                             ;   in Loop: Header=BB73_140 Depth=1
	global_load_b64 v[14:15], v9, s[0:1]
	s_add_co_i32 s16, s17, -8
.LBB73_161:                             ;   in Loop: Header=BB73_140 Depth=1
	s_delay_alu instid0(SALU_CYCLE_1)
	s_cmp_gt_u32 s16, 7
	s_cbranch_scc1 .LBB73_166
; %bb.162:                              ;   in Loop: Header=BB73_140 Depth=1
	v_mov_b64_e32 v[16:17], 0
	s_cmp_eq_u32 s16, 0
	s_cbranch_scc1 .LBB73_165
; %bb.163:                              ;   in Loop: Header=BB73_140 Depth=1
	s_wait_xcnt 0x0
	s_mov_b64 s[0:1], 0
	s_mov_b64 s[14:15], 0
.LBB73_164:                             ;   Parent Loop BB73_140 Depth=1
                                        ; =>  This Inner Loop Header: Depth=2
	s_wait_xcnt 0x0
	s_add_nc_u64 s[18:19], s[12:13], s[14:15]
	s_add_nc_u64 s[14:15], s[14:15], 1
	global_load_u8 v1, v9, s[18:19]
	s_cmp_lg_u32 s16, s14
	s_wait_loadcnt 0x0
	v_and_b32_e32 v8, 0xffff, v1
	s_delay_alu instid0(VALU_DEP_1) | instskip(SKIP_1) | instid1(VALU_DEP_1)
	v_lshlrev_b64_e32 v[18:19], s0, v[8:9]
	s_add_nc_u64 s[0:1], s[0:1], 8
	v_or_b32_e32 v16, v18, v16
	s_delay_alu instid0(VALU_DEP_2)
	v_or_b32_e32 v17, v19, v17
	s_cbranch_scc1 .LBB73_164
.LBB73_165:                             ;   in Loop: Header=BB73_140 Depth=1
	s_wait_xcnt 0x0
	s_mov_b64 s[0:1], s[12:13]
	s_mov_b32 s17, 0
	s_cbranch_execz .LBB73_167
	s_branch .LBB73_168
.LBB73_166:                             ;   in Loop: Header=BB73_140 Depth=1
	s_wait_xcnt 0x0
	s_add_nc_u64 s[0:1], s[12:13], 8
                                        ; implicit-def: $vgpr16_vgpr17
	s_mov_b32 s17, 0
.LBB73_167:                             ;   in Loop: Header=BB73_140 Depth=1
	global_load_b64 v[16:17], v9, s[12:13]
	s_add_co_i32 s17, s16, -8
.LBB73_168:                             ;   in Loop: Header=BB73_140 Depth=1
	s_delay_alu instid0(SALU_CYCLE_1)
	s_cmp_gt_u32 s17, 7
	s_cbranch_scc1 .LBB73_173
; %bb.169:                              ;   in Loop: Header=BB73_140 Depth=1
	v_mov_b64_e32 v[18:19], 0
	s_cmp_eq_u32 s17, 0
	s_cbranch_scc1 .LBB73_172
; %bb.170:                              ;   in Loop: Header=BB73_140 Depth=1
	s_wait_xcnt 0x0
	s_mov_b64 s[12:13], 0
	s_mov_b64 s[14:15], 0
.LBB73_171:                             ;   Parent Loop BB73_140 Depth=1
                                        ; =>  This Inner Loop Header: Depth=2
	s_wait_xcnt 0x0
	s_add_nc_u64 s[18:19], s[0:1], s[14:15]
	s_add_nc_u64 s[14:15], s[14:15], 1
	global_load_u8 v1, v9, s[18:19]
	s_cmp_lg_u32 s17, s14
	s_wait_loadcnt 0x0
	v_and_b32_e32 v8, 0xffff, v1
	s_delay_alu instid0(VALU_DEP_1) | instskip(SKIP_1) | instid1(VALU_DEP_1)
	v_lshlrev_b64_e32 v[20:21], s12, v[8:9]
	s_add_nc_u64 s[12:13], s[12:13], 8
	v_or_b32_e32 v18, v20, v18
	s_delay_alu instid0(VALU_DEP_2)
	v_or_b32_e32 v19, v21, v19
	s_cbranch_scc1 .LBB73_171
.LBB73_172:                             ;   in Loop: Header=BB73_140 Depth=1
	s_wait_xcnt 0x0
	s_mov_b64 s[12:13], s[0:1]
	s_mov_b32 s16, 0
	s_cbranch_execz .LBB73_174
	s_branch .LBB73_175
.LBB73_173:                             ;   in Loop: Header=BB73_140 Depth=1
	s_wait_xcnt 0x0
	s_add_nc_u64 s[12:13], s[0:1], 8
	s_mov_b32 s16, 0
.LBB73_174:                             ;   in Loop: Header=BB73_140 Depth=1
	global_load_b64 v[18:19], v9, s[0:1]
	s_add_co_i32 s16, s17, -8
.LBB73_175:                             ;   in Loop: Header=BB73_140 Depth=1
	s_delay_alu instid0(SALU_CYCLE_1)
	s_cmp_gt_u32 s16, 7
	s_cbranch_scc1 .LBB73_180
; %bb.176:                              ;   in Loop: Header=BB73_140 Depth=1
	v_mov_b64_e32 v[20:21], 0
	s_cmp_eq_u32 s16, 0
	s_cbranch_scc1 .LBB73_179
; %bb.177:                              ;   in Loop: Header=BB73_140 Depth=1
	s_wait_xcnt 0x0
	s_mov_b64 s[0:1], 0
	s_mov_b64 s[14:15], 0
.LBB73_178:                             ;   Parent Loop BB73_140 Depth=1
                                        ; =>  This Inner Loop Header: Depth=2
	s_wait_xcnt 0x0
	s_add_nc_u64 s[18:19], s[12:13], s[14:15]
	s_add_nc_u64 s[14:15], s[14:15], 1
	global_load_u8 v1, v9, s[18:19]
	s_cmp_lg_u32 s16, s14
	s_wait_loadcnt 0x0
	v_and_b32_e32 v8, 0xffff, v1
	s_delay_alu instid0(VALU_DEP_1) | instskip(SKIP_1) | instid1(VALU_DEP_1)
	v_lshlrev_b64_e32 v[22:23], s0, v[8:9]
	s_add_nc_u64 s[0:1], s[0:1], 8
	v_or_b32_e32 v20, v22, v20
	s_delay_alu instid0(VALU_DEP_2)
	v_or_b32_e32 v21, v23, v21
	s_cbranch_scc1 .LBB73_178
.LBB73_179:                             ;   in Loop: Header=BB73_140 Depth=1
	s_wait_xcnt 0x0
	s_mov_b64 s[0:1], s[12:13]
	s_mov_b32 s17, 0
	s_cbranch_execz .LBB73_181
	s_branch .LBB73_182
.LBB73_180:                             ;   in Loop: Header=BB73_140 Depth=1
	s_wait_xcnt 0x0
	s_add_nc_u64 s[0:1], s[12:13], 8
                                        ; implicit-def: $vgpr20_vgpr21
	s_mov_b32 s17, 0
.LBB73_181:                             ;   in Loop: Header=BB73_140 Depth=1
	global_load_b64 v[20:21], v9, s[12:13]
	s_add_co_i32 s17, s16, -8
.LBB73_182:                             ;   in Loop: Header=BB73_140 Depth=1
	s_delay_alu instid0(SALU_CYCLE_1)
	s_cmp_gt_u32 s17, 7
	s_cbranch_scc1 .LBB73_187
; %bb.183:                              ;   in Loop: Header=BB73_140 Depth=1
	v_mov_b64_e32 v[22:23], 0
	s_cmp_eq_u32 s17, 0
	s_cbranch_scc1 .LBB73_186
; %bb.184:                              ;   in Loop: Header=BB73_140 Depth=1
	s_wait_xcnt 0x0
	s_mov_b64 s[12:13], 0
	s_mov_b64 s[14:15], s[0:1]
.LBB73_185:                             ;   Parent Loop BB73_140 Depth=1
                                        ; =>  This Inner Loop Header: Depth=2
	global_load_u8 v1, v9, s[14:15]
	s_add_co_i32 s17, s17, -1
	s_wait_xcnt 0x0
	s_add_nc_u64 s[14:15], s[14:15], 1
	s_cmp_lg_u32 s17, 0
	s_wait_loadcnt 0x0
	v_and_b32_e32 v8, 0xffff, v1
	s_delay_alu instid0(VALU_DEP_1) | instskip(SKIP_1) | instid1(VALU_DEP_1)
	v_lshlrev_b64_e32 v[24:25], s12, v[8:9]
	s_add_nc_u64 s[12:13], s[12:13], 8
	v_or_b32_e32 v22, v24, v22
	s_delay_alu instid0(VALU_DEP_2)
	v_or_b32_e32 v23, v25, v23
	s_cbranch_scc1 .LBB73_185
.LBB73_186:                             ;   in Loop: Header=BB73_140 Depth=1
	s_wait_xcnt 0x0
	s_cbranch_execz .LBB73_188
	s_branch .LBB73_189
.LBB73_187:                             ;   in Loop: Header=BB73_140 Depth=1
	s_wait_xcnt 0x0
.LBB73_188:                             ;   in Loop: Header=BB73_140 Depth=1
	global_load_b64 v[22:23], v9, s[0:1]
.LBB73_189:                             ;   in Loop: Header=BB73_140 Depth=1
	s_wait_xcnt 0x0
	v_readfirstlane_b32 s0, v29
	v_mov_b64_e32 v[30:31], 0
	s_delay_alu instid0(VALU_DEP_2)
	v_cmp_eq_u32_e64 s0, s0, v29
	s_and_saveexec_b32 s1, s0
	s_cbranch_execz .LBB73_195
; %bb.190:                              ;   in Loop: Header=BB73_140 Depth=1
	global_load_b64 v[26:27], v9, s[2:3] offset:24 scope:SCOPE_SYS
	s_wait_loadcnt 0x0
	global_inv scope:SCOPE_SYS
	s_clause 0x1
	global_load_b64 v[24:25], v9, s[2:3] offset:40
	global_load_b64 v[30:31], v9, s[2:3]
	s_mov_b32 s12, exec_lo
	s_wait_loadcnt 0x1
	v_and_b32_e32 v24, v24, v26
	v_and_b32_e32 v25, v25, v27
	s_delay_alu instid0(VALU_DEP_1) | instskip(SKIP_1) | instid1(VALU_DEP_1)
	v_mul_u64_e32 v[24:25], 24, v[24:25]
	s_wait_loadcnt 0x0
	v_add_nc_u64_e32 v[24:25], v[30:31], v[24:25]
	global_load_b64 v[24:25], v[24:25], off scope:SCOPE_SYS
	s_wait_xcnt 0x0
	s_wait_loadcnt 0x0
	global_atomic_cmpswap_b64 v[30:31], v9, v[24:27], s[2:3] offset:24 th:TH_ATOMIC_RETURN scope:SCOPE_SYS
	s_wait_loadcnt 0x0
	global_inv scope:SCOPE_SYS
	s_wait_xcnt 0x0
	v_cmpx_ne_u64_e64 v[30:31], v[26:27]
	s_cbranch_execz .LBB73_194
; %bb.191:                              ;   in Loop: Header=BB73_140 Depth=1
	s_mov_b32 s13, 0
.LBB73_192:                             ;   Parent Loop BB73_140 Depth=1
                                        ; =>  This Inner Loop Header: Depth=2
	s_sleep 1
	s_clause 0x1
	global_load_b64 v[24:25], v9, s[2:3] offset:40
	global_load_b64 v[32:33], v9, s[2:3]
	v_mov_b64_e32 v[26:27], v[30:31]
	s_wait_loadcnt 0x1
	s_delay_alu instid0(VALU_DEP_1) | instskip(SKIP_1) | instid1(VALU_DEP_1)
	v_and_b32_e32 v1, v24, v26
	s_wait_loadcnt 0x0
	v_mad_nc_u64_u32 v[30:31], v1, 24, v[32:33]
	s_delay_alu instid0(VALU_DEP_3) | instskip(NEXT) | instid1(VALU_DEP_1)
	v_and_b32_e32 v1, v25, v27
	v_mad_u32 v31, v1, 24, v31
	global_load_b64 v[24:25], v[30:31], off scope:SCOPE_SYS
	s_wait_xcnt 0x0
	s_wait_loadcnt 0x0
	global_atomic_cmpswap_b64 v[30:31], v9, v[24:27], s[2:3] offset:24 th:TH_ATOMIC_RETURN scope:SCOPE_SYS
	s_wait_loadcnt 0x0
	global_inv scope:SCOPE_SYS
	v_cmp_eq_u64_e32 vcc_lo, v[30:31], v[26:27]
	s_or_b32 s13, vcc_lo, s13
	s_wait_xcnt 0x0
	s_and_not1_b32 exec_lo, exec_lo, s13
	s_cbranch_execnz .LBB73_192
; %bb.193:                              ;   in Loop: Header=BB73_140 Depth=1
	s_or_b32 exec_lo, exec_lo, s13
.LBB73_194:                             ;   in Loop: Header=BB73_140 Depth=1
	s_delay_alu instid0(SALU_CYCLE_1)
	s_or_b32 exec_lo, exec_lo, s12
.LBB73_195:                             ;   in Loop: Header=BB73_140 Depth=1
	s_delay_alu instid0(SALU_CYCLE_1)
	s_or_b32 exec_lo, exec_lo, s1
	s_clause 0x1
	global_load_b64 v[32:33], v9, s[2:3] offset:40
	global_load_b128 v[24:27], v9, s[2:3]
	v_readfirstlane_b32 s12, v30
	v_readfirstlane_b32 s13, v31
	s_mov_b32 s1, exec_lo
	s_wait_loadcnt 0x1
	v_and_b32_e32 v32, s12, v32
	v_and_b32_e32 v33, s13, v33
	s_delay_alu instid0(VALU_DEP_1) | instskip(SKIP_1) | instid1(VALU_DEP_1)
	v_mul_u64_e32 v[30:31], 24, v[32:33]
	s_wait_loadcnt 0x0
	v_add_nc_u64_e32 v[30:31], v[24:25], v[30:31]
	s_wait_xcnt 0x0
	s_and_saveexec_b32 s14, s0
	s_cbranch_execz .LBB73_197
; %bb.196:                              ;   in Loop: Header=BB73_140 Depth=1
	v_mov_b32_e32 v8, s1
	global_store_b128 v[30:31], v[8:11], off offset:8
.LBB73_197:                             ;   in Loop: Header=BB73_140 Depth=1
	s_wait_xcnt 0x0
	s_or_b32 exec_lo, exec_lo, s14
	v_cmp_lt_u64_e64 vcc_lo, s[6:7], 57
	v_lshlrev_b64_e32 v[32:33], 12, v[32:33]
	v_and_b32_e32 v4, 0xffffff1f, v4
	s_lshl_b32 s1, s10, 2
	s_delay_alu instid0(SALU_CYCLE_1) | instskip(SKIP_1) | instid1(VALU_DEP_3)
	s_add_co_i32 s1, s1, 28
	v_cndmask_b32_e32 v1, 0, v28, vcc_lo
	v_add_nc_u64_e32 v[26:27], v[26:27], v[32:33]
	s_delay_alu instid0(VALU_DEP_2) | instskip(NEXT) | instid1(VALU_DEP_2)
	v_or_b32_e32 v1, v4, v1
	v_readfirstlane_b32 s14, v26
	s_delay_alu instid0(VALU_DEP_3) | instskip(NEXT) | instid1(VALU_DEP_3)
	v_readfirstlane_b32 s15, v27
	v_and_or_b32 v4, 0x1e0, s1, v1
	s_clause 0x3
	global_store_b128 v0, v[4:7], s[14:15]
	global_store_b128 v0, v[12:15], s[14:15] offset:16
	global_store_b128 v0, v[16:19], s[14:15] offset:32
	;; [unrolled: 1-line block ×3, first 2 shown]
	s_wait_xcnt 0x0
	s_and_saveexec_b32 s1, s0
	s_cbranch_execz .LBB73_205
; %bb.198:                              ;   in Loop: Header=BB73_140 Depth=1
	s_clause 0x1
	global_load_b64 v[16:17], v9, s[2:3] offset:32 scope:SCOPE_SYS
	global_load_b64 v[4:5], v9, s[2:3] offset:40
	s_mov_b32 s14, exec_lo
	v_dual_mov_b32 v14, s12 :: v_dual_mov_b32 v15, s13
	s_wait_loadcnt 0x0
	v_and_b32_e32 v5, s13, v5
	v_and_b32_e32 v4, s12, v4
	s_delay_alu instid0(VALU_DEP_1) | instskip(NEXT) | instid1(VALU_DEP_1)
	v_mul_u64_e32 v[4:5], 24, v[4:5]
	v_add_nc_u64_e32 v[12:13], v[24:25], v[4:5]
	global_store_b64 v[12:13], v[16:17], off
	global_wb scope:SCOPE_SYS
	s_wait_storecnt 0x0
	s_wait_xcnt 0x0
	global_atomic_cmpswap_b64 v[6:7], v9, v[14:17], s[2:3] offset:32 th:TH_ATOMIC_RETURN scope:SCOPE_SYS
	s_wait_loadcnt 0x0
	v_cmpx_ne_u64_e64 v[6:7], v[16:17]
	s_cbranch_execz .LBB73_201
; %bb.199:                              ;   in Loop: Header=BB73_140 Depth=1
	s_mov_b32 s15, 0
.LBB73_200:                             ;   Parent Loop BB73_140 Depth=1
                                        ; =>  This Inner Loop Header: Depth=2
	v_dual_mov_b32 v4, s12 :: v_dual_mov_b32 v5, s13
	s_sleep 1
	global_store_b64 v[12:13], v[6:7], off
	global_wb scope:SCOPE_SYS
	s_wait_storecnt 0x0
	s_wait_xcnt 0x0
	global_atomic_cmpswap_b64 v[4:5], v9, v[4:7], s[2:3] offset:32 th:TH_ATOMIC_RETURN scope:SCOPE_SYS
	s_wait_loadcnt 0x0
	v_cmp_eq_u64_e32 vcc_lo, v[4:5], v[6:7]
	v_mov_b64_e32 v[6:7], v[4:5]
	s_or_b32 s15, vcc_lo, s15
	s_delay_alu instid0(SALU_CYCLE_1)
	s_and_not1_b32 exec_lo, exec_lo, s15
	s_cbranch_execnz .LBB73_200
.LBB73_201:                             ;   in Loop: Header=BB73_140 Depth=1
	s_or_b32 exec_lo, exec_lo, s14
	global_load_b64 v[4:5], v9, s[2:3] offset:16
	s_mov_b32 s15, exec_lo
	s_mov_b32 s14, exec_lo
	v_mbcnt_lo_u32_b32 v1, s15, 0
	s_wait_xcnt 0x0
	s_delay_alu instid0(VALU_DEP_1)
	v_cmpx_eq_u32_e32 0, v1
	s_cbranch_execz .LBB73_203
; %bb.202:                              ;   in Loop: Header=BB73_140 Depth=1
	s_bcnt1_i32_b32 s15, s15
	s_delay_alu instid0(SALU_CYCLE_1)
	v_mov_b32_e32 v8, s15
	global_wb scope:SCOPE_SYS
	s_wait_loadcnt 0x0
	s_wait_storecnt 0x0
	global_atomic_add_u64 v[4:5], v[8:9], off offset:8 scope:SCOPE_SYS
.LBB73_203:                             ;   in Loop: Header=BB73_140 Depth=1
	s_wait_xcnt 0x0
	s_or_b32 exec_lo, exec_lo, s14
	s_wait_loadcnt 0x0
	global_load_b64 v[6:7], v[4:5], off offset:16
	s_wait_loadcnt 0x0
	v_cmp_eq_u64_e32 vcc_lo, 0, v[6:7]
	s_cbranch_vccnz .LBB73_205
; %bb.204:                              ;   in Loop: Header=BB73_140 Depth=1
	global_load_b32 v8, v[4:5], off offset:24
	s_wait_loadcnt 0x0
	v_readfirstlane_b32 s14, v8
	global_wb scope:SCOPE_SYS
	s_wait_storecnt 0x0
	s_wait_xcnt 0x0
	global_store_b64 v[6:7], v[8:9], off scope:SCOPE_SYS
	s_and_b32 m0, s14, 0xffffff
	s_sendmsg sendmsg(MSG_INTERRUPT)
.LBB73_205:                             ;   in Loop: Header=BB73_140 Depth=1
	s_wait_xcnt 0x0
	s_or_b32 exec_lo, exec_lo, s1
	v_mov_b32_e32 v1, v9
	s_delay_alu instid0(VALU_DEP_1)
	v_add_nc_u64_e32 v[4:5], v[26:27], v[0:1]
	s_branch .LBB73_209
.LBB73_206:                             ;   in Loop: Header=BB73_209 Depth=2
	s_wait_xcnt 0x0
	s_or_b32 exec_lo, exec_lo, s1
	s_delay_alu instid0(VALU_DEP_1)
	v_readfirstlane_b32 s1, v1
	s_cmp_eq_u32 s1, 0
	s_cbranch_scc1 .LBB73_208
; %bb.207:                              ;   in Loop: Header=BB73_209 Depth=2
	s_sleep 1
	s_cbranch_execnz .LBB73_209
	s_branch .LBB73_211
.LBB73_208:                             ;   in Loop: Header=BB73_140 Depth=1
	s_branch .LBB73_211
.LBB73_209:                             ;   Parent Loop BB73_140 Depth=1
                                        ; =>  This Inner Loop Header: Depth=2
	v_mov_b32_e32 v1, 1
	s_and_saveexec_b32 s1, s0
	s_cbranch_execz .LBB73_206
; %bb.210:                              ;   in Loop: Header=BB73_209 Depth=2
	global_load_b32 v1, v[30:31], off offset:20 scope:SCOPE_SYS
	s_wait_loadcnt 0x0
	global_inv scope:SCOPE_SYS
	v_and_b32_e32 v1, 1, v1
	s_branch .LBB73_206
.LBB73_211:                             ;   in Loop: Header=BB73_140 Depth=1
	global_load_b64 v[4:5], v[4:5], off
	s_wait_xcnt 0x0
	s_and_saveexec_b32 s14, s0
	s_cbranch_execz .LBB73_139
; %bb.212:                              ;   in Loop: Header=BB73_140 Depth=1
	s_clause 0x2
	global_load_b64 v[6:7], v9, s[2:3] offset:40
	global_load_b64 v[16:17], v9, s[2:3] offset:24 scope:SCOPE_SYS
	global_load_b64 v[12:13], v9, s[2:3]
	s_wait_loadcnt 0x2
	v_readfirstlane_b32 s16, v6
	v_readfirstlane_b32 s17, v7
	s_add_nc_u64 s[0:1], s[16:17], 1
	s_delay_alu instid0(SALU_CYCLE_1) | instskip(NEXT) | instid1(SALU_CYCLE_1)
	s_add_nc_u64 s[12:13], s[0:1], s[12:13]
	s_cmp_eq_u64 s[12:13], 0
	s_cselect_b32 s1, s1, s13
	s_cselect_b32 s0, s0, s12
	s_delay_alu instid0(SALU_CYCLE_1) | instskip(SKIP_1) | instid1(SALU_CYCLE_1)
	v_dual_mov_b32 v15, s1 :: v_dual_mov_b32 v14, s0
	s_and_b64 s[12:13], s[0:1], s[16:17]
	s_mul_u64 s[12:13], s[12:13], 24
	s_wait_loadcnt 0x0
	v_add_nc_u64_e32 v[6:7], s[12:13], v[12:13]
	global_store_b64 v[6:7], v[16:17], off
	global_wb scope:SCOPE_SYS
	s_wait_storecnt 0x0
	s_wait_xcnt 0x0
	global_atomic_cmpswap_b64 v[14:15], v9, v[14:17], s[2:3] offset:24 th:TH_ATOMIC_RETURN scope:SCOPE_SYS
	s_wait_loadcnt 0x0
	v_cmp_ne_u64_e32 vcc_lo, v[14:15], v[16:17]
	s_and_b32 exec_lo, exec_lo, vcc_lo
	s_cbranch_execz .LBB73_139
; %bb.213:                              ;   in Loop: Header=BB73_140 Depth=1
	s_mov_b32 s12, 0
.LBB73_214:                             ;   Parent Loop BB73_140 Depth=1
                                        ; =>  This Inner Loop Header: Depth=2
	v_dual_mov_b32 v12, s0 :: v_dual_mov_b32 v13, s1
	s_sleep 1
	global_store_b64 v[6:7], v[14:15], off
	global_wb scope:SCOPE_SYS
	s_wait_storecnt 0x0
	s_wait_xcnt 0x0
	global_atomic_cmpswap_b64 v[12:13], v9, v[12:15], s[2:3] offset:24 th:TH_ATOMIC_RETURN scope:SCOPE_SYS
	s_wait_loadcnt 0x0
	v_cmp_eq_u64_e32 vcc_lo, v[12:13], v[14:15]
	v_mov_b64_e32 v[14:15], v[12:13]
	s_or_b32 s12, vcc_lo, s12
	s_delay_alu instid0(SALU_CYCLE_1)
	s_and_not1_b32 exec_lo, exec_lo, s12
	s_cbranch_execnz .LBB73_214
	s_branch .LBB73_139
.LBB73_215:
                                        ; implicit-def: $vgpr4_vgpr5
	s_cbranch_execnz .LBB73_217
	s_branch .LBB73_244
.LBB73_216:
	s_branch .LBB73_244
.LBB73_217:
	v_readfirstlane_b32 s0, v29
	s_wait_loadcnt 0x0
	v_mov_b64_e32 v[4:5], 0
	s_delay_alu instid0(VALU_DEP_2)
	v_cmp_eq_u32_e64 s0, s0, v29
	s_and_saveexec_b32 s1, s0
	s_cbranch_execz .LBB73_223
; %bb.218:
	v_mov_b32_e32 v1, 0
	s_mov_b32 s4, exec_lo
	global_load_b64 v[6:7], v1, s[2:3] offset:24 scope:SCOPE_SYS
	s_wait_loadcnt 0x0
	global_inv scope:SCOPE_SYS
	s_clause 0x1
	global_load_b64 v[4:5], v1, s[2:3] offset:40
	global_load_b64 v[8:9], v1, s[2:3]
	s_wait_loadcnt 0x1
	v_and_b32_e32 v4, v4, v6
	v_and_b32_e32 v5, v5, v7
	s_delay_alu instid0(VALU_DEP_1) | instskip(SKIP_1) | instid1(VALU_DEP_1)
	v_mul_u64_e32 v[4:5], 24, v[4:5]
	s_wait_loadcnt 0x0
	v_add_nc_u64_e32 v[4:5], v[8:9], v[4:5]
	global_load_b64 v[4:5], v[4:5], off scope:SCOPE_SYS
	s_wait_xcnt 0x0
	s_wait_loadcnt 0x0
	global_atomic_cmpswap_b64 v[4:5], v1, v[4:7], s[2:3] offset:24 th:TH_ATOMIC_RETURN scope:SCOPE_SYS
	s_wait_loadcnt 0x0
	global_inv scope:SCOPE_SYS
	s_wait_xcnt 0x0
	v_cmpx_ne_u64_e64 v[4:5], v[6:7]
	s_cbranch_execz .LBB73_222
; %bb.219:
	s_mov_b32 s5, 0
.LBB73_220:                             ; =>This Inner Loop Header: Depth=1
	s_sleep 1
	s_clause 0x1
	global_load_b64 v[8:9], v1, s[2:3] offset:40
	global_load_b64 v[10:11], v1, s[2:3]
	v_mov_b64_e32 v[6:7], v[4:5]
	s_wait_loadcnt 0x1
	s_delay_alu instid0(VALU_DEP_1) | instskip(NEXT) | instid1(VALU_DEP_2)
	v_and_b32_e32 v4, v8, v6
	v_and_b32_e32 v8, v9, v7
	s_wait_loadcnt 0x0
	s_delay_alu instid0(VALU_DEP_2) | instskip(NEXT) | instid1(VALU_DEP_1)
	v_mad_nc_u64_u32 v[4:5], v4, 24, v[10:11]
	v_mad_u32 v5, v8, 24, v5
	global_load_b64 v[4:5], v[4:5], off scope:SCOPE_SYS
	s_wait_xcnt 0x0
	s_wait_loadcnt 0x0
	global_atomic_cmpswap_b64 v[4:5], v1, v[4:7], s[2:3] offset:24 th:TH_ATOMIC_RETURN scope:SCOPE_SYS
	s_wait_loadcnt 0x0
	global_inv scope:SCOPE_SYS
	v_cmp_eq_u64_e32 vcc_lo, v[4:5], v[6:7]
	s_or_b32 s5, vcc_lo, s5
	s_wait_xcnt 0x0
	s_and_not1_b32 exec_lo, exec_lo, s5
	s_cbranch_execnz .LBB73_220
; %bb.221:
	s_or_b32 exec_lo, exec_lo, s5
.LBB73_222:
	s_delay_alu instid0(SALU_CYCLE_1)
	s_or_b32 exec_lo, exec_lo, s4
.LBB73_223:
	s_delay_alu instid0(SALU_CYCLE_1)
	s_or_b32 exec_lo, exec_lo, s1
	v_readfirstlane_b32 s4, v4
	v_mov_b32_e32 v1, 0
	v_readfirstlane_b32 s5, v5
	s_mov_b32 s1, exec_lo
	s_clause 0x1
	global_load_b64 v[10:11], v1, s[2:3] offset:40
	global_load_b128 v[6:9], v1, s[2:3]
	s_wait_loadcnt 0x1
	v_and_b32_e32 v4, s4, v10
	v_and_b32_e32 v5, s5, v11
	s_delay_alu instid0(VALU_DEP_1) | instskip(SKIP_1) | instid1(VALU_DEP_1)
	v_mul_u64_e32 v[10:11], 24, v[4:5]
	s_wait_loadcnt 0x0
	v_add_nc_u64_e32 v[10:11], v[6:7], v[10:11]
	s_wait_xcnt 0x0
	s_and_saveexec_b32 s6, s0
	s_cbranch_execz .LBB73_225
; %bb.224:
	v_mov_b64_e32 v[14:15], 0x100000002
	v_dual_mov_b32 v12, s1 :: v_dual_mov_b32 v13, v1
	global_store_b128 v[10:11], v[12:15], off offset:8
.LBB73_225:
	s_wait_xcnt 0x0
	s_or_b32 exec_lo, exec_lo, s6
	v_lshlrev_b64_e32 v[4:5], 12, v[4:5]
	s_mov_b32 s12, 0
	v_and_or_b32 v2, 0xffffff1f, v2, 32
	s_mov_b32 s13, s12
	s_mov_b32 s14, s12
	;; [unrolled: 1-line block ×3, first 2 shown]
	v_mov_b64_e32 v[12:13], s[12:13]
	v_add_nc_u64_e32 v[8:9], v[8:9], v[4:5]
	v_mov_b64_e32 v[14:15], s[14:15]
	v_dual_mov_b32 v4, v1 :: v_dual_mov_b32 v5, v1
	s_delay_alu instid0(VALU_DEP_3) | instskip(NEXT) | instid1(VALU_DEP_4)
	v_readfirstlane_b32 s6, v8
	v_readfirstlane_b32 s7, v9
	s_clause 0x3
	global_store_b128 v0, v[2:5], s[6:7]
	global_store_b128 v0, v[12:15], s[6:7] offset:16
	global_store_b128 v0, v[12:15], s[6:7] offset:32
	global_store_b128 v0, v[12:15], s[6:7] offset:48
	s_wait_xcnt 0x0
	s_and_saveexec_b32 s1, s0
	s_cbranch_execz .LBB73_233
; %bb.226:
	v_dual_mov_b32 v12, 0 :: v_dual_mov_b32 v15, s5
	s_mov_b32 s6, exec_lo
	s_clause 0x1
	global_load_b64 v[16:17], v12, s[2:3] offset:32 scope:SCOPE_SYS
	global_load_b64 v[2:3], v12, s[2:3] offset:40
	s_wait_loadcnt 0x0
	v_dual_mov_b32 v14, s4 :: v_dual_bitop2_b32 v3, s5, v3 bitop3:0x40
	v_and_b32_e32 v2, s4, v2
	s_delay_alu instid0(VALU_DEP_1) | instskip(NEXT) | instid1(VALU_DEP_1)
	v_mul_u64_e32 v[2:3], 24, v[2:3]
	v_add_nc_u64_e32 v[6:7], v[6:7], v[2:3]
	global_store_b64 v[6:7], v[16:17], off
	global_wb scope:SCOPE_SYS
	s_wait_storecnt 0x0
	s_wait_xcnt 0x0
	global_atomic_cmpswap_b64 v[4:5], v12, v[14:17], s[2:3] offset:32 th:TH_ATOMIC_RETURN scope:SCOPE_SYS
	s_wait_loadcnt 0x0
	v_cmpx_ne_u64_e64 v[4:5], v[16:17]
	s_cbranch_execz .LBB73_229
; %bb.227:
	s_mov_b32 s7, 0
.LBB73_228:                             ; =>This Inner Loop Header: Depth=1
	v_dual_mov_b32 v2, s4 :: v_dual_mov_b32 v3, s5
	s_sleep 1
	global_store_b64 v[6:7], v[4:5], off
	global_wb scope:SCOPE_SYS
	s_wait_storecnt 0x0
	s_wait_xcnt 0x0
	global_atomic_cmpswap_b64 v[2:3], v12, v[2:5], s[2:3] offset:32 th:TH_ATOMIC_RETURN scope:SCOPE_SYS
	s_wait_loadcnt 0x0
	v_cmp_eq_u64_e32 vcc_lo, v[2:3], v[4:5]
	v_mov_b64_e32 v[4:5], v[2:3]
	s_or_b32 s7, vcc_lo, s7
	s_delay_alu instid0(SALU_CYCLE_1)
	s_and_not1_b32 exec_lo, exec_lo, s7
	s_cbranch_execnz .LBB73_228
.LBB73_229:
	s_or_b32 exec_lo, exec_lo, s6
	v_mov_b32_e32 v5, 0
	s_mov_b32 s7, exec_lo
	s_mov_b32 s6, exec_lo
	v_mbcnt_lo_u32_b32 v4, s7, 0
	global_load_b64 v[2:3], v5, s[2:3] offset:16
	s_wait_xcnt 0x0
	v_cmpx_eq_u32_e32 0, v4
	s_cbranch_execz .LBB73_231
; %bb.230:
	s_bcnt1_i32_b32 s7, s7
	s_delay_alu instid0(SALU_CYCLE_1)
	v_mov_b32_e32 v4, s7
	global_wb scope:SCOPE_SYS
	s_wait_loadcnt 0x0
	s_wait_storecnt 0x0
	global_atomic_add_u64 v[2:3], v[4:5], off offset:8 scope:SCOPE_SYS
.LBB73_231:
	s_wait_xcnt 0x0
	s_or_b32 exec_lo, exec_lo, s6
	s_wait_loadcnt 0x0
	global_load_b64 v[4:5], v[2:3], off offset:16
	s_wait_loadcnt 0x0
	v_cmp_eq_u64_e32 vcc_lo, 0, v[4:5]
	s_cbranch_vccnz .LBB73_233
; %bb.232:
	global_load_b32 v2, v[2:3], off offset:24
	s_wait_xcnt 0x0
	v_mov_b32_e32 v3, 0
	s_wait_loadcnt 0x0
	v_readfirstlane_b32 s6, v2
	global_wb scope:SCOPE_SYS
	s_wait_storecnt 0x0
	global_store_b64 v[4:5], v[2:3], off scope:SCOPE_SYS
	s_and_b32 m0, s6, 0xffffff
	s_sendmsg sendmsg(MSG_INTERRUPT)
.LBB73_233:
	s_wait_xcnt 0x0
	s_or_b32 exec_lo, exec_lo, s1
	v_add_nc_u64_e32 v[2:3], v[8:9], v[0:1]
	s_branch .LBB73_237
.LBB73_234:                             ;   in Loop: Header=BB73_237 Depth=1
	s_wait_xcnt 0x0
	s_or_b32 exec_lo, exec_lo, s1
	s_delay_alu instid0(VALU_DEP_1)
	v_readfirstlane_b32 s1, v1
	s_cmp_eq_u32 s1, 0
	s_cbranch_scc1 .LBB73_236
; %bb.235:                              ;   in Loop: Header=BB73_237 Depth=1
	s_sleep 1
	s_cbranch_execnz .LBB73_237
	s_branch .LBB73_239
.LBB73_236:
	s_branch .LBB73_239
.LBB73_237:                             ; =>This Inner Loop Header: Depth=1
	v_mov_b32_e32 v1, 1
	s_and_saveexec_b32 s1, s0
	s_cbranch_execz .LBB73_234
; %bb.238:                              ;   in Loop: Header=BB73_237 Depth=1
	global_load_b32 v1, v[10:11], off offset:20 scope:SCOPE_SYS
	s_wait_loadcnt 0x0
	global_inv scope:SCOPE_SYS
	v_and_b32_e32 v1, 1, v1
	s_branch .LBB73_234
.LBB73_239:
	global_load_b64 v[4:5], v[2:3], off
	s_wait_xcnt 0x0
	s_and_saveexec_b32 s6, s0
	s_cbranch_execz .LBB73_243
; %bb.240:
	v_mov_b32_e32 v1, 0
	s_clause 0x2
	global_load_b64 v[2:3], v1, s[2:3] offset:40
	global_load_b64 v[10:11], v1, s[2:3] offset:24 scope:SCOPE_SYS
	global_load_b64 v[6:7], v1, s[2:3]
	s_wait_loadcnt 0x2
	v_readfirstlane_b32 s10, v2
	v_readfirstlane_b32 s11, v3
	s_add_nc_u64 s[0:1], s[10:11], 1
	s_delay_alu instid0(SALU_CYCLE_1) | instskip(NEXT) | instid1(SALU_CYCLE_1)
	s_add_nc_u64 s[4:5], s[0:1], s[4:5]
	s_cmp_eq_u64 s[4:5], 0
	s_cselect_b32 s1, s1, s5
	s_cselect_b32 s0, s0, s4
	v_mov_b32_e32 v9, s1
	s_and_b64 s[4:5], s[0:1], s[10:11]
	v_mov_b32_e32 v8, s0
	s_mul_u64 s[4:5], s[4:5], 24
	s_wait_loadcnt 0x0
	v_add_nc_u64_e32 v[2:3], s[4:5], v[6:7]
	global_store_b64 v[2:3], v[10:11], off
	global_wb scope:SCOPE_SYS
	s_wait_storecnt 0x0
	s_wait_xcnt 0x0
	global_atomic_cmpswap_b64 v[8:9], v1, v[8:11], s[2:3] offset:24 th:TH_ATOMIC_RETURN scope:SCOPE_SYS
	s_wait_loadcnt 0x0
	v_cmp_ne_u64_e32 vcc_lo, v[8:9], v[10:11]
	s_and_b32 exec_lo, exec_lo, vcc_lo
	s_cbranch_execz .LBB73_243
; %bb.241:
	s_mov_b32 s4, 0
.LBB73_242:                             ; =>This Inner Loop Header: Depth=1
	v_dual_mov_b32 v6, s0 :: v_dual_mov_b32 v7, s1
	s_sleep 1
	global_store_b64 v[2:3], v[8:9], off
	global_wb scope:SCOPE_SYS
	s_wait_storecnt 0x0
	s_wait_xcnt 0x0
	global_atomic_cmpswap_b64 v[6:7], v1, v[6:9], s[2:3] offset:24 th:TH_ATOMIC_RETURN scope:SCOPE_SYS
	s_wait_loadcnt 0x0
	v_cmp_eq_u64_e32 vcc_lo, v[6:7], v[8:9]
	v_mov_b64_e32 v[8:9], v[6:7]
	s_or_b32 s4, vcc_lo, s4
	s_delay_alu instid0(SALU_CYCLE_1)
	s_and_not1_b32 exec_lo, exec_lo, s4
	s_cbranch_execnz .LBB73_242
.LBB73_243:
	s_or_b32 exec_lo, exec_lo, s6
.LBB73_244:
	v_readfirstlane_b32 s0, v29
	s_wait_loadcnt 0x0
	v_mov_b64_e32 v[2:3], 0
	s_delay_alu instid0(VALU_DEP_2)
	v_cmp_eq_u32_e64 s0, s0, v29
	s_and_saveexec_b32 s1, s0
	s_cbranch_execz .LBB73_250
; %bb.245:
	v_mov_b32_e32 v1, 0
	s_mov_b32 s4, exec_lo
	global_load_b64 v[8:9], v1, s[2:3] offset:24 scope:SCOPE_SYS
	s_wait_loadcnt 0x0
	global_inv scope:SCOPE_SYS
	s_clause 0x1
	global_load_b64 v[2:3], v1, s[2:3] offset:40
	global_load_b64 v[6:7], v1, s[2:3]
	s_wait_loadcnt 0x1
	v_and_b32_e32 v2, v2, v8
	v_and_b32_e32 v3, v3, v9
	s_delay_alu instid0(VALU_DEP_1) | instskip(SKIP_1) | instid1(VALU_DEP_1)
	v_mul_u64_e32 v[2:3], 24, v[2:3]
	s_wait_loadcnt 0x0
	v_add_nc_u64_e32 v[2:3], v[6:7], v[2:3]
	global_load_b64 v[6:7], v[2:3], off scope:SCOPE_SYS
	s_wait_xcnt 0x0
	s_wait_loadcnt 0x0
	global_atomic_cmpswap_b64 v[2:3], v1, v[6:9], s[2:3] offset:24 th:TH_ATOMIC_RETURN scope:SCOPE_SYS
	s_wait_loadcnt 0x0
	global_inv scope:SCOPE_SYS
	s_wait_xcnt 0x0
	v_cmpx_ne_u64_e64 v[2:3], v[8:9]
	s_cbranch_execz .LBB73_249
; %bb.246:
	s_mov_b32 s5, 0
.LBB73_247:                             ; =>This Inner Loop Header: Depth=1
	s_sleep 1
	s_clause 0x1
	global_load_b64 v[6:7], v1, s[2:3] offset:40
	global_load_b64 v[10:11], v1, s[2:3]
	v_mov_b64_e32 v[8:9], v[2:3]
	s_wait_loadcnt 0x1
	s_delay_alu instid0(VALU_DEP_1) | instskip(NEXT) | instid1(VALU_DEP_2)
	v_and_b32_e32 v2, v6, v8
	v_and_b32_e32 v6, v7, v9
	s_wait_loadcnt 0x0
	s_delay_alu instid0(VALU_DEP_2) | instskip(NEXT) | instid1(VALU_DEP_1)
	v_mad_nc_u64_u32 v[2:3], v2, 24, v[10:11]
	v_mad_u32 v3, v6, 24, v3
	global_load_b64 v[6:7], v[2:3], off scope:SCOPE_SYS
	s_wait_xcnt 0x0
	s_wait_loadcnt 0x0
	global_atomic_cmpswap_b64 v[2:3], v1, v[6:9], s[2:3] offset:24 th:TH_ATOMIC_RETURN scope:SCOPE_SYS
	s_wait_loadcnt 0x0
	global_inv scope:SCOPE_SYS
	v_cmp_eq_u64_e32 vcc_lo, v[2:3], v[8:9]
	s_or_b32 s5, vcc_lo, s5
	s_wait_xcnt 0x0
	s_and_not1_b32 exec_lo, exec_lo, s5
	s_cbranch_execnz .LBB73_247
; %bb.248:
	s_or_b32 exec_lo, exec_lo, s5
.LBB73_249:
	s_delay_alu instid0(SALU_CYCLE_1)
	s_or_b32 exec_lo, exec_lo, s4
.LBB73_250:
	s_delay_alu instid0(SALU_CYCLE_1)
	s_or_b32 exec_lo, exec_lo, s1
	v_readfirstlane_b32 s4, v2
	v_mov_b32_e32 v1, 0
	v_readfirstlane_b32 s5, v3
	s_mov_b32 s1, exec_lo
	s_clause 0x1
	global_load_b64 v[6:7], v1, s[2:3] offset:40
	global_load_b128 v[8:11], v1, s[2:3]
	s_wait_loadcnt 0x1
	v_and_b32_e32 v2, s4, v6
	v_and_b32_e32 v3, s5, v7
	s_delay_alu instid0(VALU_DEP_1) | instskip(SKIP_1) | instid1(VALU_DEP_1)
	v_mul_u64_e32 v[6:7], 24, v[2:3]
	s_wait_loadcnt 0x0
	v_add_nc_u64_e32 v[12:13], v[8:9], v[6:7]
	s_wait_xcnt 0x0
	s_and_saveexec_b32 s6, s0
	s_cbranch_execz .LBB73_252
; %bb.251:
	v_mov_b64_e32 v[16:17], 0x100000002
	v_dual_mov_b32 v14, s1 :: v_dual_mov_b32 v15, v1
	global_store_b128 v[12:13], v[14:17], off offset:8
.LBB73_252:
	s_wait_xcnt 0x0
	s_or_b32 exec_lo, exec_lo, s6
	v_lshlrev_b64_e32 v[2:3], 12, v[2:3]
	s_mov_b32 s12, 0
	v_and_or_b32 v4, 0xffffff1f, v4, 32
	s_mov_b32 s14, s12
	s_mov_b32 s15, s12
	s_mov_b32 s13, s12
	v_mov_b64_e32 v[16:17], s[14:15]
	v_add_nc_u64_e32 v[10:11], v[10:11], v[2:3]
	v_mov_b64_e32 v[14:15], s[12:13]
	v_dual_mov_b32 v6, 0x347 :: v_dual_mov_b32 v7, v1
	s_delay_alu instid0(VALU_DEP_3) | instskip(NEXT) | instid1(VALU_DEP_4)
	v_readfirstlane_b32 s6, v10
	v_readfirstlane_b32 s7, v11
	s_clause 0x3
	global_store_b128 v0, v[4:7], s[6:7]
	global_store_b128 v0, v[14:17], s[6:7] offset:16
	global_store_b128 v0, v[14:17], s[6:7] offset:32
	;; [unrolled: 1-line block ×3, first 2 shown]
	s_wait_xcnt 0x0
	s_and_saveexec_b32 s1, s0
	s_cbranch_execz .LBB73_260
; %bb.253:
	v_dual_mov_b32 v14, 0 :: v_dual_mov_b32 v17, s5
	s_mov_b32 s6, exec_lo
	s_clause 0x1
	global_load_b64 v[18:19], v14, s[2:3] offset:32 scope:SCOPE_SYS
	global_load_b64 v[2:3], v14, s[2:3] offset:40
	s_wait_loadcnt 0x0
	v_dual_mov_b32 v16, s4 :: v_dual_bitop2_b32 v3, s5, v3 bitop3:0x40
	v_and_b32_e32 v2, s4, v2
	s_delay_alu instid0(VALU_DEP_1) | instskip(NEXT) | instid1(VALU_DEP_1)
	v_mul_u64_e32 v[2:3], 24, v[2:3]
	v_add_nc_u64_e32 v[6:7], v[8:9], v[2:3]
	global_store_b64 v[6:7], v[18:19], off
	global_wb scope:SCOPE_SYS
	s_wait_storecnt 0x0
	s_wait_xcnt 0x0
	global_atomic_cmpswap_b64 v[4:5], v14, v[16:19], s[2:3] offset:32 th:TH_ATOMIC_RETURN scope:SCOPE_SYS
	s_wait_loadcnt 0x0
	v_cmpx_ne_u64_e64 v[4:5], v[18:19]
	s_cbranch_execz .LBB73_256
; %bb.254:
	s_mov_b32 s7, 0
.LBB73_255:                             ; =>This Inner Loop Header: Depth=1
	v_dual_mov_b32 v2, s4 :: v_dual_mov_b32 v3, s5
	s_sleep 1
	global_store_b64 v[6:7], v[4:5], off
	global_wb scope:SCOPE_SYS
	s_wait_storecnt 0x0
	s_wait_xcnt 0x0
	global_atomic_cmpswap_b64 v[2:3], v14, v[2:5], s[2:3] offset:32 th:TH_ATOMIC_RETURN scope:SCOPE_SYS
	s_wait_loadcnt 0x0
	v_cmp_eq_u64_e32 vcc_lo, v[2:3], v[4:5]
	v_mov_b64_e32 v[4:5], v[2:3]
	s_or_b32 s7, vcc_lo, s7
	s_delay_alu instid0(SALU_CYCLE_1)
	s_and_not1_b32 exec_lo, exec_lo, s7
	s_cbranch_execnz .LBB73_255
.LBB73_256:
	s_or_b32 exec_lo, exec_lo, s6
	v_mov_b32_e32 v5, 0
	s_mov_b32 s7, exec_lo
	s_mov_b32 s6, exec_lo
	v_mbcnt_lo_u32_b32 v4, s7, 0
	global_load_b64 v[2:3], v5, s[2:3] offset:16
	s_wait_xcnt 0x0
	v_cmpx_eq_u32_e32 0, v4
	s_cbranch_execz .LBB73_258
; %bb.257:
	s_bcnt1_i32_b32 s7, s7
	s_delay_alu instid0(SALU_CYCLE_1)
	v_mov_b32_e32 v4, s7
	global_wb scope:SCOPE_SYS
	s_wait_loadcnt 0x0
	s_wait_storecnt 0x0
	global_atomic_add_u64 v[2:3], v[4:5], off offset:8 scope:SCOPE_SYS
.LBB73_258:
	s_wait_xcnt 0x0
	s_or_b32 exec_lo, exec_lo, s6
	s_wait_loadcnt 0x0
	global_load_b64 v[4:5], v[2:3], off offset:16
	s_wait_loadcnt 0x0
	v_cmp_eq_u64_e32 vcc_lo, 0, v[4:5]
	s_cbranch_vccnz .LBB73_260
; %bb.259:
	global_load_b32 v2, v[2:3], off offset:24
	s_wait_xcnt 0x0
	v_mov_b32_e32 v3, 0
	s_wait_loadcnt 0x0
	v_readfirstlane_b32 s6, v2
	global_wb scope:SCOPE_SYS
	s_wait_storecnt 0x0
	global_store_b64 v[4:5], v[2:3], off scope:SCOPE_SYS
	s_and_b32 m0, s6, 0xffffff
	s_sendmsg sendmsg(MSG_INTERRUPT)
.LBB73_260:
	s_wait_xcnt 0x0
	s_or_b32 exec_lo, exec_lo, s1
	v_add_nc_u64_e32 v[0:1], v[10:11], v[0:1]
	s_branch .LBB73_264
.LBB73_261:                             ;   in Loop: Header=BB73_264 Depth=1
	s_wait_xcnt 0x0
	s_or_b32 exec_lo, exec_lo, s1
	s_delay_alu instid0(VALU_DEP_1)
	v_readfirstlane_b32 s1, v2
	s_cmp_eq_u32 s1, 0
	s_cbranch_scc1 .LBB73_263
; %bb.262:                              ;   in Loop: Header=BB73_264 Depth=1
	s_sleep 1
	s_cbranch_execnz .LBB73_264
	s_branch .LBB73_266
.LBB73_263:
	s_branch .LBB73_266
.LBB73_264:                             ; =>This Inner Loop Header: Depth=1
	v_mov_b32_e32 v2, 1
	s_and_saveexec_b32 s1, s0
	s_cbranch_execz .LBB73_261
; %bb.265:                              ;   in Loop: Header=BB73_264 Depth=1
	global_load_b32 v2, v[12:13], off offset:20 scope:SCOPE_SYS
	s_wait_loadcnt 0x0
	global_inv scope:SCOPE_SYS
	v_and_b32_e32 v2, 1, v2
	s_branch .LBB73_261
.LBB73_266:
	global_load_b64 v[0:1], v[0:1], off
	s_wait_xcnt 0x0
	s_and_saveexec_b32 s6, s0
	s_cbranch_execz .LBB73_270
; %bb.267:
	v_mov_b32_e32 v8, 0
	s_clause 0x2
	global_load_b64 v[2:3], v8, s[2:3] offset:40
	global_load_b64 v[12:13], v8, s[2:3] offset:24 scope:SCOPE_SYS
	global_load_b64 v[4:5], v8, s[2:3]
	s_wait_loadcnt 0x2
	v_readfirstlane_b32 s10, v2
	v_readfirstlane_b32 s11, v3
	s_add_nc_u64 s[0:1], s[10:11], 1
	s_delay_alu instid0(SALU_CYCLE_1) | instskip(NEXT) | instid1(SALU_CYCLE_1)
	s_add_nc_u64 s[4:5], s[0:1], s[4:5]
	s_cmp_eq_u64 s[4:5], 0
	s_cselect_b32 s1, s1, s5
	s_cselect_b32 s0, s0, s4
	v_mov_b32_e32 v11, s1
	s_and_b64 s[4:5], s[0:1], s[10:11]
	v_mov_b32_e32 v10, s0
	s_mul_u64 s[4:5], s[4:5], 24
	s_wait_loadcnt 0x0
	v_add_nc_u64_e32 v[6:7], s[4:5], v[4:5]
	global_store_b64 v[6:7], v[12:13], off
	global_wb scope:SCOPE_SYS
	s_wait_storecnt 0x0
	s_wait_xcnt 0x0
	global_atomic_cmpswap_b64 v[4:5], v8, v[10:13], s[2:3] offset:24 th:TH_ATOMIC_RETURN scope:SCOPE_SYS
	s_wait_loadcnt 0x0
	v_cmp_ne_u64_e32 vcc_lo, v[4:5], v[12:13]
	s_and_b32 exec_lo, exec_lo, vcc_lo
	s_cbranch_execz .LBB73_270
; %bb.268:
	s_mov_b32 s4, 0
.LBB73_269:                             ; =>This Inner Loop Header: Depth=1
	v_dual_mov_b32 v2, s0 :: v_dual_mov_b32 v3, s1
	s_sleep 1
	global_store_b64 v[6:7], v[4:5], off
	global_wb scope:SCOPE_SYS
	s_wait_storecnt 0x0
	s_wait_xcnt 0x0
	global_atomic_cmpswap_b64 v[2:3], v8, v[2:5], s[2:3] offset:24 th:TH_ATOMIC_RETURN scope:SCOPE_SYS
	s_wait_loadcnt 0x0
	v_cmp_eq_u64_e32 vcc_lo, v[2:3], v[4:5]
	v_mov_b64_e32 v[4:5], v[2:3]
	s_or_b32 s4, vcc_lo, s4
	s_delay_alu instid0(SALU_CYCLE_1)
	s_and_not1_b32 exec_lo, exec_lo, s4
	s_cbranch_execnz .LBB73_269
.LBB73_270:
	s_or_b32 exec_lo, exec_lo, s6
	s_get_pc_i64 s[0:1]
	s_add_nc_u64 s[0:1], s[0:1], __FUNCTION__._ZL15flash_attn_tileILi64ELi64ELi8ELi8ELb1EEvPKcS1_S1_S1_S1_PKiPfP15HIP_vector_typeIfLj2EEffffjfiS5_IjLj3EEiiiiiiiiiiiliiliiiiil@rel64+4
	s_get_pc_i64 s[2:3]
	s_add_nc_u64 s[2:3], s[2:3], __ockl_printf_append_string_n@rel64+4
	s_cmp_lg_u64 s[0:1], 0
	v_dual_mov_b32 v2, s0 :: v_dual_mov_b32 v3, s1
	s_cselect_b32 s4, 16, 0
	s_delay_alu instid0(SALU_CYCLE_1)
	v_dual_mov_b32 v5, 0 :: v_dual_mov_b32 v4, s4
	s_mov_b64 s[14:15], s[8:9]
	s_swap_pc_i64 s[30:31], s[2:3]
	v_dual_mov_b32 v2, 0x514 :: v_dual_mov_b32 v3, 0
	v_mov_b32_e32 v4, 1
	s_get_pc_i64 s[0:1]
	s_add_nc_u64 s[0:1], s[0:1], __ockl_printf_append_args@rel64+4
	s_mov_b64 s[8:9], s[14:15]
	s_swap_pc_i64 s[30:31], s[0:1]
	s_trap 2
.Lfunc_end73:
	.size	_ZL14no_device_codePKciS0_iS0_, .Lfunc_end73-_ZL14no_device_codePKciS0_iS0_
                                        ; -- End function
	.set .L_ZL14no_device_codePKciS0_iS0_.num_vgpr, max(41, .L__ockl_printf_append_string_n.num_vgpr, .L__ockl_printf_append_args.num_vgpr)
	.set .L_ZL14no_device_codePKciS0_iS0_.num_agpr, max(0, .L__ockl_printf_append_string_n.num_agpr, .L__ockl_printf_append_args.num_agpr)
	.set .L_ZL14no_device_codePKciS0_iS0_.numbered_sgpr, max(34, .L__ockl_printf_append_string_n.numbered_sgpr, .L__ockl_printf_append_args.numbered_sgpr)
	.set .L_ZL14no_device_codePKciS0_iS0_.num_named_barrier, max(0, .L__ockl_printf_append_string_n.num_named_barrier, .L__ockl_printf_append_args.num_named_barrier)
	.set .L_ZL14no_device_codePKciS0_iS0_.private_seg_size, 16+max(.L__ockl_printf_append_string_n.private_seg_size, .L__ockl_printf_append_args.private_seg_size)
	.set .L_ZL14no_device_codePKciS0_iS0_.uses_vcc, or(1, .L__ockl_printf_append_string_n.uses_vcc, .L__ockl_printf_append_args.uses_vcc)
	.set .L_ZL14no_device_codePKciS0_iS0_.uses_flat_scratch, or(0, .L__ockl_printf_append_string_n.uses_flat_scratch, .L__ockl_printf_append_args.uses_flat_scratch)
	.set .L_ZL14no_device_codePKciS0_iS0_.has_dyn_sized_stack, or(0, .L__ockl_printf_append_string_n.has_dyn_sized_stack, .L__ockl_printf_append_args.has_dyn_sized_stack)
	.set .L_ZL14no_device_codePKciS0_iS0_.has_recursion, or(0, .L__ockl_printf_append_string_n.has_recursion, .L__ockl_printf_append_args.has_recursion)
	.set .L_ZL14no_device_codePKciS0_iS0_.has_indirect_call, or(0, .L__ockl_printf_append_string_n.has_indirect_call, .L__ockl_printf_append_args.has_indirect_call)
	.section	.AMDGPU.csdata,"",@progbits
; Function info:
; codeLenInByte = 11008
; TotalNumSgprs: 36
; NumVgprs: 50
; ScratchSize: 16
; MemoryBound: 0
	.section	.text._ZL15flash_attn_tileILi64ELi64ELi8ELi8ELb1EEvPKcS1_S1_S1_S1_PKiPfP15HIP_vector_typeIfLj2EEffffjfiS5_IjLj3EEiiiiiiiiiiiliiliiiiil,"axG",@progbits,_ZL15flash_attn_tileILi64ELi64ELi8ELi8ELb1EEvPKcS1_S1_S1_S1_PKiPfP15HIP_vector_typeIfLj2EEffffjfiS5_IjLj3EEiiiiiiiiiiiliiliiiiil,comdat
	.globl	_ZL15flash_attn_tileILi64ELi64ELi8ELi8ELb1EEvPKcS1_S1_S1_S1_PKiPfP15HIP_vector_typeIfLj2EEffffjfiS5_IjLj3EEiiiiiiiiiiiliiliiiiil ; -- Begin function _ZL15flash_attn_tileILi64ELi64ELi8ELi8ELb1EEvPKcS1_S1_S1_S1_PKiPfP15HIP_vector_typeIfLj2EEffffjfiS5_IjLj3EEiiiiiiiiiiiliiliiiiil
	.p2align	8
	.type	_ZL15flash_attn_tileILi64ELi64ELi8ELi8ELb1EEvPKcS1_S1_S1_S1_PKiPfP15HIP_vector_typeIfLj2EEffffjfiS5_IjLj3EEiiiiiiiiiiiliiliiiiil,@function
_ZL15flash_attn_tileILi64ELi64ELi8ELi8ELb1EEvPKcS1_S1_S1_S1_PKiPfP15HIP_vector_typeIfLj2EEffffjfiS5_IjLj3EEiiiiiiiiiiiliiliiiiil: ; @_ZL15flash_attn_tileILi64ELi64ELi8ELi8ELb1EEvPKcS1_S1_S1_S1_PKiPfP15HIP_vector_typeIfLj2EEffffjfiS5_IjLj3EEiiiiiiiiiiiliiliiiiil
; %bb.0:
	s_get_pc_i64 s[2:3]
	s_add_nc_u64 s[2:3], s[2:3], _ZL14no_device_codePKciS0_iS0_@rel64+4
	s_add_nc_u64 s[8:9], s[0:1], 0xd0
	s_mov_b32 s32, 0
	s_swap_pc_i64 s[30:31], s[2:3]
	.section	.rodata,"a",@progbits
	.p2align	6, 0x0
	.amdhsa_kernel _ZL15flash_attn_tileILi64ELi64ELi8ELi8ELb1EEvPKcS1_S1_S1_S1_PKiPfP15HIP_vector_typeIfLj2EEffffjfiS5_IjLj3EEiiiiiiiiiiiliiliiiiil
		.amdhsa_group_segment_fixed_size 0
		.amdhsa_private_segment_fixed_size 16
		.amdhsa_kernarg_size 464
		.amdhsa_user_sgpr_count 2
		.amdhsa_user_sgpr_dispatch_ptr 0
		.amdhsa_user_sgpr_queue_ptr 0
		.amdhsa_user_sgpr_kernarg_segment_ptr 1
		.amdhsa_user_sgpr_dispatch_id 0
		.amdhsa_user_sgpr_kernarg_preload_length 0
		.amdhsa_user_sgpr_kernarg_preload_offset 0
		.amdhsa_user_sgpr_private_segment_size 0
		.amdhsa_wavefront_size32 1
		.amdhsa_uses_dynamic_stack 0
		.amdhsa_enable_private_segment 1
		.amdhsa_system_sgpr_workgroup_id_x 1
		.amdhsa_system_sgpr_workgroup_id_y 0
		.amdhsa_system_sgpr_workgroup_id_z 0
		.amdhsa_system_sgpr_workgroup_info 0
		.amdhsa_system_vgpr_workitem_id 0
		.amdhsa_next_free_vgpr 50
		.amdhsa_next_free_sgpr 34
		.amdhsa_named_barrier_count 0
		.amdhsa_reserve_vcc 1
		.amdhsa_float_round_mode_32 0
		.amdhsa_float_round_mode_16_64 0
		.amdhsa_float_denorm_mode_32 3
		.amdhsa_float_denorm_mode_16_64 3
		.amdhsa_fp16_overflow 0
		.amdhsa_memory_ordered 1
		.amdhsa_forward_progress 1
		.amdhsa_inst_pref_size 1
		.amdhsa_round_robin_scheduling 0
		.amdhsa_exception_fp_ieee_invalid_op 0
		.amdhsa_exception_fp_denorm_src 0
		.amdhsa_exception_fp_ieee_div_zero 0
		.amdhsa_exception_fp_ieee_overflow 0
		.amdhsa_exception_fp_ieee_underflow 0
		.amdhsa_exception_fp_ieee_inexact 0
		.amdhsa_exception_int_div_zero 0
	.end_amdhsa_kernel
	.section	.text._ZL15flash_attn_tileILi64ELi64ELi8ELi8ELb1EEvPKcS1_S1_S1_S1_PKiPfP15HIP_vector_typeIfLj2EEffffjfiS5_IjLj3EEiiiiiiiiiiiliiliiiiil,"axG",@progbits,_ZL15flash_attn_tileILi64ELi64ELi8ELi8ELb1EEvPKcS1_S1_S1_S1_PKiPfP15HIP_vector_typeIfLj2EEffffjfiS5_IjLj3EEiiiiiiiiiiiliiliiiiil,comdat
.Lfunc_end74:
	.size	_ZL15flash_attn_tileILi64ELi64ELi8ELi8ELb1EEvPKcS1_S1_S1_S1_PKiPfP15HIP_vector_typeIfLj2EEffffjfiS5_IjLj3EEiiiiiiiiiiiliiliiiiil, .Lfunc_end74-_ZL15flash_attn_tileILi64ELi64ELi8ELi8ELb1EEvPKcS1_S1_S1_S1_PKiPfP15HIP_vector_typeIfLj2EEffffjfiS5_IjLj3EEiiiiiiiiiiiliiliiiiil
                                        ; -- End function
	.set _ZL15flash_attn_tileILi64ELi64ELi8ELi8ELb1EEvPKcS1_S1_S1_S1_PKiPfP15HIP_vector_typeIfLj2EEffffjfiS5_IjLj3EEiiiiiiiiiiiliiliiiiil.num_vgpr, max(0, .L_ZL14no_device_codePKciS0_iS0_.num_vgpr)
	.set _ZL15flash_attn_tileILi64ELi64ELi8ELi8ELb1EEvPKcS1_S1_S1_S1_PKiPfP15HIP_vector_typeIfLj2EEffffjfiS5_IjLj3EEiiiiiiiiiiiliiliiiiil.num_agpr, max(0, .L_ZL14no_device_codePKciS0_iS0_.num_agpr)
	.set _ZL15flash_attn_tileILi64ELi64ELi8ELi8ELb1EEvPKcS1_S1_S1_S1_PKiPfP15HIP_vector_typeIfLj2EEffffjfiS5_IjLj3EEiiiiiiiiiiiliiliiiiil.numbered_sgpr, max(33, .L_ZL14no_device_codePKciS0_iS0_.numbered_sgpr)
	.set _ZL15flash_attn_tileILi64ELi64ELi8ELi8ELb1EEvPKcS1_S1_S1_S1_PKiPfP15HIP_vector_typeIfLj2EEffffjfiS5_IjLj3EEiiiiiiiiiiiliiliiiiil.num_named_barrier, max(0, .L_ZL14no_device_codePKciS0_iS0_.num_named_barrier)
	.set _ZL15flash_attn_tileILi64ELi64ELi8ELi8ELb1EEvPKcS1_S1_S1_S1_PKiPfP15HIP_vector_typeIfLj2EEffffjfiS5_IjLj3EEiiiiiiiiiiiliiliiiiil.private_seg_size, 0+max(.L_ZL14no_device_codePKciS0_iS0_.private_seg_size)
	.set _ZL15flash_attn_tileILi64ELi64ELi8ELi8ELb1EEvPKcS1_S1_S1_S1_PKiPfP15HIP_vector_typeIfLj2EEffffjfiS5_IjLj3EEiiiiiiiiiiiliiliiiiil.uses_vcc, or(1, .L_ZL14no_device_codePKciS0_iS0_.uses_vcc)
	.set _ZL15flash_attn_tileILi64ELi64ELi8ELi8ELb1EEvPKcS1_S1_S1_S1_PKiPfP15HIP_vector_typeIfLj2EEffffjfiS5_IjLj3EEiiiiiiiiiiiliiliiiiil.uses_flat_scratch, or(0, .L_ZL14no_device_codePKciS0_iS0_.uses_flat_scratch)
	.set _ZL15flash_attn_tileILi64ELi64ELi8ELi8ELb1EEvPKcS1_S1_S1_S1_PKiPfP15HIP_vector_typeIfLj2EEffffjfiS5_IjLj3EEiiiiiiiiiiiliiliiiiil.has_dyn_sized_stack, or(0, .L_ZL14no_device_codePKciS0_iS0_.has_dyn_sized_stack)
	.set _ZL15flash_attn_tileILi64ELi64ELi8ELi8ELb1EEvPKcS1_S1_S1_S1_PKiPfP15HIP_vector_typeIfLj2EEffffjfiS5_IjLj3EEiiiiiiiiiiiliiliiiiil.has_recursion, or(0, .L_ZL14no_device_codePKciS0_iS0_.has_recursion)
	.set _ZL15flash_attn_tileILi64ELi64ELi8ELi8ELb1EEvPKcS1_S1_S1_S1_PKiPfP15HIP_vector_typeIfLj2EEffffjfiS5_IjLj3EEiiiiiiiiiiiliiliiiiil.has_indirect_call, or(0, .L_ZL14no_device_codePKciS0_iS0_.has_indirect_call)
	.section	.AMDGPU.csdata,"",@progbits
; Kernel info:
; codeLenInByte = 32
; TotalNumSgprs: 36
; NumVgprs: 50
; ScratchSize: 16
; MemoryBound: 0
; FloatMode: 240
; IeeeMode: 1
; LDSByteSize: 0 bytes/workgroup (compile time only)
; SGPRBlocks: 0
; VGPRBlocks: 3
; NumSGPRsForWavesPerEU: 36
; NumVGPRsForWavesPerEU: 50
; NamedBarCnt: 0
; Occupancy: 16
; WaveLimiterHint : 1
; COMPUTE_PGM_RSRC2:SCRATCH_EN: 1
; COMPUTE_PGM_RSRC2:USER_SGPR: 2
; COMPUTE_PGM_RSRC2:TRAP_HANDLER: 0
; COMPUTE_PGM_RSRC2:TGID_X_EN: 1
; COMPUTE_PGM_RSRC2:TGID_Y_EN: 0
; COMPUTE_PGM_RSRC2:TGID_Z_EN: 0
; COMPUTE_PGM_RSRC2:TIDIG_COMP_CNT: 0
	.section	.text._ZL15flash_attn_tileILi64ELi64ELi4ELi8ELb1EEvPKcS1_S1_S1_S1_PKiPfP15HIP_vector_typeIfLj2EEffffjfiS5_IjLj3EEiiiiiiiiiiiliiliiiiil,"axG",@progbits,_ZL15flash_attn_tileILi64ELi64ELi4ELi8ELb1EEvPKcS1_S1_S1_S1_PKiPfP15HIP_vector_typeIfLj2EEffffjfiS5_IjLj3EEiiiiiiiiiiiliiliiiiil,comdat
	.globl	_ZL15flash_attn_tileILi64ELi64ELi4ELi8ELb1EEvPKcS1_S1_S1_S1_PKiPfP15HIP_vector_typeIfLj2EEffffjfiS5_IjLj3EEiiiiiiiiiiiliiliiiiil ; -- Begin function _ZL15flash_attn_tileILi64ELi64ELi4ELi8ELb1EEvPKcS1_S1_S1_S1_PKiPfP15HIP_vector_typeIfLj2EEffffjfiS5_IjLj3EEiiiiiiiiiiiliiliiiiil
	.p2align	8
	.type	_ZL15flash_attn_tileILi64ELi64ELi4ELi8ELb1EEvPKcS1_S1_S1_S1_PKiPfP15HIP_vector_typeIfLj2EEffffjfiS5_IjLj3EEiiiiiiiiiiiliiliiiiil,@function
_ZL15flash_attn_tileILi64ELi64ELi4ELi8ELb1EEvPKcS1_S1_S1_S1_PKiPfP15HIP_vector_typeIfLj2EEffffjfiS5_IjLj3EEiiiiiiiiiiiliiliiiiil: ; @_ZL15flash_attn_tileILi64ELi64ELi4ELi8ELb1EEvPKcS1_S1_S1_S1_PKiPfP15HIP_vector_typeIfLj2EEffffjfiS5_IjLj3EEiiiiiiiiiiiliiliiiiil
; %bb.0:
	s_get_pc_i64 s[2:3]
	s_add_nc_u64 s[2:3], s[2:3], _ZL14no_device_codePKciS0_iS0_@rel64+4
	s_add_nc_u64 s[8:9], s[0:1], 0xd0
	s_mov_b32 s32, 0
	s_swap_pc_i64 s[30:31], s[2:3]
	.section	.rodata,"a",@progbits
	.p2align	6, 0x0
	.amdhsa_kernel _ZL15flash_attn_tileILi64ELi64ELi4ELi8ELb1EEvPKcS1_S1_S1_S1_PKiPfP15HIP_vector_typeIfLj2EEffffjfiS5_IjLj3EEiiiiiiiiiiiliiliiiiil
		.amdhsa_group_segment_fixed_size 0
		.amdhsa_private_segment_fixed_size 16
		.amdhsa_kernarg_size 464
		.amdhsa_user_sgpr_count 2
		.amdhsa_user_sgpr_dispatch_ptr 0
		.amdhsa_user_sgpr_queue_ptr 0
		.amdhsa_user_sgpr_kernarg_segment_ptr 1
		.amdhsa_user_sgpr_dispatch_id 0
		.amdhsa_user_sgpr_kernarg_preload_length 0
		.amdhsa_user_sgpr_kernarg_preload_offset 0
		.amdhsa_user_sgpr_private_segment_size 0
		.amdhsa_wavefront_size32 1
		.amdhsa_uses_dynamic_stack 0
		.amdhsa_enable_private_segment 1
		.amdhsa_system_sgpr_workgroup_id_x 1
		.amdhsa_system_sgpr_workgroup_id_y 0
		.amdhsa_system_sgpr_workgroup_id_z 0
		.amdhsa_system_sgpr_workgroup_info 0
		.amdhsa_system_vgpr_workitem_id 0
		.amdhsa_next_free_vgpr 50
		.amdhsa_next_free_sgpr 34
		.amdhsa_named_barrier_count 0
		.amdhsa_reserve_vcc 1
		.amdhsa_float_round_mode_32 0
		.amdhsa_float_round_mode_16_64 0
		.amdhsa_float_denorm_mode_32 3
		.amdhsa_float_denorm_mode_16_64 3
		.amdhsa_fp16_overflow 0
		.amdhsa_memory_ordered 1
		.amdhsa_forward_progress 1
		.amdhsa_inst_pref_size 1
		.amdhsa_round_robin_scheduling 0
		.amdhsa_exception_fp_ieee_invalid_op 0
		.amdhsa_exception_fp_denorm_src 0
		.amdhsa_exception_fp_ieee_div_zero 0
		.amdhsa_exception_fp_ieee_overflow 0
		.amdhsa_exception_fp_ieee_underflow 0
		.amdhsa_exception_fp_ieee_inexact 0
		.amdhsa_exception_int_div_zero 0
	.end_amdhsa_kernel
	.section	.text._ZL15flash_attn_tileILi64ELi64ELi4ELi8ELb1EEvPKcS1_S1_S1_S1_PKiPfP15HIP_vector_typeIfLj2EEffffjfiS5_IjLj3EEiiiiiiiiiiiliiliiiiil,"axG",@progbits,_ZL15flash_attn_tileILi64ELi64ELi4ELi8ELb1EEvPKcS1_S1_S1_S1_PKiPfP15HIP_vector_typeIfLj2EEffffjfiS5_IjLj3EEiiiiiiiiiiiliiliiiiil,comdat
.Lfunc_end75:
	.size	_ZL15flash_attn_tileILi64ELi64ELi4ELi8ELb1EEvPKcS1_S1_S1_S1_PKiPfP15HIP_vector_typeIfLj2EEffffjfiS5_IjLj3EEiiiiiiiiiiiliiliiiiil, .Lfunc_end75-_ZL15flash_attn_tileILi64ELi64ELi4ELi8ELb1EEvPKcS1_S1_S1_S1_PKiPfP15HIP_vector_typeIfLj2EEffffjfiS5_IjLj3EEiiiiiiiiiiiliiliiiiil
                                        ; -- End function
	.set _ZL15flash_attn_tileILi64ELi64ELi4ELi8ELb1EEvPKcS1_S1_S1_S1_PKiPfP15HIP_vector_typeIfLj2EEffffjfiS5_IjLj3EEiiiiiiiiiiiliiliiiiil.num_vgpr, max(0, .L_ZL14no_device_codePKciS0_iS0_.num_vgpr)
	.set _ZL15flash_attn_tileILi64ELi64ELi4ELi8ELb1EEvPKcS1_S1_S1_S1_PKiPfP15HIP_vector_typeIfLj2EEffffjfiS5_IjLj3EEiiiiiiiiiiiliiliiiiil.num_agpr, max(0, .L_ZL14no_device_codePKciS0_iS0_.num_agpr)
	.set _ZL15flash_attn_tileILi64ELi64ELi4ELi8ELb1EEvPKcS1_S1_S1_S1_PKiPfP15HIP_vector_typeIfLj2EEffffjfiS5_IjLj3EEiiiiiiiiiiiliiliiiiil.numbered_sgpr, max(33, .L_ZL14no_device_codePKciS0_iS0_.numbered_sgpr)
	.set _ZL15flash_attn_tileILi64ELi64ELi4ELi8ELb1EEvPKcS1_S1_S1_S1_PKiPfP15HIP_vector_typeIfLj2EEffffjfiS5_IjLj3EEiiiiiiiiiiiliiliiiiil.num_named_barrier, max(0, .L_ZL14no_device_codePKciS0_iS0_.num_named_barrier)
	.set _ZL15flash_attn_tileILi64ELi64ELi4ELi8ELb1EEvPKcS1_S1_S1_S1_PKiPfP15HIP_vector_typeIfLj2EEffffjfiS5_IjLj3EEiiiiiiiiiiiliiliiiiil.private_seg_size, 0+max(.L_ZL14no_device_codePKciS0_iS0_.private_seg_size)
	.set _ZL15flash_attn_tileILi64ELi64ELi4ELi8ELb1EEvPKcS1_S1_S1_S1_PKiPfP15HIP_vector_typeIfLj2EEffffjfiS5_IjLj3EEiiiiiiiiiiiliiliiiiil.uses_vcc, or(1, .L_ZL14no_device_codePKciS0_iS0_.uses_vcc)
	.set _ZL15flash_attn_tileILi64ELi64ELi4ELi8ELb1EEvPKcS1_S1_S1_S1_PKiPfP15HIP_vector_typeIfLj2EEffffjfiS5_IjLj3EEiiiiiiiiiiiliiliiiiil.uses_flat_scratch, or(0, .L_ZL14no_device_codePKciS0_iS0_.uses_flat_scratch)
	.set _ZL15flash_attn_tileILi64ELi64ELi4ELi8ELb1EEvPKcS1_S1_S1_S1_PKiPfP15HIP_vector_typeIfLj2EEffffjfiS5_IjLj3EEiiiiiiiiiiiliiliiiiil.has_dyn_sized_stack, or(0, .L_ZL14no_device_codePKciS0_iS0_.has_dyn_sized_stack)
	.set _ZL15flash_attn_tileILi64ELi64ELi4ELi8ELb1EEvPKcS1_S1_S1_S1_PKiPfP15HIP_vector_typeIfLj2EEffffjfiS5_IjLj3EEiiiiiiiiiiiliiliiiiil.has_recursion, or(0, .L_ZL14no_device_codePKciS0_iS0_.has_recursion)
	.set _ZL15flash_attn_tileILi64ELi64ELi4ELi8ELb1EEvPKcS1_S1_S1_S1_PKiPfP15HIP_vector_typeIfLj2EEffffjfiS5_IjLj3EEiiiiiiiiiiiliiliiiiil.has_indirect_call, or(0, .L_ZL14no_device_codePKciS0_iS0_.has_indirect_call)
	.section	.AMDGPU.csdata,"",@progbits
; Kernel info:
; codeLenInByte = 32
; TotalNumSgprs: 36
; NumVgprs: 50
; ScratchSize: 16
; MemoryBound: 0
; FloatMode: 240
; IeeeMode: 1
; LDSByteSize: 0 bytes/workgroup (compile time only)
; SGPRBlocks: 0
; VGPRBlocks: 3
; NumSGPRsForWavesPerEU: 36
; NumVGPRsForWavesPerEU: 50
; NamedBarCnt: 0
; Occupancy: 16
; WaveLimiterHint : 1
; COMPUTE_PGM_RSRC2:SCRATCH_EN: 1
; COMPUTE_PGM_RSRC2:USER_SGPR: 2
; COMPUTE_PGM_RSRC2:TRAP_HANDLER: 0
; COMPUTE_PGM_RSRC2:TGID_X_EN: 1
; COMPUTE_PGM_RSRC2:TGID_Y_EN: 0
; COMPUTE_PGM_RSRC2:TGID_Z_EN: 0
; COMPUTE_PGM_RSRC2:TIDIG_COMP_CNT: 0
	.section	.text._ZL15flash_attn_tileILi64ELi64ELi2ELi8ELb1EEvPKcS1_S1_S1_S1_PKiPfP15HIP_vector_typeIfLj2EEffffjfiS5_IjLj3EEiiiiiiiiiiiliiliiiiil,"axG",@progbits,_ZL15flash_attn_tileILi64ELi64ELi2ELi8ELb1EEvPKcS1_S1_S1_S1_PKiPfP15HIP_vector_typeIfLj2EEffffjfiS5_IjLj3EEiiiiiiiiiiiliiliiiiil,comdat
	.globl	_ZL15flash_attn_tileILi64ELi64ELi2ELi8ELb1EEvPKcS1_S1_S1_S1_PKiPfP15HIP_vector_typeIfLj2EEffffjfiS5_IjLj3EEiiiiiiiiiiiliiliiiiil ; -- Begin function _ZL15flash_attn_tileILi64ELi64ELi2ELi8ELb1EEvPKcS1_S1_S1_S1_PKiPfP15HIP_vector_typeIfLj2EEffffjfiS5_IjLj3EEiiiiiiiiiiiliiliiiiil
	.p2align	8
	.type	_ZL15flash_attn_tileILi64ELi64ELi2ELi8ELb1EEvPKcS1_S1_S1_S1_PKiPfP15HIP_vector_typeIfLj2EEffffjfiS5_IjLj3EEiiiiiiiiiiiliiliiiiil,@function
_ZL15flash_attn_tileILi64ELi64ELi2ELi8ELb1EEvPKcS1_S1_S1_S1_PKiPfP15HIP_vector_typeIfLj2EEffffjfiS5_IjLj3EEiiiiiiiiiiiliiliiiiil: ; @_ZL15flash_attn_tileILi64ELi64ELi2ELi8ELb1EEvPKcS1_S1_S1_S1_PKiPfP15HIP_vector_typeIfLj2EEffffjfiS5_IjLj3EEiiiiiiiiiiiliiliiiiil
; %bb.0:
	s_get_pc_i64 s[2:3]
	s_add_nc_u64 s[2:3], s[2:3], _ZL14no_device_codePKciS0_iS0_@rel64+4
	s_add_nc_u64 s[8:9], s[0:1], 0xd0
	s_mov_b32 s32, 0
	s_swap_pc_i64 s[30:31], s[2:3]
	.section	.rodata,"a",@progbits
	.p2align	6, 0x0
	.amdhsa_kernel _ZL15flash_attn_tileILi64ELi64ELi2ELi8ELb1EEvPKcS1_S1_S1_S1_PKiPfP15HIP_vector_typeIfLj2EEffffjfiS5_IjLj3EEiiiiiiiiiiiliiliiiiil
		.amdhsa_group_segment_fixed_size 0
		.amdhsa_private_segment_fixed_size 16
		.amdhsa_kernarg_size 464
		.amdhsa_user_sgpr_count 2
		.amdhsa_user_sgpr_dispatch_ptr 0
		.amdhsa_user_sgpr_queue_ptr 0
		.amdhsa_user_sgpr_kernarg_segment_ptr 1
		.amdhsa_user_sgpr_dispatch_id 0
		.amdhsa_user_sgpr_kernarg_preload_length 0
		.amdhsa_user_sgpr_kernarg_preload_offset 0
		.amdhsa_user_sgpr_private_segment_size 0
		.amdhsa_wavefront_size32 1
		.amdhsa_uses_dynamic_stack 0
		.amdhsa_enable_private_segment 1
		.amdhsa_system_sgpr_workgroup_id_x 1
		.amdhsa_system_sgpr_workgroup_id_y 0
		.amdhsa_system_sgpr_workgroup_id_z 0
		.amdhsa_system_sgpr_workgroup_info 0
		.amdhsa_system_vgpr_workitem_id 0
		.amdhsa_next_free_vgpr 50
		.amdhsa_next_free_sgpr 34
		.amdhsa_named_barrier_count 0
		.amdhsa_reserve_vcc 1
		.amdhsa_float_round_mode_32 0
		.amdhsa_float_round_mode_16_64 0
		.amdhsa_float_denorm_mode_32 3
		.amdhsa_float_denorm_mode_16_64 3
		.amdhsa_fp16_overflow 0
		.amdhsa_memory_ordered 1
		.amdhsa_forward_progress 1
		.amdhsa_inst_pref_size 1
		.amdhsa_round_robin_scheduling 0
		.amdhsa_exception_fp_ieee_invalid_op 0
		.amdhsa_exception_fp_denorm_src 0
		.amdhsa_exception_fp_ieee_div_zero 0
		.amdhsa_exception_fp_ieee_overflow 0
		.amdhsa_exception_fp_ieee_underflow 0
		.amdhsa_exception_fp_ieee_inexact 0
		.amdhsa_exception_int_div_zero 0
	.end_amdhsa_kernel
	.section	.text._ZL15flash_attn_tileILi64ELi64ELi2ELi8ELb1EEvPKcS1_S1_S1_S1_PKiPfP15HIP_vector_typeIfLj2EEffffjfiS5_IjLj3EEiiiiiiiiiiiliiliiiiil,"axG",@progbits,_ZL15flash_attn_tileILi64ELi64ELi2ELi8ELb1EEvPKcS1_S1_S1_S1_PKiPfP15HIP_vector_typeIfLj2EEffffjfiS5_IjLj3EEiiiiiiiiiiiliiliiiiil,comdat
.Lfunc_end76:
	.size	_ZL15flash_attn_tileILi64ELi64ELi2ELi8ELb1EEvPKcS1_S1_S1_S1_PKiPfP15HIP_vector_typeIfLj2EEffffjfiS5_IjLj3EEiiiiiiiiiiiliiliiiiil, .Lfunc_end76-_ZL15flash_attn_tileILi64ELi64ELi2ELi8ELb1EEvPKcS1_S1_S1_S1_PKiPfP15HIP_vector_typeIfLj2EEffffjfiS5_IjLj3EEiiiiiiiiiiiliiliiiiil
                                        ; -- End function
	.set _ZL15flash_attn_tileILi64ELi64ELi2ELi8ELb1EEvPKcS1_S1_S1_S1_PKiPfP15HIP_vector_typeIfLj2EEffffjfiS5_IjLj3EEiiiiiiiiiiiliiliiiiil.num_vgpr, max(0, .L_ZL14no_device_codePKciS0_iS0_.num_vgpr)
	.set _ZL15flash_attn_tileILi64ELi64ELi2ELi8ELb1EEvPKcS1_S1_S1_S1_PKiPfP15HIP_vector_typeIfLj2EEffffjfiS5_IjLj3EEiiiiiiiiiiiliiliiiiil.num_agpr, max(0, .L_ZL14no_device_codePKciS0_iS0_.num_agpr)
	.set _ZL15flash_attn_tileILi64ELi64ELi2ELi8ELb1EEvPKcS1_S1_S1_S1_PKiPfP15HIP_vector_typeIfLj2EEffffjfiS5_IjLj3EEiiiiiiiiiiiliiliiiiil.numbered_sgpr, max(33, .L_ZL14no_device_codePKciS0_iS0_.numbered_sgpr)
	.set _ZL15flash_attn_tileILi64ELi64ELi2ELi8ELb1EEvPKcS1_S1_S1_S1_PKiPfP15HIP_vector_typeIfLj2EEffffjfiS5_IjLj3EEiiiiiiiiiiiliiliiiiil.num_named_barrier, max(0, .L_ZL14no_device_codePKciS0_iS0_.num_named_barrier)
	.set _ZL15flash_attn_tileILi64ELi64ELi2ELi8ELb1EEvPKcS1_S1_S1_S1_PKiPfP15HIP_vector_typeIfLj2EEffffjfiS5_IjLj3EEiiiiiiiiiiiliiliiiiil.private_seg_size, 0+max(.L_ZL14no_device_codePKciS0_iS0_.private_seg_size)
	.set _ZL15flash_attn_tileILi64ELi64ELi2ELi8ELb1EEvPKcS1_S1_S1_S1_PKiPfP15HIP_vector_typeIfLj2EEffffjfiS5_IjLj3EEiiiiiiiiiiiliiliiiiil.uses_vcc, or(1, .L_ZL14no_device_codePKciS0_iS0_.uses_vcc)
	.set _ZL15flash_attn_tileILi64ELi64ELi2ELi8ELb1EEvPKcS1_S1_S1_S1_PKiPfP15HIP_vector_typeIfLj2EEffffjfiS5_IjLj3EEiiiiiiiiiiiliiliiiiil.uses_flat_scratch, or(0, .L_ZL14no_device_codePKciS0_iS0_.uses_flat_scratch)
	.set _ZL15flash_attn_tileILi64ELi64ELi2ELi8ELb1EEvPKcS1_S1_S1_S1_PKiPfP15HIP_vector_typeIfLj2EEffffjfiS5_IjLj3EEiiiiiiiiiiiliiliiiiil.has_dyn_sized_stack, or(0, .L_ZL14no_device_codePKciS0_iS0_.has_dyn_sized_stack)
	.set _ZL15flash_attn_tileILi64ELi64ELi2ELi8ELb1EEvPKcS1_S1_S1_S1_PKiPfP15HIP_vector_typeIfLj2EEffffjfiS5_IjLj3EEiiiiiiiiiiiliiliiiiil.has_recursion, or(0, .L_ZL14no_device_codePKciS0_iS0_.has_recursion)
	.set _ZL15flash_attn_tileILi64ELi64ELi2ELi8ELb1EEvPKcS1_S1_S1_S1_PKiPfP15HIP_vector_typeIfLj2EEffffjfiS5_IjLj3EEiiiiiiiiiiiliiliiiiil.has_indirect_call, or(0, .L_ZL14no_device_codePKciS0_iS0_.has_indirect_call)
	.section	.AMDGPU.csdata,"",@progbits
; Kernel info:
; codeLenInByte = 32
; TotalNumSgprs: 36
; NumVgprs: 50
; ScratchSize: 16
; MemoryBound: 0
; FloatMode: 240
; IeeeMode: 1
; LDSByteSize: 0 bytes/workgroup (compile time only)
; SGPRBlocks: 0
; VGPRBlocks: 3
; NumSGPRsForWavesPerEU: 36
; NumVGPRsForWavesPerEU: 50
; NamedBarCnt: 0
; Occupancy: 16
; WaveLimiterHint : 1
; COMPUTE_PGM_RSRC2:SCRATCH_EN: 1
; COMPUTE_PGM_RSRC2:USER_SGPR: 2
; COMPUTE_PGM_RSRC2:TRAP_HANDLER: 0
; COMPUTE_PGM_RSRC2:TGID_X_EN: 1
; COMPUTE_PGM_RSRC2:TGID_Y_EN: 0
; COMPUTE_PGM_RSRC2:TGID_Z_EN: 0
; COMPUTE_PGM_RSRC2:TIDIG_COMP_CNT: 0
	.section	.text._ZL15flash_attn_tileILi64ELi64ELi1ELi8ELb1EEvPKcS1_S1_S1_S1_PKiPfP15HIP_vector_typeIfLj2EEffffjfiS5_IjLj3EEiiiiiiiiiiiliiliiiiil,"axG",@progbits,_ZL15flash_attn_tileILi64ELi64ELi1ELi8ELb1EEvPKcS1_S1_S1_S1_PKiPfP15HIP_vector_typeIfLj2EEffffjfiS5_IjLj3EEiiiiiiiiiiiliiliiiiil,comdat
	.globl	_ZL15flash_attn_tileILi64ELi64ELi1ELi8ELb1EEvPKcS1_S1_S1_S1_PKiPfP15HIP_vector_typeIfLj2EEffffjfiS5_IjLj3EEiiiiiiiiiiiliiliiiiil ; -- Begin function _ZL15flash_attn_tileILi64ELi64ELi1ELi8ELb1EEvPKcS1_S1_S1_S1_PKiPfP15HIP_vector_typeIfLj2EEffffjfiS5_IjLj3EEiiiiiiiiiiiliiliiiiil
	.p2align	8
	.type	_ZL15flash_attn_tileILi64ELi64ELi1ELi8ELb1EEvPKcS1_S1_S1_S1_PKiPfP15HIP_vector_typeIfLj2EEffffjfiS5_IjLj3EEiiiiiiiiiiiliiliiiiil,@function
_ZL15flash_attn_tileILi64ELi64ELi1ELi8ELb1EEvPKcS1_S1_S1_S1_PKiPfP15HIP_vector_typeIfLj2EEffffjfiS5_IjLj3EEiiiiiiiiiiiliiliiiiil: ; @_ZL15flash_attn_tileILi64ELi64ELi1ELi8ELb1EEvPKcS1_S1_S1_S1_PKiPfP15HIP_vector_typeIfLj2EEffffjfiS5_IjLj3EEiiiiiiiiiiiliiliiiiil
; %bb.0:
	s_get_pc_i64 s[2:3]
	s_add_nc_u64 s[2:3], s[2:3], _ZL14no_device_codePKciS0_iS0_@rel64+4
	s_add_nc_u64 s[8:9], s[0:1], 0xd0
	s_mov_b32 s32, 0
	s_swap_pc_i64 s[30:31], s[2:3]
	.section	.rodata,"a",@progbits
	.p2align	6, 0x0
	.amdhsa_kernel _ZL15flash_attn_tileILi64ELi64ELi1ELi8ELb1EEvPKcS1_S1_S1_S1_PKiPfP15HIP_vector_typeIfLj2EEffffjfiS5_IjLj3EEiiiiiiiiiiiliiliiiiil
		.amdhsa_group_segment_fixed_size 0
		.amdhsa_private_segment_fixed_size 16
		.amdhsa_kernarg_size 464
		.amdhsa_user_sgpr_count 2
		.amdhsa_user_sgpr_dispatch_ptr 0
		.amdhsa_user_sgpr_queue_ptr 0
		.amdhsa_user_sgpr_kernarg_segment_ptr 1
		.amdhsa_user_sgpr_dispatch_id 0
		.amdhsa_user_sgpr_kernarg_preload_length 0
		.amdhsa_user_sgpr_kernarg_preload_offset 0
		.amdhsa_user_sgpr_private_segment_size 0
		.amdhsa_wavefront_size32 1
		.amdhsa_uses_dynamic_stack 0
		.amdhsa_enable_private_segment 1
		.amdhsa_system_sgpr_workgroup_id_x 1
		.amdhsa_system_sgpr_workgroup_id_y 0
		.amdhsa_system_sgpr_workgroup_id_z 0
		.amdhsa_system_sgpr_workgroup_info 0
		.amdhsa_system_vgpr_workitem_id 0
		.amdhsa_next_free_vgpr 50
		.amdhsa_next_free_sgpr 34
		.amdhsa_named_barrier_count 0
		.amdhsa_reserve_vcc 1
		.amdhsa_float_round_mode_32 0
		.amdhsa_float_round_mode_16_64 0
		.amdhsa_float_denorm_mode_32 3
		.amdhsa_float_denorm_mode_16_64 3
		.amdhsa_fp16_overflow 0
		.amdhsa_memory_ordered 1
		.amdhsa_forward_progress 1
		.amdhsa_inst_pref_size 1
		.amdhsa_round_robin_scheduling 0
		.amdhsa_exception_fp_ieee_invalid_op 0
		.amdhsa_exception_fp_denorm_src 0
		.amdhsa_exception_fp_ieee_div_zero 0
		.amdhsa_exception_fp_ieee_overflow 0
		.amdhsa_exception_fp_ieee_underflow 0
		.amdhsa_exception_fp_ieee_inexact 0
		.amdhsa_exception_int_div_zero 0
	.end_amdhsa_kernel
	.section	.text._ZL15flash_attn_tileILi64ELi64ELi1ELi8ELb1EEvPKcS1_S1_S1_S1_PKiPfP15HIP_vector_typeIfLj2EEffffjfiS5_IjLj3EEiiiiiiiiiiiliiliiiiil,"axG",@progbits,_ZL15flash_attn_tileILi64ELi64ELi1ELi8ELb1EEvPKcS1_S1_S1_S1_PKiPfP15HIP_vector_typeIfLj2EEffffjfiS5_IjLj3EEiiiiiiiiiiiliiliiiiil,comdat
.Lfunc_end77:
	.size	_ZL15flash_attn_tileILi64ELi64ELi1ELi8ELb1EEvPKcS1_S1_S1_S1_PKiPfP15HIP_vector_typeIfLj2EEffffjfiS5_IjLj3EEiiiiiiiiiiiliiliiiiil, .Lfunc_end77-_ZL15flash_attn_tileILi64ELi64ELi1ELi8ELb1EEvPKcS1_S1_S1_S1_PKiPfP15HIP_vector_typeIfLj2EEffffjfiS5_IjLj3EEiiiiiiiiiiiliiliiiiil
                                        ; -- End function
	.set _ZL15flash_attn_tileILi64ELi64ELi1ELi8ELb1EEvPKcS1_S1_S1_S1_PKiPfP15HIP_vector_typeIfLj2EEffffjfiS5_IjLj3EEiiiiiiiiiiiliiliiiiil.num_vgpr, max(0, .L_ZL14no_device_codePKciS0_iS0_.num_vgpr)
	.set _ZL15flash_attn_tileILi64ELi64ELi1ELi8ELb1EEvPKcS1_S1_S1_S1_PKiPfP15HIP_vector_typeIfLj2EEffffjfiS5_IjLj3EEiiiiiiiiiiiliiliiiiil.num_agpr, max(0, .L_ZL14no_device_codePKciS0_iS0_.num_agpr)
	.set _ZL15flash_attn_tileILi64ELi64ELi1ELi8ELb1EEvPKcS1_S1_S1_S1_PKiPfP15HIP_vector_typeIfLj2EEffffjfiS5_IjLj3EEiiiiiiiiiiiliiliiiiil.numbered_sgpr, max(33, .L_ZL14no_device_codePKciS0_iS0_.numbered_sgpr)
	.set _ZL15flash_attn_tileILi64ELi64ELi1ELi8ELb1EEvPKcS1_S1_S1_S1_PKiPfP15HIP_vector_typeIfLj2EEffffjfiS5_IjLj3EEiiiiiiiiiiiliiliiiiil.num_named_barrier, max(0, .L_ZL14no_device_codePKciS0_iS0_.num_named_barrier)
	.set _ZL15flash_attn_tileILi64ELi64ELi1ELi8ELb1EEvPKcS1_S1_S1_S1_PKiPfP15HIP_vector_typeIfLj2EEffffjfiS5_IjLj3EEiiiiiiiiiiiliiliiiiil.private_seg_size, 0+max(.L_ZL14no_device_codePKciS0_iS0_.private_seg_size)
	.set _ZL15flash_attn_tileILi64ELi64ELi1ELi8ELb1EEvPKcS1_S1_S1_S1_PKiPfP15HIP_vector_typeIfLj2EEffffjfiS5_IjLj3EEiiiiiiiiiiiliiliiiiil.uses_vcc, or(1, .L_ZL14no_device_codePKciS0_iS0_.uses_vcc)
	.set _ZL15flash_attn_tileILi64ELi64ELi1ELi8ELb1EEvPKcS1_S1_S1_S1_PKiPfP15HIP_vector_typeIfLj2EEffffjfiS5_IjLj3EEiiiiiiiiiiiliiliiiiil.uses_flat_scratch, or(0, .L_ZL14no_device_codePKciS0_iS0_.uses_flat_scratch)
	.set _ZL15flash_attn_tileILi64ELi64ELi1ELi8ELb1EEvPKcS1_S1_S1_S1_PKiPfP15HIP_vector_typeIfLj2EEffffjfiS5_IjLj3EEiiiiiiiiiiiliiliiiiil.has_dyn_sized_stack, or(0, .L_ZL14no_device_codePKciS0_iS0_.has_dyn_sized_stack)
	.set _ZL15flash_attn_tileILi64ELi64ELi1ELi8ELb1EEvPKcS1_S1_S1_S1_PKiPfP15HIP_vector_typeIfLj2EEffffjfiS5_IjLj3EEiiiiiiiiiiiliiliiiiil.has_recursion, or(0, .L_ZL14no_device_codePKciS0_iS0_.has_recursion)
	.set _ZL15flash_attn_tileILi64ELi64ELi1ELi8ELb1EEvPKcS1_S1_S1_S1_PKiPfP15HIP_vector_typeIfLj2EEffffjfiS5_IjLj3EEiiiiiiiiiiiliiliiiiil.has_indirect_call, or(0, .L_ZL14no_device_codePKciS0_iS0_.has_indirect_call)
	.section	.AMDGPU.csdata,"",@progbits
; Kernel info:
; codeLenInByte = 32
; TotalNumSgprs: 36
; NumVgprs: 50
; ScratchSize: 16
; MemoryBound: 0
; FloatMode: 240
; IeeeMode: 1
; LDSByteSize: 0 bytes/workgroup (compile time only)
; SGPRBlocks: 0
; VGPRBlocks: 3
; NumSGPRsForWavesPerEU: 36
; NumVGPRsForWavesPerEU: 50
; NamedBarCnt: 0
; Occupancy: 16
; WaveLimiterHint : 1
; COMPUTE_PGM_RSRC2:SCRATCH_EN: 1
; COMPUTE_PGM_RSRC2:USER_SGPR: 2
; COMPUTE_PGM_RSRC2:TRAP_HANDLER: 0
; COMPUTE_PGM_RSRC2:TGID_X_EN: 1
; COMPUTE_PGM_RSRC2:TGID_Y_EN: 0
; COMPUTE_PGM_RSRC2:TGID_Z_EN: 0
; COMPUTE_PGM_RSRC2:TIDIG_COMP_CNT: 0
	.section	.text._ZL15flash_attn_tileILi64ELi64ELi16ELi4ELb1EEvPKcS1_S1_S1_S1_PKiPfP15HIP_vector_typeIfLj2EEffffjfiS5_IjLj3EEiiiiiiiiiiiliiliiiiil,"axG",@progbits,_ZL15flash_attn_tileILi64ELi64ELi16ELi4ELb1EEvPKcS1_S1_S1_S1_PKiPfP15HIP_vector_typeIfLj2EEffffjfiS5_IjLj3EEiiiiiiiiiiiliiliiiiil,comdat
	.globl	_ZL15flash_attn_tileILi64ELi64ELi16ELi4ELb1EEvPKcS1_S1_S1_S1_PKiPfP15HIP_vector_typeIfLj2EEffffjfiS5_IjLj3EEiiiiiiiiiiiliiliiiiil ; -- Begin function _ZL15flash_attn_tileILi64ELi64ELi16ELi4ELb1EEvPKcS1_S1_S1_S1_PKiPfP15HIP_vector_typeIfLj2EEffffjfiS5_IjLj3EEiiiiiiiiiiiliiliiiiil
	.p2align	8
	.type	_ZL15flash_attn_tileILi64ELi64ELi16ELi4ELb1EEvPKcS1_S1_S1_S1_PKiPfP15HIP_vector_typeIfLj2EEffffjfiS5_IjLj3EEiiiiiiiiiiiliiliiiiil,@function
_ZL15flash_attn_tileILi64ELi64ELi16ELi4ELb1EEvPKcS1_S1_S1_S1_PKiPfP15HIP_vector_typeIfLj2EEffffjfiS5_IjLj3EEiiiiiiiiiiiliiliiiiil: ; @_ZL15flash_attn_tileILi64ELi64ELi16ELi4ELb1EEvPKcS1_S1_S1_S1_PKiPfP15HIP_vector_typeIfLj2EEffffjfiS5_IjLj3EEiiiiiiiiiiiliiliiiiil
; %bb.0:
	s_get_pc_i64 s[2:3]
	s_add_nc_u64 s[2:3], s[2:3], _ZL14no_device_codePKciS0_iS0_@rel64+4
	s_add_nc_u64 s[8:9], s[0:1], 0xd0
	s_mov_b32 s32, 0
	s_swap_pc_i64 s[30:31], s[2:3]
	.section	.rodata,"a",@progbits
	.p2align	6, 0x0
	.amdhsa_kernel _ZL15flash_attn_tileILi64ELi64ELi16ELi4ELb1EEvPKcS1_S1_S1_S1_PKiPfP15HIP_vector_typeIfLj2EEffffjfiS5_IjLj3EEiiiiiiiiiiiliiliiiiil
		.amdhsa_group_segment_fixed_size 0
		.amdhsa_private_segment_fixed_size 16
		.amdhsa_kernarg_size 464
		.amdhsa_user_sgpr_count 2
		.amdhsa_user_sgpr_dispatch_ptr 0
		.amdhsa_user_sgpr_queue_ptr 0
		.amdhsa_user_sgpr_kernarg_segment_ptr 1
		.amdhsa_user_sgpr_dispatch_id 0
		.amdhsa_user_sgpr_kernarg_preload_length 0
		.amdhsa_user_sgpr_kernarg_preload_offset 0
		.amdhsa_user_sgpr_private_segment_size 0
		.amdhsa_wavefront_size32 1
		.amdhsa_uses_dynamic_stack 0
		.amdhsa_enable_private_segment 1
		.amdhsa_system_sgpr_workgroup_id_x 1
		.amdhsa_system_sgpr_workgroup_id_y 0
		.amdhsa_system_sgpr_workgroup_id_z 0
		.amdhsa_system_sgpr_workgroup_info 0
		.amdhsa_system_vgpr_workitem_id 0
		.amdhsa_next_free_vgpr 50
		.amdhsa_next_free_sgpr 34
		.amdhsa_named_barrier_count 0
		.amdhsa_reserve_vcc 1
		.amdhsa_float_round_mode_32 0
		.amdhsa_float_round_mode_16_64 0
		.amdhsa_float_denorm_mode_32 3
		.amdhsa_float_denorm_mode_16_64 3
		.amdhsa_fp16_overflow 0
		.amdhsa_memory_ordered 1
		.amdhsa_forward_progress 1
		.amdhsa_inst_pref_size 1
		.amdhsa_round_robin_scheduling 0
		.amdhsa_exception_fp_ieee_invalid_op 0
		.amdhsa_exception_fp_denorm_src 0
		.amdhsa_exception_fp_ieee_div_zero 0
		.amdhsa_exception_fp_ieee_overflow 0
		.amdhsa_exception_fp_ieee_underflow 0
		.amdhsa_exception_fp_ieee_inexact 0
		.amdhsa_exception_int_div_zero 0
	.end_amdhsa_kernel
	.section	.text._ZL15flash_attn_tileILi64ELi64ELi16ELi4ELb1EEvPKcS1_S1_S1_S1_PKiPfP15HIP_vector_typeIfLj2EEffffjfiS5_IjLj3EEiiiiiiiiiiiliiliiiiil,"axG",@progbits,_ZL15flash_attn_tileILi64ELi64ELi16ELi4ELb1EEvPKcS1_S1_S1_S1_PKiPfP15HIP_vector_typeIfLj2EEffffjfiS5_IjLj3EEiiiiiiiiiiiliiliiiiil,comdat
.Lfunc_end78:
	.size	_ZL15flash_attn_tileILi64ELi64ELi16ELi4ELb1EEvPKcS1_S1_S1_S1_PKiPfP15HIP_vector_typeIfLj2EEffffjfiS5_IjLj3EEiiiiiiiiiiiliiliiiiil, .Lfunc_end78-_ZL15flash_attn_tileILi64ELi64ELi16ELi4ELb1EEvPKcS1_S1_S1_S1_PKiPfP15HIP_vector_typeIfLj2EEffffjfiS5_IjLj3EEiiiiiiiiiiiliiliiiiil
                                        ; -- End function
	.set _ZL15flash_attn_tileILi64ELi64ELi16ELi4ELb1EEvPKcS1_S1_S1_S1_PKiPfP15HIP_vector_typeIfLj2EEffffjfiS5_IjLj3EEiiiiiiiiiiiliiliiiiil.num_vgpr, max(0, .L_ZL14no_device_codePKciS0_iS0_.num_vgpr)
	.set _ZL15flash_attn_tileILi64ELi64ELi16ELi4ELb1EEvPKcS1_S1_S1_S1_PKiPfP15HIP_vector_typeIfLj2EEffffjfiS5_IjLj3EEiiiiiiiiiiiliiliiiiil.num_agpr, max(0, .L_ZL14no_device_codePKciS0_iS0_.num_agpr)
	.set _ZL15flash_attn_tileILi64ELi64ELi16ELi4ELb1EEvPKcS1_S1_S1_S1_PKiPfP15HIP_vector_typeIfLj2EEffffjfiS5_IjLj3EEiiiiiiiiiiiliiliiiiil.numbered_sgpr, max(33, .L_ZL14no_device_codePKciS0_iS0_.numbered_sgpr)
	.set _ZL15flash_attn_tileILi64ELi64ELi16ELi4ELb1EEvPKcS1_S1_S1_S1_PKiPfP15HIP_vector_typeIfLj2EEffffjfiS5_IjLj3EEiiiiiiiiiiiliiliiiiil.num_named_barrier, max(0, .L_ZL14no_device_codePKciS0_iS0_.num_named_barrier)
	.set _ZL15flash_attn_tileILi64ELi64ELi16ELi4ELb1EEvPKcS1_S1_S1_S1_PKiPfP15HIP_vector_typeIfLj2EEffffjfiS5_IjLj3EEiiiiiiiiiiiliiliiiiil.private_seg_size, 0+max(.L_ZL14no_device_codePKciS0_iS0_.private_seg_size)
	.set _ZL15flash_attn_tileILi64ELi64ELi16ELi4ELb1EEvPKcS1_S1_S1_S1_PKiPfP15HIP_vector_typeIfLj2EEffffjfiS5_IjLj3EEiiiiiiiiiiiliiliiiiil.uses_vcc, or(1, .L_ZL14no_device_codePKciS0_iS0_.uses_vcc)
	.set _ZL15flash_attn_tileILi64ELi64ELi16ELi4ELb1EEvPKcS1_S1_S1_S1_PKiPfP15HIP_vector_typeIfLj2EEffffjfiS5_IjLj3EEiiiiiiiiiiiliiliiiiil.uses_flat_scratch, or(0, .L_ZL14no_device_codePKciS0_iS0_.uses_flat_scratch)
	.set _ZL15flash_attn_tileILi64ELi64ELi16ELi4ELb1EEvPKcS1_S1_S1_S1_PKiPfP15HIP_vector_typeIfLj2EEffffjfiS5_IjLj3EEiiiiiiiiiiiliiliiiiil.has_dyn_sized_stack, or(0, .L_ZL14no_device_codePKciS0_iS0_.has_dyn_sized_stack)
	.set _ZL15flash_attn_tileILi64ELi64ELi16ELi4ELb1EEvPKcS1_S1_S1_S1_PKiPfP15HIP_vector_typeIfLj2EEffffjfiS5_IjLj3EEiiiiiiiiiiiliiliiiiil.has_recursion, or(0, .L_ZL14no_device_codePKciS0_iS0_.has_recursion)
	.set _ZL15flash_attn_tileILi64ELi64ELi16ELi4ELb1EEvPKcS1_S1_S1_S1_PKiPfP15HIP_vector_typeIfLj2EEffffjfiS5_IjLj3EEiiiiiiiiiiiliiliiiiil.has_indirect_call, or(0, .L_ZL14no_device_codePKciS0_iS0_.has_indirect_call)
	.section	.AMDGPU.csdata,"",@progbits
; Kernel info:
; codeLenInByte = 32
; TotalNumSgprs: 36
; NumVgprs: 50
; ScratchSize: 16
; MemoryBound: 0
; FloatMode: 240
; IeeeMode: 1
; LDSByteSize: 0 bytes/workgroup (compile time only)
; SGPRBlocks: 0
; VGPRBlocks: 3
; NumSGPRsForWavesPerEU: 36
; NumVGPRsForWavesPerEU: 50
; NamedBarCnt: 0
; Occupancy: 16
; WaveLimiterHint : 1
; COMPUTE_PGM_RSRC2:SCRATCH_EN: 1
; COMPUTE_PGM_RSRC2:USER_SGPR: 2
; COMPUTE_PGM_RSRC2:TRAP_HANDLER: 0
; COMPUTE_PGM_RSRC2:TGID_X_EN: 1
; COMPUTE_PGM_RSRC2:TGID_Y_EN: 0
; COMPUTE_PGM_RSRC2:TGID_Z_EN: 0
; COMPUTE_PGM_RSRC2:TIDIG_COMP_CNT: 0
	.section	.text._ZL15flash_attn_tileILi64ELi64ELi8ELi4ELb1EEvPKcS1_S1_S1_S1_PKiPfP15HIP_vector_typeIfLj2EEffffjfiS5_IjLj3EEiiiiiiiiiiiliiliiiiil,"axG",@progbits,_ZL15flash_attn_tileILi64ELi64ELi8ELi4ELb1EEvPKcS1_S1_S1_S1_PKiPfP15HIP_vector_typeIfLj2EEffffjfiS5_IjLj3EEiiiiiiiiiiiliiliiiiil,comdat
	.globl	_ZL15flash_attn_tileILi64ELi64ELi8ELi4ELb1EEvPKcS1_S1_S1_S1_PKiPfP15HIP_vector_typeIfLj2EEffffjfiS5_IjLj3EEiiiiiiiiiiiliiliiiiil ; -- Begin function _ZL15flash_attn_tileILi64ELi64ELi8ELi4ELb1EEvPKcS1_S1_S1_S1_PKiPfP15HIP_vector_typeIfLj2EEffffjfiS5_IjLj3EEiiiiiiiiiiiliiliiiiil
	.p2align	8
	.type	_ZL15flash_attn_tileILi64ELi64ELi8ELi4ELb1EEvPKcS1_S1_S1_S1_PKiPfP15HIP_vector_typeIfLj2EEffffjfiS5_IjLj3EEiiiiiiiiiiiliiliiiiil,@function
_ZL15flash_attn_tileILi64ELi64ELi8ELi4ELb1EEvPKcS1_S1_S1_S1_PKiPfP15HIP_vector_typeIfLj2EEffffjfiS5_IjLj3EEiiiiiiiiiiiliiliiiiil: ; @_ZL15flash_attn_tileILi64ELi64ELi8ELi4ELb1EEvPKcS1_S1_S1_S1_PKiPfP15HIP_vector_typeIfLj2EEffffjfiS5_IjLj3EEiiiiiiiiiiiliiliiiiil
; %bb.0:
	s_get_pc_i64 s[2:3]
	s_add_nc_u64 s[2:3], s[2:3], _ZL14no_device_codePKciS0_iS0_@rel64+4
	s_add_nc_u64 s[8:9], s[0:1], 0xd0
	s_mov_b32 s32, 0
	s_swap_pc_i64 s[30:31], s[2:3]
	.section	.rodata,"a",@progbits
	.p2align	6, 0x0
	.amdhsa_kernel _ZL15flash_attn_tileILi64ELi64ELi8ELi4ELb1EEvPKcS1_S1_S1_S1_PKiPfP15HIP_vector_typeIfLj2EEffffjfiS5_IjLj3EEiiiiiiiiiiiliiliiiiil
		.amdhsa_group_segment_fixed_size 0
		.amdhsa_private_segment_fixed_size 16
		.amdhsa_kernarg_size 464
		.amdhsa_user_sgpr_count 2
		.amdhsa_user_sgpr_dispatch_ptr 0
		.amdhsa_user_sgpr_queue_ptr 0
		.amdhsa_user_sgpr_kernarg_segment_ptr 1
		.amdhsa_user_sgpr_dispatch_id 0
		.amdhsa_user_sgpr_kernarg_preload_length 0
		.amdhsa_user_sgpr_kernarg_preload_offset 0
		.amdhsa_user_sgpr_private_segment_size 0
		.amdhsa_wavefront_size32 1
		.amdhsa_uses_dynamic_stack 0
		.amdhsa_enable_private_segment 1
		.amdhsa_system_sgpr_workgroup_id_x 1
		.amdhsa_system_sgpr_workgroup_id_y 0
		.amdhsa_system_sgpr_workgroup_id_z 0
		.amdhsa_system_sgpr_workgroup_info 0
		.amdhsa_system_vgpr_workitem_id 0
		.amdhsa_next_free_vgpr 50
		.amdhsa_next_free_sgpr 34
		.amdhsa_named_barrier_count 0
		.amdhsa_reserve_vcc 1
		.amdhsa_float_round_mode_32 0
		.amdhsa_float_round_mode_16_64 0
		.amdhsa_float_denorm_mode_32 3
		.amdhsa_float_denorm_mode_16_64 3
		.amdhsa_fp16_overflow 0
		.amdhsa_memory_ordered 1
		.amdhsa_forward_progress 1
		.amdhsa_inst_pref_size 1
		.amdhsa_round_robin_scheduling 0
		.amdhsa_exception_fp_ieee_invalid_op 0
		.amdhsa_exception_fp_denorm_src 0
		.amdhsa_exception_fp_ieee_div_zero 0
		.amdhsa_exception_fp_ieee_overflow 0
		.amdhsa_exception_fp_ieee_underflow 0
		.amdhsa_exception_fp_ieee_inexact 0
		.amdhsa_exception_int_div_zero 0
	.end_amdhsa_kernel
	.section	.text._ZL15flash_attn_tileILi64ELi64ELi8ELi4ELb1EEvPKcS1_S1_S1_S1_PKiPfP15HIP_vector_typeIfLj2EEffffjfiS5_IjLj3EEiiiiiiiiiiiliiliiiiil,"axG",@progbits,_ZL15flash_attn_tileILi64ELi64ELi8ELi4ELb1EEvPKcS1_S1_S1_S1_PKiPfP15HIP_vector_typeIfLj2EEffffjfiS5_IjLj3EEiiiiiiiiiiiliiliiiiil,comdat
.Lfunc_end79:
	.size	_ZL15flash_attn_tileILi64ELi64ELi8ELi4ELb1EEvPKcS1_S1_S1_S1_PKiPfP15HIP_vector_typeIfLj2EEffffjfiS5_IjLj3EEiiiiiiiiiiiliiliiiiil, .Lfunc_end79-_ZL15flash_attn_tileILi64ELi64ELi8ELi4ELb1EEvPKcS1_S1_S1_S1_PKiPfP15HIP_vector_typeIfLj2EEffffjfiS5_IjLj3EEiiiiiiiiiiiliiliiiiil
                                        ; -- End function
	.set _ZL15flash_attn_tileILi64ELi64ELi8ELi4ELb1EEvPKcS1_S1_S1_S1_PKiPfP15HIP_vector_typeIfLj2EEffffjfiS5_IjLj3EEiiiiiiiiiiiliiliiiiil.num_vgpr, max(0, .L_ZL14no_device_codePKciS0_iS0_.num_vgpr)
	.set _ZL15flash_attn_tileILi64ELi64ELi8ELi4ELb1EEvPKcS1_S1_S1_S1_PKiPfP15HIP_vector_typeIfLj2EEffffjfiS5_IjLj3EEiiiiiiiiiiiliiliiiiil.num_agpr, max(0, .L_ZL14no_device_codePKciS0_iS0_.num_agpr)
	.set _ZL15flash_attn_tileILi64ELi64ELi8ELi4ELb1EEvPKcS1_S1_S1_S1_PKiPfP15HIP_vector_typeIfLj2EEffffjfiS5_IjLj3EEiiiiiiiiiiiliiliiiiil.numbered_sgpr, max(33, .L_ZL14no_device_codePKciS0_iS0_.numbered_sgpr)
	.set _ZL15flash_attn_tileILi64ELi64ELi8ELi4ELb1EEvPKcS1_S1_S1_S1_PKiPfP15HIP_vector_typeIfLj2EEffffjfiS5_IjLj3EEiiiiiiiiiiiliiliiiiil.num_named_barrier, max(0, .L_ZL14no_device_codePKciS0_iS0_.num_named_barrier)
	.set _ZL15flash_attn_tileILi64ELi64ELi8ELi4ELb1EEvPKcS1_S1_S1_S1_PKiPfP15HIP_vector_typeIfLj2EEffffjfiS5_IjLj3EEiiiiiiiiiiiliiliiiiil.private_seg_size, 0+max(.L_ZL14no_device_codePKciS0_iS0_.private_seg_size)
	.set _ZL15flash_attn_tileILi64ELi64ELi8ELi4ELb1EEvPKcS1_S1_S1_S1_PKiPfP15HIP_vector_typeIfLj2EEffffjfiS5_IjLj3EEiiiiiiiiiiiliiliiiiil.uses_vcc, or(1, .L_ZL14no_device_codePKciS0_iS0_.uses_vcc)
	.set _ZL15flash_attn_tileILi64ELi64ELi8ELi4ELb1EEvPKcS1_S1_S1_S1_PKiPfP15HIP_vector_typeIfLj2EEffffjfiS5_IjLj3EEiiiiiiiiiiiliiliiiiil.uses_flat_scratch, or(0, .L_ZL14no_device_codePKciS0_iS0_.uses_flat_scratch)
	.set _ZL15flash_attn_tileILi64ELi64ELi8ELi4ELb1EEvPKcS1_S1_S1_S1_PKiPfP15HIP_vector_typeIfLj2EEffffjfiS5_IjLj3EEiiiiiiiiiiiliiliiiiil.has_dyn_sized_stack, or(0, .L_ZL14no_device_codePKciS0_iS0_.has_dyn_sized_stack)
	.set _ZL15flash_attn_tileILi64ELi64ELi8ELi4ELb1EEvPKcS1_S1_S1_S1_PKiPfP15HIP_vector_typeIfLj2EEffffjfiS5_IjLj3EEiiiiiiiiiiiliiliiiiil.has_recursion, or(0, .L_ZL14no_device_codePKciS0_iS0_.has_recursion)
	.set _ZL15flash_attn_tileILi64ELi64ELi8ELi4ELb1EEvPKcS1_S1_S1_S1_PKiPfP15HIP_vector_typeIfLj2EEffffjfiS5_IjLj3EEiiiiiiiiiiiliiliiiiil.has_indirect_call, or(0, .L_ZL14no_device_codePKciS0_iS0_.has_indirect_call)
	.section	.AMDGPU.csdata,"",@progbits
; Kernel info:
; codeLenInByte = 32
; TotalNumSgprs: 36
; NumVgprs: 50
; ScratchSize: 16
; MemoryBound: 0
; FloatMode: 240
; IeeeMode: 1
; LDSByteSize: 0 bytes/workgroup (compile time only)
; SGPRBlocks: 0
; VGPRBlocks: 3
; NumSGPRsForWavesPerEU: 36
; NumVGPRsForWavesPerEU: 50
; NamedBarCnt: 0
; Occupancy: 16
; WaveLimiterHint : 1
; COMPUTE_PGM_RSRC2:SCRATCH_EN: 1
; COMPUTE_PGM_RSRC2:USER_SGPR: 2
; COMPUTE_PGM_RSRC2:TRAP_HANDLER: 0
; COMPUTE_PGM_RSRC2:TGID_X_EN: 1
; COMPUTE_PGM_RSRC2:TGID_Y_EN: 0
; COMPUTE_PGM_RSRC2:TGID_Z_EN: 0
; COMPUTE_PGM_RSRC2:TIDIG_COMP_CNT: 0
	.section	.text._ZL15flash_attn_tileILi64ELi64ELi4ELi4ELb1EEvPKcS1_S1_S1_S1_PKiPfP15HIP_vector_typeIfLj2EEffffjfiS5_IjLj3EEiiiiiiiiiiiliiliiiiil,"axG",@progbits,_ZL15flash_attn_tileILi64ELi64ELi4ELi4ELb1EEvPKcS1_S1_S1_S1_PKiPfP15HIP_vector_typeIfLj2EEffffjfiS5_IjLj3EEiiiiiiiiiiiliiliiiiil,comdat
	.globl	_ZL15flash_attn_tileILi64ELi64ELi4ELi4ELb1EEvPKcS1_S1_S1_S1_PKiPfP15HIP_vector_typeIfLj2EEffffjfiS5_IjLj3EEiiiiiiiiiiiliiliiiiil ; -- Begin function _ZL15flash_attn_tileILi64ELi64ELi4ELi4ELb1EEvPKcS1_S1_S1_S1_PKiPfP15HIP_vector_typeIfLj2EEffffjfiS5_IjLj3EEiiiiiiiiiiiliiliiiiil
	.p2align	8
	.type	_ZL15flash_attn_tileILi64ELi64ELi4ELi4ELb1EEvPKcS1_S1_S1_S1_PKiPfP15HIP_vector_typeIfLj2EEffffjfiS5_IjLj3EEiiiiiiiiiiiliiliiiiil,@function
_ZL15flash_attn_tileILi64ELi64ELi4ELi4ELb1EEvPKcS1_S1_S1_S1_PKiPfP15HIP_vector_typeIfLj2EEffffjfiS5_IjLj3EEiiiiiiiiiiiliiliiiiil: ; @_ZL15flash_attn_tileILi64ELi64ELi4ELi4ELb1EEvPKcS1_S1_S1_S1_PKiPfP15HIP_vector_typeIfLj2EEffffjfiS5_IjLj3EEiiiiiiiiiiiliiliiiiil
; %bb.0:
	s_get_pc_i64 s[2:3]
	s_add_nc_u64 s[2:3], s[2:3], _ZL14no_device_codePKciS0_iS0_@rel64+4
	s_add_nc_u64 s[8:9], s[0:1], 0xd0
	s_mov_b32 s32, 0
	s_swap_pc_i64 s[30:31], s[2:3]
	.section	.rodata,"a",@progbits
	.p2align	6, 0x0
	.amdhsa_kernel _ZL15flash_attn_tileILi64ELi64ELi4ELi4ELb1EEvPKcS1_S1_S1_S1_PKiPfP15HIP_vector_typeIfLj2EEffffjfiS5_IjLj3EEiiiiiiiiiiiliiliiiiil
		.amdhsa_group_segment_fixed_size 0
		.amdhsa_private_segment_fixed_size 16
		.amdhsa_kernarg_size 464
		.amdhsa_user_sgpr_count 2
		.amdhsa_user_sgpr_dispatch_ptr 0
		.amdhsa_user_sgpr_queue_ptr 0
		.amdhsa_user_sgpr_kernarg_segment_ptr 1
		.amdhsa_user_sgpr_dispatch_id 0
		.amdhsa_user_sgpr_kernarg_preload_length 0
		.amdhsa_user_sgpr_kernarg_preload_offset 0
		.amdhsa_user_sgpr_private_segment_size 0
		.amdhsa_wavefront_size32 1
		.amdhsa_uses_dynamic_stack 0
		.amdhsa_enable_private_segment 1
		.amdhsa_system_sgpr_workgroup_id_x 1
		.amdhsa_system_sgpr_workgroup_id_y 0
		.amdhsa_system_sgpr_workgroup_id_z 0
		.amdhsa_system_sgpr_workgroup_info 0
		.amdhsa_system_vgpr_workitem_id 0
		.amdhsa_next_free_vgpr 50
		.amdhsa_next_free_sgpr 34
		.amdhsa_named_barrier_count 0
		.amdhsa_reserve_vcc 1
		.amdhsa_float_round_mode_32 0
		.amdhsa_float_round_mode_16_64 0
		.amdhsa_float_denorm_mode_32 3
		.amdhsa_float_denorm_mode_16_64 3
		.amdhsa_fp16_overflow 0
		.amdhsa_memory_ordered 1
		.amdhsa_forward_progress 1
		.amdhsa_inst_pref_size 1
		.amdhsa_round_robin_scheduling 0
		.amdhsa_exception_fp_ieee_invalid_op 0
		.amdhsa_exception_fp_denorm_src 0
		.amdhsa_exception_fp_ieee_div_zero 0
		.amdhsa_exception_fp_ieee_overflow 0
		.amdhsa_exception_fp_ieee_underflow 0
		.amdhsa_exception_fp_ieee_inexact 0
		.amdhsa_exception_int_div_zero 0
	.end_amdhsa_kernel
	.section	.text._ZL15flash_attn_tileILi64ELi64ELi4ELi4ELb1EEvPKcS1_S1_S1_S1_PKiPfP15HIP_vector_typeIfLj2EEffffjfiS5_IjLj3EEiiiiiiiiiiiliiliiiiil,"axG",@progbits,_ZL15flash_attn_tileILi64ELi64ELi4ELi4ELb1EEvPKcS1_S1_S1_S1_PKiPfP15HIP_vector_typeIfLj2EEffffjfiS5_IjLj3EEiiiiiiiiiiiliiliiiiil,comdat
.Lfunc_end80:
	.size	_ZL15flash_attn_tileILi64ELi64ELi4ELi4ELb1EEvPKcS1_S1_S1_S1_PKiPfP15HIP_vector_typeIfLj2EEffffjfiS5_IjLj3EEiiiiiiiiiiiliiliiiiil, .Lfunc_end80-_ZL15flash_attn_tileILi64ELi64ELi4ELi4ELb1EEvPKcS1_S1_S1_S1_PKiPfP15HIP_vector_typeIfLj2EEffffjfiS5_IjLj3EEiiiiiiiiiiiliiliiiiil
                                        ; -- End function
	.set _ZL15flash_attn_tileILi64ELi64ELi4ELi4ELb1EEvPKcS1_S1_S1_S1_PKiPfP15HIP_vector_typeIfLj2EEffffjfiS5_IjLj3EEiiiiiiiiiiiliiliiiiil.num_vgpr, max(0, .L_ZL14no_device_codePKciS0_iS0_.num_vgpr)
	.set _ZL15flash_attn_tileILi64ELi64ELi4ELi4ELb1EEvPKcS1_S1_S1_S1_PKiPfP15HIP_vector_typeIfLj2EEffffjfiS5_IjLj3EEiiiiiiiiiiiliiliiiiil.num_agpr, max(0, .L_ZL14no_device_codePKciS0_iS0_.num_agpr)
	.set _ZL15flash_attn_tileILi64ELi64ELi4ELi4ELb1EEvPKcS1_S1_S1_S1_PKiPfP15HIP_vector_typeIfLj2EEffffjfiS5_IjLj3EEiiiiiiiiiiiliiliiiiil.numbered_sgpr, max(33, .L_ZL14no_device_codePKciS0_iS0_.numbered_sgpr)
	.set _ZL15flash_attn_tileILi64ELi64ELi4ELi4ELb1EEvPKcS1_S1_S1_S1_PKiPfP15HIP_vector_typeIfLj2EEffffjfiS5_IjLj3EEiiiiiiiiiiiliiliiiiil.num_named_barrier, max(0, .L_ZL14no_device_codePKciS0_iS0_.num_named_barrier)
	.set _ZL15flash_attn_tileILi64ELi64ELi4ELi4ELb1EEvPKcS1_S1_S1_S1_PKiPfP15HIP_vector_typeIfLj2EEffffjfiS5_IjLj3EEiiiiiiiiiiiliiliiiiil.private_seg_size, 0+max(.L_ZL14no_device_codePKciS0_iS0_.private_seg_size)
	.set _ZL15flash_attn_tileILi64ELi64ELi4ELi4ELb1EEvPKcS1_S1_S1_S1_PKiPfP15HIP_vector_typeIfLj2EEffffjfiS5_IjLj3EEiiiiiiiiiiiliiliiiiil.uses_vcc, or(1, .L_ZL14no_device_codePKciS0_iS0_.uses_vcc)
	.set _ZL15flash_attn_tileILi64ELi64ELi4ELi4ELb1EEvPKcS1_S1_S1_S1_PKiPfP15HIP_vector_typeIfLj2EEffffjfiS5_IjLj3EEiiiiiiiiiiiliiliiiiil.uses_flat_scratch, or(0, .L_ZL14no_device_codePKciS0_iS0_.uses_flat_scratch)
	.set _ZL15flash_attn_tileILi64ELi64ELi4ELi4ELb1EEvPKcS1_S1_S1_S1_PKiPfP15HIP_vector_typeIfLj2EEffffjfiS5_IjLj3EEiiiiiiiiiiiliiliiiiil.has_dyn_sized_stack, or(0, .L_ZL14no_device_codePKciS0_iS0_.has_dyn_sized_stack)
	.set _ZL15flash_attn_tileILi64ELi64ELi4ELi4ELb1EEvPKcS1_S1_S1_S1_PKiPfP15HIP_vector_typeIfLj2EEffffjfiS5_IjLj3EEiiiiiiiiiiiliiliiiiil.has_recursion, or(0, .L_ZL14no_device_codePKciS0_iS0_.has_recursion)
	.set _ZL15flash_attn_tileILi64ELi64ELi4ELi4ELb1EEvPKcS1_S1_S1_S1_PKiPfP15HIP_vector_typeIfLj2EEffffjfiS5_IjLj3EEiiiiiiiiiiiliiliiiiil.has_indirect_call, or(0, .L_ZL14no_device_codePKciS0_iS0_.has_indirect_call)
	.section	.AMDGPU.csdata,"",@progbits
; Kernel info:
; codeLenInByte = 32
; TotalNumSgprs: 36
; NumVgprs: 50
; ScratchSize: 16
; MemoryBound: 0
; FloatMode: 240
; IeeeMode: 1
; LDSByteSize: 0 bytes/workgroup (compile time only)
; SGPRBlocks: 0
; VGPRBlocks: 3
; NumSGPRsForWavesPerEU: 36
; NumVGPRsForWavesPerEU: 50
; NamedBarCnt: 0
; Occupancy: 16
; WaveLimiterHint : 1
; COMPUTE_PGM_RSRC2:SCRATCH_EN: 1
; COMPUTE_PGM_RSRC2:USER_SGPR: 2
; COMPUTE_PGM_RSRC2:TRAP_HANDLER: 0
; COMPUTE_PGM_RSRC2:TGID_X_EN: 1
; COMPUTE_PGM_RSRC2:TGID_Y_EN: 0
; COMPUTE_PGM_RSRC2:TGID_Z_EN: 0
; COMPUTE_PGM_RSRC2:TIDIG_COMP_CNT: 0
	.section	.text._ZL15flash_attn_tileILi64ELi64ELi2ELi4ELb1EEvPKcS1_S1_S1_S1_PKiPfP15HIP_vector_typeIfLj2EEffffjfiS5_IjLj3EEiiiiiiiiiiiliiliiiiil,"axG",@progbits,_ZL15flash_attn_tileILi64ELi64ELi2ELi4ELb1EEvPKcS1_S1_S1_S1_PKiPfP15HIP_vector_typeIfLj2EEffffjfiS5_IjLj3EEiiiiiiiiiiiliiliiiiil,comdat
	.globl	_ZL15flash_attn_tileILi64ELi64ELi2ELi4ELb1EEvPKcS1_S1_S1_S1_PKiPfP15HIP_vector_typeIfLj2EEffffjfiS5_IjLj3EEiiiiiiiiiiiliiliiiiil ; -- Begin function _ZL15flash_attn_tileILi64ELi64ELi2ELi4ELb1EEvPKcS1_S1_S1_S1_PKiPfP15HIP_vector_typeIfLj2EEffffjfiS5_IjLj3EEiiiiiiiiiiiliiliiiiil
	.p2align	8
	.type	_ZL15flash_attn_tileILi64ELi64ELi2ELi4ELb1EEvPKcS1_S1_S1_S1_PKiPfP15HIP_vector_typeIfLj2EEffffjfiS5_IjLj3EEiiiiiiiiiiiliiliiiiil,@function
_ZL15flash_attn_tileILi64ELi64ELi2ELi4ELb1EEvPKcS1_S1_S1_S1_PKiPfP15HIP_vector_typeIfLj2EEffffjfiS5_IjLj3EEiiiiiiiiiiiliiliiiiil: ; @_ZL15flash_attn_tileILi64ELi64ELi2ELi4ELb1EEvPKcS1_S1_S1_S1_PKiPfP15HIP_vector_typeIfLj2EEffffjfiS5_IjLj3EEiiiiiiiiiiiliiliiiiil
; %bb.0:
	s_get_pc_i64 s[2:3]
	s_add_nc_u64 s[2:3], s[2:3], _ZL14no_device_codePKciS0_iS0_@rel64+4
	s_add_nc_u64 s[8:9], s[0:1], 0xd0
	s_mov_b32 s32, 0
	s_swap_pc_i64 s[30:31], s[2:3]
	.section	.rodata,"a",@progbits
	.p2align	6, 0x0
	.amdhsa_kernel _ZL15flash_attn_tileILi64ELi64ELi2ELi4ELb1EEvPKcS1_S1_S1_S1_PKiPfP15HIP_vector_typeIfLj2EEffffjfiS5_IjLj3EEiiiiiiiiiiiliiliiiiil
		.amdhsa_group_segment_fixed_size 0
		.amdhsa_private_segment_fixed_size 16
		.amdhsa_kernarg_size 464
		.amdhsa_user_sgpr_count 2
		.amdhsa_user_sgpr_dispatch_ptr 0
		.amdhsa_user_sgpr_queue_ptr 0
		.amdhsa_user_sgpr_kernarg_segment_ptr 1
		.amdhsa_user_sgpr_dispatch_id 0
		.amdhsa_user_sgpr_kernarg_preload_length 0
		.amdhsa_user_sgpr_kernarg_preload_offset 0
		.amdhsa_user_sgpr_private_segment_size 0
		.amdhsa_wavefront_size32 1
		.amdhsa_uses_dynamic_stack 0
		.amdhsa_enable_private_segment 1
		.amdhsa_system_sgpr_workgroup_id_x 1
		.amdhsa_system_sgpr_workgroup_id_y 0
		.amdhsa_system_sgpr_workgroup_id_z 0
		.amdhsa_system_sgpr_workgroup_info 0
		.amdhsa_system_vgpr_workitem_id 0
		.amdhsa_next_free_vgpr 50
		.amdhsa_next_free_sgpr 34
		.amdhsa_named_barrier_count 0
		.amdhsa_reserve_vcc 1
		.amdhsa_float_round_mode_32 0
		.amdhsa_float_round_mode_16_64 0
		.amdhsa_float_denorm_mode_32 3
		.amdhsa_float_denorm_mode_16_64 3
		.amdhsa_fp16_overflow 0
		.amdhsa_memory_ordered 1
		.amdhsa_forward_progress 1
		.amdhsa_inst_pref_size 1
		.amdhsa_round_robin_scheduling 0
		.amdhsa_exception_fp_ieee_invalid_op 0
		.amdhsa_exception_fp_denorm_src 0
		.amdhsa_exception_fp_ieee_div_zero 0
		.amdhsa_exception_fp_ieee_overflow 0
		.amdhsa_exception_fp_ieee_underflow 0
		.amdhsa_exception_fp_ieee_inexact 0
		.amdhsa_exception_int_div_zero 0
	.end_amdhsa_kernel
	.section	.text._ZL15flash_attn_tileILi64ELi64ELi2ELi4ELb1EEvPKcS1_S1_S1_S1_PKiPfP15HIP_vector_typeIfLj2EEffffjfiS5_IjLj3EEiiiiiiiiiiiliiliiiiil,"axG",@progbits,_ZL15flash_attn_tileILi64ELi64ELi2ELi4ELb1EEvPKcS1_S1_S1_S1_PKiPfP15HIP_vector_typeIfLj2EEffffjfiS5_IjLj3EEiiiiiiiiiiiliiliiiiil,comdat
.Lfunc_end81:
	.size	_ZL15flash_attn_tileILi64ELi64ELi2ELi4ELb1EEvPKcS1_S1_S1_S1_PKiPfP15HIP_vector_typeIfLj2EEffffjfiS5_IjLj3EEiiiiiiiiiiiliiliiiiil, .Lfunc_end81-_ZL15flash_attn_tileILi64ELi64ELi2ELi4ELb1EEvPKcS1_S1_S1_S1_PKiPfP15HIP_vector_typeIfLj2EEffffjfiS5_IjLj3EEiiiiiiiiiiiliiliiiiil
                                        ; -- End function
	.set _ZL15flash_attn_tileILi64ELi64ELi2ELi4ELb1EEvPKcS1_S1_S1_S1_PKiPfP15HIP_vector_typeIfLj2EEffffjfiS5_IjLj3EEiiiiiiiiiiiliiliiiiil.num_vgpr, max(0, .L_ZL14no_device_codePKciS0_iS0_.num_vgpr)
	.set _ZL15flash_attn_tileILi64ELi64ELi2ELi4ELb1EEvPKcS1_S1_S1_S1_PKiPfP15HIP_vector_typeIfLj2EEffffjfiS5_IjLj3EEiiiiiiiiiiiliiliiiiil.num_agpr, max(0, .L_ZL14no_device_codePKciS0_iS0_.num_agpr)
	.set _ZL15flash_attn_tileILi64ELi64ELi2ELi4ELb1EEvPKcS1_S1_S1_S1_PKiPfP15HIP_vector_typeIfLj2EEffffjfiS5_IjLj3EEiiiiiiiiiiiliiliiiiil.numbered_sgpr, max(33, .L_ZL14no_device_codePKciS0_iS0_.numbered_sgpr)
	.set _ZL15flash_attn_tileILi64ELi64ELi2ELi4ELb1EEvPKcS1_S1_S1_S1_PKiPfP15HIP_vector_typeIfLj2EEffffjfiS5_IjLj3EEiiiiiiiiiiiliiliiiiil.num_named_barrier, max(0, .L_ZL14no_device_codePKciS0_iS0_.num_named_barrier)
	.set _ZL15flash_attn_tileILi64ELi64ELi2ELi4ELb1EEvPKcS1_S1_S1_S1_PKiPfP15HIP_vector_typeIfLj2EEffffjfiS5_IjLj3EEiiiiiiiiiiiliiliiiiil.private_seg_size, 0+max(.L_ZL14no_device_codePKciS0_iS0_.private_seg_size)
	.set _ZL15flash_attn_tileILi64ELi64ELi2ELi4ELb1EEvPKcS1_S1_S1_S1_PKiPfP15HIP_vector_typeIfLj2EEffffjfiS5_IjLj3EEiiiiiiiiiiiliiliiiiil.uses_vcc, or(1, .L_ZL14no_device_codePKciS0_iS0_.uses_vcc)
	.set _ZL15flash_attn_tileILi64ELi64ELi2ELi4ELb1EEvPKcS1_S1_S1_S1_PKiPfP15HIP_vector_typeIfLj2EEffffjfiS5_IjLj3EEiiiiiiiiiiiliiliiiiil.uses_flat_scratch, or(0, .L_ZL14no_device_codePKciS0_iS0_.uses_flat_scratch)
	.set _ZL15flash_attn_tileILi64ELi64ELi2ELi4ELb1EEvPKcS1_S1_S1_S1_PKiPfP15HIP_vector_typeIfLj2EEffffjfiS5_IjLj3EEiiiiiiiiiiiliiliiiiil.has_dyn_sized_stack, or(0, .L_ZL14no_device_codePKciS0_iS0_.has_dyn_sized_stack)
	.set _ZL15flash_attn_tileILi64ELi64ELi2ELi4ELb1EEvPKcS1_S1_S1_S1_PKiPfP15HIP_vector_typeIfLj2EEffffjfiS5_IjLj3EEiiiiiiiiiiiliiliiiiil.has_recursion, or(0, .L_ZL14no_device_codePKciS0_iS0_.has_recursion)
	.set _ZL15flash_attn_tileILi64ELi64ELi2ELi4ELb1EEvPKcS1_S1_S1_S1_PKiPfP15HIP_vector_typeIfLj2EEffffjfiS5_IjLj3EEiiiiiiiiiiiliiliiiiil.has_indirect_call, or(0, .L_ZL14no_device_codePKciS0_iS0_.has_indirect_call)
	.section	.AMDGPU.csdata,"",@progbits
; Kernel info:
; codeLenInByte = 32
; TotalNumSgprs: 36
; NumVgprs: 50
; ScratchSize: 16
; MemoryBound: 0
; FloatMode: 240
; IeeeMode: 1
; LDSByteSize: 0 bytes/workgroup (compile time only)
; SGPRBlocks: 0
; VGPRBlocks: 3
; NumSGPRsForWavesPerEU: 36
; NumVGPRsForWavesPerEU: 50
; NamedBarCnt: 0
; Occupancy: 16
; WaveLimiterHint : 1
; COMPUTE_PGM_RSRC2:SCRATCH_EN: 1
; COMPUTE_PGM_RSRC2:USER_SGPR: 2
; COMPUTE_PGM_RSRC2:TRAP_HANDLER: 0
; COMPUTE_PGM_RSRC2:TGID_X_EN: 1
; COMPUTE_PGM_RSRC2:TGID_Y_EN: 0
; COMPUTE_PGM_RSRC2:TGID_Z_EN: 0
; COMPUTE_PGM_RSRC2:TIDIG_COMP_CNT: 0
	.section	.text._ZL15flash_attn_tileILi64ELi64ELi1ELi4ELb1EEvPKcS1_S1_S1_S1_PKiPfP15HIP_vector_typeIfLj2EEffffjfiS5_IjLj3EEiiiiiiiiiiiliiliiiiil,"axG",@progbits,_ZL15flash_attn_tileILi64ELi64ELi1ELi4ELb1EEvPKcS1_S1_S1_S1_PKiPfP15HIP_vector_typeIfLj2EEffffjfiS5_IjLj3EEiiiiiiiiiiiliiliiiiil,comdat
	.globl	_ZL15flash_attn_tileILi64ELi64ELi1ELi4ELb1EEvPKcS1_S1_S1_S1_PKiPfP15HIP_vector_typeIfLj2EEffffjfiS5_IjLj3EEiiiiiiiiiiiliiliiiiil ; -- Begin function _ZL15flash_attn_tileILi64ELi64ELi1ELi4ELb1EEvPKcS1_S1_S1_S1_PKiPfP15HIP_vector_typeIfLj2EEffffjfiS5_IjLj3EEiiiiiiiiiiiliiliiiiil
	.p2align	8
	.type	_ZL15flash_attn_tileILi64ELi64ELi1ELi4ELb1EEvPKcS1_S1_S1_S1_PKiPfP15HIP_vector_typeIfLj2EEffffjfiS5_IjLj3EEiiiiiiiiiiiliiliiiiil,@function
_ZL15flash_attn_tileILi64ELi64ELi1ELi4ELb1EEvPKcS1_S1_S1_S1_PKiPfP15HIP_vector_typeIfLj2EEffffjfiS5_IjLj3EEiiiiiiiiiiiliiliiiiil: ; @_ZL15flash_attn_tileILi64ELi64ELi1ELi4ELb1EEvPKcS1_S1_S1_S1_PKiPfP15HIP_vector_typeIfLj2EEffffjfiS5_IjLj3EEiiiiiiiiiiiliiliiiiil
; %bb.0:
	s_get_pc_i64 s[2:3]
	s_add_nc_u64 s[2:3], s[2:3], _ZL14no_device_codePKciS0_iS0_@rel64+4
	s_add_nc_u64 s[8:9], s[0:1], 0xd0
	s_mov_b32 s32, 0
	s_swap_pc_i64 s[30:31], s[2:3]
	.section	.rodata,"a",@progbits
	.p2align	6, 0x0
	.amdhsa_kernel _ZL15flash_attn_tileILi64ELi64ELi1ELi4ELb1EEvPKcS1_S1_S1_S1_PKiPfP15HIP_vector_typeIfLj2EEffffjfiS5_IjLj3EEiiiiiiiiiiiliiliiiiil
		.amdhsa_group_segment_fixed_size 0
		.amdhsa_private_segment_fixed_size 16
		.amdhsa_kernarg_size 464
		.amdhsa_user_sgpr_count 2
		.amdhsa_user_sgpr_dispatch_ptr 0
		.amdhsa_user_sgpr_queue_ptr 0
		.amdhsa_user_sgpr_kernarg_segment_ptr 1
		.amdhsa_user_sgpr_dispatch_id 0
		.amdhsa_user_sgpr_kernarg_preload_length 0
		.amdhsa_user_sgpr_kernarg_preload_offset 0
		.amdhsa_user_sgpr_private_segment_size 0
		.amdhsa_wavefront_size32 1
		.amdhsa_uses_dynamic_stack 0
		.amdhsa_enable_private_segment 1
		.amdhsa_system_sgpr_workgroup_id_x 1
		.amdhsa_system_sgpr_workgroup_id_y 0
		.amdhsa_system_sgpr_workgroup_id_z 0
		.amdhsa_system_sgpr_workgroup_info 0
		.amdhsa_system_vgpr_workitem_id 0
		.amdhsa_next_free_vgpr 50
		.amdhsa_next_free_sgpr 34
		.amdhsa_named_barrier_count 0
		.amdhsa_reserve_vcc 1
		.amdhsa_float_round_mode_32 0
		.amdhsa_float_round_mode_16_64 0
		.amdhsa_float_denorm_mode_32 3
		.amdhsa_float_denorm_mode_16_64 3
		.amdhsa_fp16_overflow 0
		.amdhsa_memory_ordered 1
		.amdhsa_forward_progress 1
		.amdhsa_inst_pref_size 1
		.amdhsa_round_robin_scheduling 0
		.amdhsa_exception_fp_ieee_invalid_op 0
		.amdhsa_exception_fp_denorm_src 0
		.amdhsa_exception_fp_ieee_div_zero 0
		.amdhsa_exception_fp_ieee_overflow 0
		.amdhsa_exception_fp_ieee_underflow 0
		.amdhsa_exception_fp_ieee_inexact 0
		.amdhsa_exception_int_div_zero 0
	.end_amdhsa_kernel
	.section	.text._ZL15flash_attn_tileILi64ELi64ELi1ELi4ELb1EEvPKcS1_S1_S1_S1_PKiPfP15HIP_vector_typeIfLj2EEffffjfiS5_IjLj3EEiiiiiiiiiiiliiliiiiil,"axG",@progbits,_ZL15flash_attn_tileILi64ELi64ELi1ELi4ELb1EEvPKcS1_S1_S1_S1_PKiPfP15HIP_vector_typeIfLj2EEffffjfiS5_IjLj3EEiiiiiiiiiiiliiliiiiil,comdat
.Lfunc_end82:
	.size	_ZL15flash_attn_tileILi64ELi64ELi1ELi4ELb1EEvPKcS1_S1_S1_S1_PKiPfP15HIP_vector_typeIfLj2EEffffjfiS5_IjLj3EEiiiiiiiiiiiliiliiiiil, .Lfunc_end82-_ZL15flash_attn_tileILi64ELi64ELi1ELi4ELb1EEvPKcS1_S1_S1_S1_PKiPfP15HIP_vector_typeIfLj2EEffffjfiS5_IjLj3EEiiiiiiiiiiiliiliiiiil
                                        ; -- End function
	.set _ZL15flash_attn_tileILi64ELi64ELi1ELi4ELb1EEvPKcS1_S1_S1_S1_PKiPfP15HIP_vector_typeIfLj2EEffffjfiS5_IjLj3EEiiiiiiiiiiiliiliiiiil.num_vgpr, max(0, .L_ZL14no_device_codePKciS0_iS0_.num_vgpr)
	.set _ZL15flash_attn_tileILi64ELi64ELi1ELi4ELb1EEvPKcS1_S1_S1_S1_PKiPfP15HIP_vector_typeIfLj2EEffffjfiS5_IjLj3EEiiiiiiiiiiiliiliiiiil.num_agpr, max(0, .L_ZL14no_device_codePKciS0_iS0_.num_agpr)
	.set _ZL15flash_attn_tileILi64ELi64ELi1ELi4ELb1EEvPKcS1_S1_S1_S1_PKiPfP15HIP_vector_typeIfLj2EEffffjfiS5_IjLj3EEiiiiiiiiiiiliiliiiiil.numbered_sgpr, max(33, .L_ZL14no_device_codePKciS0_iS0_.numbered_sgpr)
	.set _ZL15flash_attn_tileILi64ELi64ELi1ELi4ELb1EEvPKcS1_S1_S1_S1_PKiPfP15HIP_vector_typeIfLj2EEffffjfiS5_IjLj3EEiiiiiiiiiiiliiliiiiil.num_named_barrier, max(0, .L_ZL14no_device_codePKciS0_iS0_.num_named_barrier)
	.set _ZL15flash_attn_tileILi64ELi64ELi1ELi4ELb1EEvPKcS1_S1_S1_S1_PKiPfP15HIP_vector_typeIfLj2EEffffjfiS5_IjLj3EEiiiiiiiiiiiliiliiiiil.private_seg_size, 0+max(.L_ZL14no_device_codePKciS0_iS0_.private_seg_size)
	.set _ZL15flash_attn_tileILi64ELi64ELi1ELi4ELb1EEvPKcS1_S1_S1_S1_PKiPfP15HIP_vector_typeIfLj2EEffffjfiS5_IjLj3EEiiiiiiiiiiiliiliiiiil.uses_vcc, or(1, .L_ZL14no_device_codePKciS0_iS0_.uses_vcc)
	.set _ZL15flash_attn_tileILi64ELi64ELi1ELi4ELb1EEvPKcS1_S1_S1_S1_PKiPfP15HIP_vector_typeIfLj2EEffffjfiS5_IjLj3EEiiiiiiiiiiiliiliiiiil.uses_flat_scratch, or(0, .L_ZL14no_device_codePKciS0_iS0_.uses_flat_scratch)
	.set _ZL15flash_attn_tileILi64ELi64ELi1ELi4ELb1EEvPKcS1_S1_S1_S1_PKiPfP15HIP_vector_typeIfLj2EEffffjfiS5_IjLj3EEiiiiiiiiiiiliiliiiiil.has_dyn_sized_stack, or(0, .L_ZL14no_device_codePKciS0_iS0_.has_dyn_sized_stack)
	.set _ZL15flash_attn_tileILi64ELi64ELi1ELi4ELb1EEvPKcS1_S1_S1_S1_PKiPfP15HIP_vector_typeIfLj2EEffffjfiS5_IjLj3EEiiiiiiiiiiiliiliiiiil.has_recursion, or(0, .L_ZL14no_device_codePKciS0_iS0_.has_recursion)
	.set _ZL15flash_attn_tileILi64ELi64ELi1ELi4ELb1EEvPKcS1_S1_S1_S1_PKiPfP15HIP_vector_typeIfLj2EEffffjfiS5_IjLj3EEiiiiiiiiiiiliiliiiiil.has_indirect_call, or(0, .L_ZL14no_device_codePKciS0_iS0_.has_indirect_call)
	.section	.AMDGPU.csdata,"",@progbits
; Kernel info:
; codeLenInByte = 32
; TotalNumSgprs: 36
; NumVgprs: 50
; ScratchSize: 16
; MemoryBound: 0
; FloatMode: 240
; IeeeMode: 1
; LDSByteSize: 0 bytes/workgroup (compile time only)
; SGPRBlocks: 0
; VGPRBlocks: 3
; NumSGPRsForWavesPerEU: 36
; NumVGPRsForWavesPerEU: 50
; NamedBarCnt: 0
; Occupancy: 16
; WaveLimiterHint : 1
; COMPUTE_PGM_RSRC2:SCRATCH_EN: 1
; COMPUTE_PGM_RSRC2:USER_SGPR: 2
; COMPUTE_PGM_RSRC2:TRAP_HANDLER: 0
; COMPUTE_PGM_RSRC2:TGID_X_EN: 1
; COMPUTE_PGM_RSRC2:TGID_Y_EN: 0
; COMPUTE_PGM_RSRC2:TGID_Z_EN: 0
; COMPUTE_PGM_RSRC2:TIDIG_COMP_CNT: 0
	.section	.text._ZL15flash_attn_tileILi64ELi64ELi32ELi2ELb1EEvPKcS1_S1_S1_S1_PKiPfP15HIP_vector_typeIfLj2EEffffjfiS5_IjLj3EEiiiiiiiiiiiliiliiiiil,"axG",@progbits,_ZL15flash_attn_tileILi64ELi64ELi32ELi2ELb1EEvPKcS1_S1_S1_S1_PKiPfP15HIP_vector_typeIfLj2EEffffjfiS5_IjLj3EEiiiiiiiiiiiliiliiiiil,comdat
	.globl	_ZL15flash_attn_tileILi64ELi64ELi32ELi2ELb1EEvPKcS1_S1_S1_S1_PKiPfP15HIP_vector_typeIfLj2EEffffjfiS5_IjLj3EEiiiiiiiiiiiliiliiiiil ; -- Begin function _ZL15flash_attn_tileILi64ELi64ELi32ELi2ELb1EEvPKcS1_S1_S1_S1_PKiPfP15HIP_vector_typeIfLj2EEffffjfiS5_IjLj3EEiiiiiiiiiiiliiliiiiil
	.p2align	8
	.type	_ZL15flash_attn_tileILi64ELi64ELi32ELi2ELb1EEvPKcS1_S1_S1_S1_PKiPfP15HIP_vector_typeIfLj2EEffffjfiS5_IjLj3EEiiiiiiiiiiiliiliiiiil,@function
_ZL15flash_attn_tileILi64ELi64ELi32ELi2ELb1EEvPKcS1_S1_S1_S1_PKiPfP15HIP_vector_typeIfLj2EEffffjfiS5_IjLj3EEiiiiiiiiiiiliiliiiiil: ; @_ZL15flash_attn_tileILi64ELi64ELi32ELi2ELb1EEvPKcS1_S1_S1_S1_PKiPfP15HIP_vector_typeIfLj2EEffffjfiS5_IjLj3EEiiiiiiiiiiiliiliiiiil
; %bb.0:
	s_get_pc_i64 s[2:3]
	s_add_nc_u64 s[2:3], s[2:3], _ZL14no_device_codePKciS0_iS0_@rel64+4
	s_add_nc_u64 s[8:9], s[0:1], 0xd0
	s_mov_b32 s32, 0
	s_swap_pc_i64 s[30:31], s[2:3]
	.section	.rodata,"a",@progbits
	.p2align	6, 0x0
	.amdhsa_kernel _ZL15flash_attn_tileILi64ELi64ELi32ELi2ELb1EEvPKcS1_S1_S1_S1_PKiPfP15HIP_vector_typeIfLj2EEffffjfiS5_IjLj3EEiiiiiiiiiiiliiliiiiil
		.amdhsa_group_segment_fixed_size 0
		.amdhsa_private_segment_fixed_size 16
		.amdhsa_kernarg_size 464
		.amdhsa_user_sgpr_count 2
		.amdhsa_user_sgpr_dispatch_ptr 0
		.amdhsa_user_sgpr_queue_ptr 0
		.amdhsa_user_sgpr_kernarg_segment_ptr 1
		.amdhsa_user_sgpr_dispatch_id 0
		.amdhsa_user_sgpr_kernarg_preload_length 0
		.amdhsa_user_sgpr_kernarg_preload_offset 0
		.amdhsa_user_sgpr_private_segment_size 0
		.amdhsa_wavefront_size32 1
		.amdhsa_uses_dynamic_stack 0
		.amdhsa_enable_private_segment 1
		.amdhsa_system_sgpr_workgroup_id_x 1
		.amdhsa_system_sgpr_workgroup_id_y 0
		.amdhsa_system_sgpr_workgroup_id_z 0
		.amdhsa_system_sgpr_workgroup_info 0
		.amdhsa_system_vgpr_workitem_id 0
		.amdhsa_next_free_vgpr 50
		.amdhsa_next_free_sgpr 34
		.amdhsa_named_barrier_count 0
		.amdhsa_reserve_vcc 1
		.amdhsa_float_round_mode_32 0
		.amdhsa_float_round_mode_16_64 0
		.amdhsa_float_denorm_mode_32 3
		.amdhsa_float_denorm_mode_16_64 3
		.amdhsa_fp16_overflow 0
		.amdhsa_memory_ordered 1
		.amdhsa_forward_progress 1
		.amdhsa_inst_pref_size 1
		.amdhsa_round_robin_scheduling 0
		.amdhsa_exception_fp_ieee_invalid_op 0
		.amdhsa_exception_fp_denorm_src 0
		.amdhsa_exception_fp_ieee_div_zero 0
		.amdhsa_exception_fp_ieee_overflow 0
		.amdhsa_exception_fp_ieee_underflow 0
		.amdhsa_exception_fp_ieee_inexact 0
		.amdhsa_exception_int_div_zero 0
	.end_amdhsa_kernel
	.section	.text._ZL15flash_attn_tileILi64ELi64ELi32ELi2ELb1EEvPKcS1_S1_S1_S1_PKiPfP15HIP_vector_typeIfLj2EEffffjfiS5_IjLj3EEiiiiiiiiiiiliiliiiiil,"axG",@progbits,_ZL15flash_attn_tileILi64ELi64ELi32ELi2ELb1EEvPKcS1_S1_S1_S1_PKiPfP15HIP_vector_typeIfLj2EEffffjfiS5_IjLj3EEiiiiiiiiiiiliiliiiiil,comdat
.Lfunc_end83:
	.size	_ZL15flash_attn_tileILi64ELi64ELi32ELi2ELb1EEvPKcS1_S1_S1_S1_PKiPfP15HIP_vector_typeIfLj2EEffffjfiS5_IjLj3EEiiiiiiiiiiiliiliiiiil, .Lfunc_end83-_ZL15flash_attn_tileILi64ELi64ELi32ELi2ELb1EEvPKcS1_S1_S1_S1_PKiPfP15HIP_vector_typeIfLj2EEffffjfiS5_IjLj3EEiiiiiiiiiiiliiliiiiil
                                        ; -- End function
	.set _ZL15flash_attn_tileILi64ELi64ELi32ELi2ELb1EEvPKcS1_S1_S1_S1_PKiPfP15HIP_vector_typeIfLj2EEffffjfiS5_IjLj3EEiiiiiiiiiiiliiliiiiil.num_vgpr, max(0, .L_ZL14no_device_codePKciS0_iS0_.num_vgpr)
	.set _ZL15flash_attn_tileILi64ELi64ELi32ELi2ELb1EEvPKcS1_S1_S1_S1_PKiPfP15HIP_vector_typeIfLj2EEffffjfiS5_IjLj3EEiiiiiiiiiiiliiliiiiil.num_agpr, max(0, .L_ZL14no_device_codePKciS0_iS0_.num_agpr)
	.set _ZL15flash_attn_tileILi64ELi64ELi32ELi2ELb1EEvPKcS1_S1_S1_S1_PKiPfP15HIP_vector_typeIfLj2EEffffjfiS5_IjLj3EEiiiiiiiiiiiliiliiiiil.numbered_sgpr, max(33, .L_ZL14no_device_codePKciS0_iS0_.numbered_sgpr)
	.set _ZL15flash_attn_tileILi64ELi64ELi32ELi2ELb1EEvPKcS1_S1_S1_S1_PKiPfP15HIP_vector_typeIfLj2EEffffjfiS5_IjLj3EEiiiiiiiiiiiliiliiiiil.num_named_barrier, max(0, .L_ZL14no_device_codePKciS0_iS0_.num_named_barrier)
	.set _ZL15flash_attn_tileILi64ELi64ELi32ELi2ELb1EEvPKcS1_S1_S1_S1_PKiPfP15HIP_vector_typeIfLj2EEffffjfiS5_IjLj3EEiiiiiiiiiiiliiliiiiil.private_seg_size, 0+max(.L_ZL14no_device_codePKciS0_iS0_.private_seg_size)
	.set _ZL15flash_attn_tileILi64ELi64ELi32ELi2ELb1EEvPKcS1_S1_S1_S1_PKiPfP15HIP_vector_typeIfLj2EEffffjfiS5_IjLj3EEiiiiiiiiiiiliiliiiiil.uses_vcc, or(1, .L_ZL14no_device_codePKciS0_iS0_.uses_vcc)
	.set _ZL15flash_attn_tileILi64ELi64ELi32ELi2ELb1EEvPKcS1_S1_S1_S1_PKiPfP15HIP_vector_typeIfLj2EEffffjfiS5_IjLj3EEiiiiiiiiiiiliiliiiiil.uses_flat_scratch, or(0, .L_ZL14no_device_codePKciS0_iS0_.uses_flat_scratch)
	.set _ZL15flash_attn_tileILi64ELi64ELi32ELi2ELb1EEvPKcS1_S1_S1_S1_PKiPfP15HIP_vector_typeIfLj2EEffffjfiS5_IjLj3EEiiiiiiiiiiiliiliiiiil.has_dyn_sized_stack, or(0, .L_ZL14no_device_codePKciS0_iS0_.has_dyn_sized_stack)
	.set _ZL15flash_attn_tileILi64ELi64ELi32ELi2ELb1EEvPKcS1_S1_S1_S1_PKiPfP15HIP_vector_typeIfLj2EEffffjfiS5_IjLj3EEiiiiiiiiiiiliiliiiiil.has_recursion, or(0, .L_ZL14no_device_codePKciS0_iS0_.has_recursion)
	.set _ZL15flash_attn_tileILi64ELi64ELi32ELi2ELb1EEvPKcS1_S1_S1_S1_PKiPfP15HIP_vector_typeIfLj2EEffffjfiS5_IjLj3EEiiiiiiiiiiiliiliiiiil.has_indirect_call, or(0, .L_ZL14no_device_codePKciS0_iS0_.has_indirect_call)
	.section	.AMDGPU.csdata,"",@progbits
; Kernel info:
; codeLenInByte = 32
; TotalNumSgprs: 36
; NumVgprs: 50
; ScratchSize: 16
; MemoryBound: 0
; FloatMode: 240
; IeeeMode: 1
; LDSByteSize: 0 bytes/workgroup (compile time only)
; SGPRBlocks: 0
; VGPRBlocks: 3
; NumSGPRsForWavesPerEU: 36
; NumVGPRsForWavesPerEU: 50
; NamedBarCnt: 0
; Occupancy: 16
; WaveLimiterHint : 1
; COMPUTE_PGM_RSRC2:SCRATCH_EN: 1
; COMPUTE_PGM_RSRC2:USER_SGPR: 2
; COMPUTE_PGM_RSRC2:TRAP_HANDLER: 0
; COMPUTE_PGM_RSRC2:TGID_X_EN: 1
; COMPUTE_PGM_RSRC2:TGID_Y_EN: 0
; COMPUTE_PGM_RSRC2:TGID_Z_EN: 0
; COMPUTE_PGM_RSRC2:TIDIG_COMP_CNT: 0
	.section	.text._ZL15flash_attn_tileILi64ELi64ELi16ELi2ELb1EEvPKcS1_S1_S1_S1_PKiPfP15HIP_vector_typeIfLj2EEffffjfiS5_IjLj3EEiiiiiiiiiiiliiliiiiil,"axG",@progbits,_ZL15flash_attn_tileILi64ELi64ELi16ELi2ELb1EEvPKcS1_S1_S1_S1_PKiPfP15HIP_vector_typeIfLj2EEffffjfiS5_IjLj3EEiiiiiiiiiiiliiliiiiil,comdat
	.globl	_ZL15flash_attn_tileILi64ELi64ELi16ELi2ELb1EEvPKcS1_S1_S1_S1_PKiPfP15HIP_vector_typeIfLj2EEffffjfiS5_IjLj3EEiiiiiiiiiiiliiliiiiil ; -- Begin function _ZL15flash_attn_tileILi64ELi64ELi16ELi2ELb1EEvPKcS1_S1_S1_S1_PKiPfP15HIP_vector_typeIfLj2EEffffjfiS5_IjLj3EEiiiiiiiiiiiliiliiiiil
	.p2align	8
	.type	_ZL15flash_attn_tileILi64ELi64ELi16ELi2ELb1EEvPKcS1_S1_S1_S1_PKiPfP15HIP_vector_typeIfLj2EEffffjfiS5_IjLj3EEiiiiiiiiiiiliiliiiiil,@function
_ZL15flash_attn_tileILi64ELi64ELi16ELi2ELb1EEvPKcS1_S1_S1_S1_PKiPfP15HIP_vector_typeIfLj2EEffffjfiS5_IjLj3EEiiiiiiiiiiiliiliiiiil: ; @_ZL15flash_attn_tileILi64ELi64ELi16ELi2ELb1EEvPKcS1_S1_S1_S1_PKiPfP15HIP_vector_typeIfLj2EEffffjfiS5_IjLj3EEiiiiiiiiiiiliiliiiiil
; %bb.0:
	s_get_pc_i64 s[2:3]
	s_add_nc_u64 s[2:3], s[2:3], _ZL14no_device_codePKciS0_iS0_@rel64+4
	s_add_nc_u64 s[8:9], s[0:1], 0xd0
	s_mov_b32 s32, 0
	s_swap_pc_i64 s[30:31], s[2:3]
	.section	.rodata,"a",@progbits
	.p2align	6, 0x0
	.amdhsa_kernel _ZL15flash_attn_tileILi64ELi64ELi16ELi2ELb1EEvPKcS1_S1_S1_S1_PKiPfP15HIP_vector_typeIfLj2EEffffjfiS5_IjLj3EEiiiiiiiiiiiliiliiiiil
		.amdhsa_group_segment_fixed_size 0
		.amdhsa_private_segment_fixed_size 16
		.amdhsa_kernarg_size 464
		.amdhsa_user_sgpr_count 2
		.amdhsa_user_sgpr_dispatch_ptr 0
		.amdhsa_user_sgpr_queue_ptr 0
		.amdhsa_user_sgpr_kernarg_segment_ptr 1
		.amdhsa_user_sgpr_dispatch_id 0
		.amdhsa_user_sgpr_kernarg_preload_length 0
		.amdhsa_user_sgpr_kernarg_preload_offset 0
		.amdhsa_user_sgpr_private_segment_size 0
		.amdhsa_wavefront_size32 1
		.amdhsa_uses_dynamic_stack 0
		.amdhsa_enable_private_segment 1
		.amdhsa_system_sgpr_workgroup_id_x 1
		.amdhsa_system_sgpr_workgroup_id_y 0
		.amdhsa_system_sgpr_workgroup_id_z 0
		.amdhsa_system_sgpr_workgroup_info 0
		.amdhsa_system_vgpr_workitem_id 0
		.amdhsa_next_free_vgpr 50
		.amdhsa_next_free_sgpr 34
		.amdhsa_named_barrier_count 0
		.amdhsa_reserve_vcc 1
		.amdhsa_float_round_mode_32 0
		.amdhsa_float_round_mode_16_64 0
		.amdhsa_float_denorm_mode_32 3
		.amdhsa_float_denorm_mode_16_64 3
		.amdhsa_fp16_overflow 0
		.amdhsa_memory_ordered 1
		.amdhsa_forward_progress 1
		.amdhsa_inst_pref_size 1
		.amdhsa_round_robin_scheduling 0
		.amdhsa_exception_fp_ieee_invalid_op 0
		.amdhsa_exception_fp_denorm_src 0
		.amdhsa_exception_fp_ieee_div_zero 0
		.amdhsa_exception_fp_ieee_overflow 0
		.amdhsa_exception_fp_ieee_underflow 0
		.amdhsa_exception_fp_ieee_inexact 0
		.amdhsa_exception_int_div_zero 0
	.end_amdhsa_kernel
	.section	.text._ZL15flash_attn_tileILi64ELi64ELi16ELi2ELb1EEvPKcS1_S1_S1_S1_PKiPfP15HIP_vector_typeIfLj2EEffffjfiS5_IjLj3EEiiiiiiiiiiiliiliiiiil,"axG",@progbits,_ZL15flash_attn_tileILi64ELi64ELi16ELi2ELb1EEvPKcS1_S1_S1_S1_PKiPfP15HIP_vector_typeIfLj2EEffffjfiS5_IjLj3EEiiiiiiiiiiiliiliiiiil,comdat
.Lfunc_end84:
	.size	_ZL15flash_attn_tileILi64ELi64ELi16ELi2ELb1EEvPKcS1_S1_S1_S1_PKiPfP15HIP_vector_typeIfLj2EEffffjfiS5_IjLj3EEiiiiiiiiiiiliiliiiiil, .Lfunc_end84-_ZL15flash_attn_tileILi64ELi64ELi16ELi2ELb1EEvPKcS1_S1_S1_S1_PKiPfP15HIP_vector_typeIfLj2EEffffjfiS5_IjLj3EEiiiiiiiiiiiliiliiiiil
                                        ; -- End function
	.set _ZL15flash_attn_tileILi64ELi64ELi16ELi2ELb1EEvPKcS1_S1_S1_S1_PKiPfP15HIP_vector_typeIfLj2EEffffjfiS5_IjLj3EEiiiiiiiiiiiliiliiiiil.num_vgpr, max(0, .L_ZL14no_device_codePKciS0_iS0_.num_vgpr)
	.set _ZL15flash_attn_tileILi64ELi64ELi16ELi2ELb1EEvPKcS1_S1_S1_S1_PKiPfP15HIP_vector_typeIfLj2EEffffjfiS5_IjLj3EEiiiiiiiiiiiliiliiiiil.num_agpr, max(0, .L_ZL14no_device_codePKciS0_iS0_.num_agpr)
	.set _ZL15flash_attn_tileILi64ELi64ELi16ELi2ELb1EEvPKcS1_S1_S1_S1_PKiPfP15HIP_vector_typeIfLj2EEffffjfiS5_IjLj3EEiiiiiiiiiiiliiliiiiil.numbered_sgpr, max(33, .L_ZL14no_device_codePKciS0_iS0_.numbered_sgpr)
	.set _ZL15flash_attn_tileILi64ELi64ELi16ELi2ELb1EEvPKcS1_S1_S1_S1_PKiPfP15HIP_vector_typeIfLj2EEffffjfiS5_IjLj3EEiiiiiiiiiiiliiliiiiil.num_named_barrier, max(0, .L_ZL14no_device_codePKciS0_iS0_.num_named_barrier)
	.set _ZL15flash_attn_tileILi64ELi64ELi16ELi2ELb1EEvPKcS1_S1_S1_S1_PKiPfP15HIP_vector_typeIfLj2EEffffjfiS5_IjLj3EEiiiiiiiiiiiliiliiiiil.private_seg_size, 0+max(.L_ZL14no_device_codePKciS0_iS0_.private_seg_size)
	.set _ZL15flash_attn_tileILi64ELi64ELi16ELi2ELb1EEvPKcS1_S1_S1_S1_PKiPfP15HIP_vector_typeIfLj2EEffffjfiS5_IjLj3EEiiiiiiiiiiiliiliiiiil.uses_vcc, or(1, .L_ZL14no_device_codePKciS0_iS0_.uses_vcc)
	.set _ZL15flash_attn_tileILi64ELi64ELi16ELi2ELb1EEvPKcS1_S1_S1_S1_PKiPfP15HIP_vector_typeIfLj2EEffffjfiS5_IjLj3EEiiiiiiiiiiiliiliiiiil.uses_flat_scratch, or(0, .L_ZL14no_device_codePKciS0_iS0_.uses_flat_scratch)
	.set _ZL15flash_attn_tileILi64ELi64ELi16ELi2ELb1EEvPKcS1_S1_S1_S1_PKiPfP15HIP_vector_typeIfLj2EEffffjfiS5_IjLj3EEiiiiiiiiiiiliiliiiiil.has_dyn_sized_stack, or(0, .L_ZL14no_device_codePKciS0_iS0_.has_dyn_sized_stack)
	.set _ZL15flash_attn_tileILi64ELi64ELi16ELi2ELb1EEvPKcS1_S1_S1_S1_PKiPfP15HIP_vector_typeIfLj2EEffffjfiS5_IjLj3EEiiiiiiiiiiiliiliiiiil.has_recursion, or(0, .L_ZL14no_device_codePKciS0_iS0_.has_recursion)
	.set _ZL15flash_attn_tileILi64ELi64ELi16ELi2ELb1EEvPKcS1_S1_S1_S1_PKiPfP15HIP_vector_typeIfLj2EEffffjfiS5_IjLj3EEiiiiiiiiiiiliiliiiiil.has_indirect_call, or(0, .L_ZL14no_device_codePKciS0_iS0_.has_indirect_call)
	.section	.AMDGPU.csdata,"",@progbits
; Kernel info:
; codeLenInByte = 32
; TotalNumSgprs: 36
; NumVgprs: 50
; ScratchSize: 16
; MemoryBound: 0
; FloatMode: 240
; IeeeMode: 1
; LDSByteSize: 0 bytes/workgroup (compile time only)
; SGPRBlocks: 0
; VGPRBlocks: 3
; NumSGPRsForWavesPerEU: 36
; NumVGPRsForWavesPerEU: 50
; NamedBarCnt: 0
; Occupancy: 16
; WaveLimiterHint : 1
; COMPUTE_PGM_RSRC2:SCRATCH_EN: 1
; COMPUTE_PGM_RSRC2:USER_SGPR: 2
; COMPUTE_PGM_RSRC2:TRAP_HANDLER: 0
; COMPUTE_PGM_RSRC2:TGID_X_EN: 1
; COMPUTE_PGM_RSRC2:TGID_Y_EN: 0
; COMPUTE_PGM_RSRC2:TGID_Z_EN: 0
; COMPUTE_PGM_RSRC2:TIDIG_COMP_CNT: 0
	.section	.text._ZL15flash_attn_tileILi64ELi64ELi8ELi2ELb1EEvPKcS1_S1_S1_S1_PKiPfP15HIP_vector_typeIfLj2EEffffjfiS5_IjLj3EEiiiiiiiiiiiliiliiiiil,"axG",@progbits,_ZL15flash_attn_tileILi64ELi64ELi8ELi2ELb1EEvPKcS1_S1_S1_S1_PKiPfP15HIP_vector_typeIfLj2EEffffjfiS5_IjLj3EEiiiiiiiiiiiliiliiiiil,comdat
	.globl	_ZL15flash_attn_tileILi64ELi64ELi8ELi2ELb1EEvPKcS1_S1_S1_S1_PKiPfP15HIP_vector_typeIfLj2EEffffjfiS5_IjLj3EEiiiiiiiiiiiliiliiiiil ; -- Begin function _ZL15flash_attn_tileILi64ELi64ELi8ELi2ELb1EEvPKcS1_S1_S1_S1_PKiPfP15HIP_vector_typeIfLj2EEffffjfiS5_IjLj3EEiiiiiiiiiiiliiliiiiil
	.p2align	8
	.type	_ZL15flash_attn_tileILi64ELi64ELi8ELi2ELb1EEvPKcS1_S1_S1_S1_PKiPfP15HIP_vector_typeIfLj2EEffffjfiS5_IjLj3EEiiiiiiiiiiiliiliiiiil,@function
_ZL15flash_attn_tileILi64ELi64ELi8ELi2ELb1EEvPKcS1_S1_S1_S1_PKiPfP15HIP_vector_typeIfLj2EEffffjfiS5_IjLj3EEiiiiiiiiiiiliiliiiiil: ; @_ZL15flash_attn_tileILi64ELi64ELi8ELi2ELb1EEvPKcS1_S1_S1_S1_PKiPfP15HIP_vector_typeIfLj2EEffffjfiS5_IjLj3EEiiiiiiiiiiiliiliiiiil
; %bb.0:
	s_get_pc_i64 s[2:3]
	s_add_nc_u64 s[2:3], s[2:3], _ZL14no_device_codePKciS0_iS0_@rel64+4
	s_add_nc_u64 s[8:9], s[0:1], 0xd0
	s_mov_b32 s32, 0
	s_swap_pc_i64 s[30:31], s[2:3]
	.section	.rodata,"a",@progbits
	.p2align	6, 0x0
	.amdhsa_kernel _ZL15flash_attn_tileILi64ELi64ELi8ELi2ELb1EEvPKcS1_S1_S1_S1_PKiPfP15HIP_vector_typeIfLj2EEffffjfiS5_IjLj3EEiiiiiiiiiiiliiliiiiil
		.amdhsa_group_segment_fixed_size 0
		.amdhsa_private_segment_fixed_size 16
		.amdhsa_kernarg_size 464
		.amdhsa_user_sgpr_count 2
		.amdhsa_user_sgpr_dispatch_ptr 0
		.amdhsa_user_sgpr_queue_ptr 0
		.amdhsa_user_sgpr_kernarg_segment_ptr 1
		.amdhsa_user_sgpr_dispatch_id 0
		.amdhsa_user_sgpr_kernarg_preload_length 0
		.amdhsa_user_sgpr_kernarg_preload_offset 0
		.amdhsa_user_sgpr_private_segment_size 0
		.amdhsa_wavefront_size32 1
		.amdhsa_uses_dynamic_stack 0
		.amdhsa_enable_private_segment 1
		.amdhsa_system_sgpr_workgroup_id_x 1
		.amdhsa_system_sgpr_workgroup_id_y 0
		.amdhsa_system_sgpr_workgroup_id_z 0
		.amdhsa_system_sgpr_workgroup_info 0
		.amdhsa_system_vgpr_workitem_id 0
		.amdhsa_next_free_vgpr 50
		.amdhsa_next_free_sgpr 34
		.amdhsa_named_barrier_count 0
		.amdhsa_reserve_vcc 1
		.amdhsa_float_round_mode_32 0
		.amdhsa_float_round_mode_16_64 0
		.amdhsa_float_denorm_mode_32 3
		.amdhsa_float_denorm_mode_16_64 3
		.amdhsa_fp16_overflow 0
		.amdhsa_memory_ordered 1
		.amdhsa_forward_progress 1
		.amdhsa_inst_pref_size 1
		.amdhsa_round_robin_scheduling 0
		.amdhsa_exception_fp_ieee_invalid_op 0
		.amdhsa_exception_fp_denorm_src 0
		.amdhsa_exception_fp_ieee_div_zero 0
		.amdhsa_exception_fp_ieee_overflow 0
		.amdhsa_exception_fp_ieee_underflow 0
		.amdhsa_exception_fp_ieee_inexact 0
		.amdhsa_exception_int_div_zero 0
	.end_amdhsa_kernel
	.section	.text._ZL15flash_attn_tileILi64ELi64ELi8ELi2ELb1EEvPKcS1_S1_S1_S1_PKiPfP15HIP_vector_typeIfLj2EEffffjfiS5_IjLj3EEiiiiiiiiiiiliiliiiiil,"axG",@progbits,_ZL15flash_attn_tileILi64ELi64ELi8ELi2ELb1EEvPKcS1_S1_S1_S1_PKiPfP15HIP_vector_typeIfLj2EEffffjfiS5_IjLj3EEiiiiiiiiiiiliiliiiiil,comdat
.Lfunc_end85:
	.size	_ZL15flash_attn_tileILi64ELi64ELi8ELi2ELb1EEvPKcS1_S1_S1_S1_PKiPfP15HIP_vector_typeIfLj2EEffffjfiS5_IjLj3EEiiiiiiiiiiiliiliiiiil, .Lfunc_end85-_ZL15flash_attn_tileILi64ELi64ELi8ELi2ELb1EEvPKcS1_S1_S1_S1_PKiPfP15HIP_vector_typeIfLj2EEffffjfiS5_IjLj3EEiiiiiiiiiiiliiliiiiil
                                        ; -- End function
	.set _ZL15flash_attn_tileILi64ELi64ELi8ELi2ELb1EEvPKcS1_S1_S1_S1_PKiPfP15HIP_vector_typeIfLj2EEffffjfiS5_IjLj3EEiiiiiiiiiiiliiliiiiil.num_vgpr, max(0, .L_ZL14no_device_codePKciS0_iS0_.num_vgpr)
	.set _ZL15flash_attn_tileILi64ELi64ELi8ELi2ELb1EEvPKcS1_S1_S1_S1_PKiPfP15HIP_vector_typeIfLj2EEffffjfiS5_IjLj3EEiiiiiiiiiiiliiliiiiil.num_agpr, max(0, .L_ZL14no_device_codePKciS0_iS0_.num_agpr)
	.set _ZL15flash_attn_tileILi64ELi64ELi8ELi2ELb1EEvPKcS1_S1_S1_S1_PKiPfP15HIP_vector_typeIfLj2EEffffjfiS5_IjLj3EEiiiiiiiiiiiliiliiiiil.numbered_sgpr, max(33, .L_ZL14no_device_codePKciS0_iS0_.numbered_sgpr)
	.set _ZL15flash_attn_tileILi64ELi64ELi8ELi2ELb1EEvPKcS1_S1_S1_S1_PKiPfP15HIP_vector_typeIfLj2EEffffjfiS5_IjLj3EEiiiiiiiiiiiliiliiiiil.num_named_barrier, max(0, .L_ZL14no_device_codePKciS0_iS0_.num_named_barrier)
	.set _ZL15flash_attn_tileILi64ELi64ELi8ELi2ELb1EEvPKcS1_S1_S1_S1_PKiPfP15HIP_vector_typeIfLj2EEffffjfiS5_IjLj3EEiiiiiiiiiiiliiliiiiil.private_seg_size, 0+max(.L_ZL14no_device_codePKciS0_iS0_.private_seg_size)
	.set _ZL15flash_attn_tileILi64ELi64ELi8ELi2ELb1EEvPKcS1_S1_S1_S1_PKiPfP15HIP_vector_typeIfLj2EEffffjfiS5_IjLj3EEiiiiiiiiiiiliiliiiiil.uses_vcc, or(1, .L_ZL14no_device_codePKciS0_iS0_.uses_vcc)
	.set _ZL15flash_attn_tileILi64ELi64ELi8ELi2ELb1EEvPKcS1_S1_S1_S1_PKiPfP15HIP_vector_typeIfLj2EEffffjfiS5_IjLj3EEiiiiiiiiiiiliiliiiiil.uses_flat_scratch, or(0, .L_ZL14no_device_codePKciS0_iS0_.uses_flat_scratch)
	.set _ZL15flash_attn_tileILi64ELi64ELi8ELi2ELb1EEvPKcS1_S1_S1_S1_PKiPfP15HIP_vector_typeIfLj2EEffffjfiS5_IjLj3EEiiiiiiiiiiiliiliiiiil.has_dyn_sized_stack, or(0, .L_ZL14no_device_codePKciS0_iS0_.has_dyn_sized_stack)
	.set _ZL15flash_attn_tileILi64ELi64ELi8ELi2ELb1EEvPKcS1_S1_S1_S1_PKiPfP15HIP_vector_typeIfLj2EEffffjfiS5_IjLj3EEiiiiiiiiiiiliiliiiiil.has_recursion, or(0, .L_ZL14no_device_codePKciS0_iS0_.has_recursion)
	.set _ZL15flash_attn_tileILi64ELi64ELi8ELi2ELb1EEvPKcS1_S1_S1_S1_PKiPfP15HIP_vector_typeIfLj2EEffffjfiS5_IjLj3EEiiiiiiiiiiiliiliiiiil.has_indirect_call, or(0, .L_ZL14no_device_codePKciS0_iS0_.has_indirect_call)
	.section	.AMDGPU.csdata,"",@progbits
; Kernel info:
; codeLenInByte = 32
; TotalNumSgprs: 36
; NumVgprs: 50
; ScratchSize: 16
; MemoryBound: 0
; FloatMode: 240
; IeeeMode: 1
; LDSByteSize: 0 bytes/workgroup (compile time only)
; SGPRBlocks: 0
; VGPRBlocks: 3
; NumSGPRsForWavesPerEU: 36
; NumVGPRsForWavesPerEU: 50
; NamedBarCnt: 0
; Occupancy: 16
; WaveLimiterHint : 1
; COMPUTE_PGM_RSRC2:SCRATCH_EN: 1
; COMPUTE_PGM_RSRC2:USER_SGPR: 2
; COMPUTE_PGM_RSRC2:TRAP_HANDLER: 0
; COMPUTE_PGM_RSRC2:TGID_X_EN: 1
; COMPUTE_PGM_RSRC2:TGID_Y_EN: 0
; COMPUTE_PGM_RSRC2:TGID_Z_EN: 0
; COMPUTE_PGM_RSRC2:TIDIG_COMP_CNT: 0
	.section	.text._ZL15flash_attn_tileILi64ELi64ELi4ELi2ELb1EEvPKcS1_S1_S1_S1_PKiPfP15HIP_vector_typeIfLj2EEffffjfiS5_IjLj3EEiiiiiiiiiiiliiliiiiil,"axG",@progbits,_ZL15flash_attn_tileILi64ELi64ELi4ELi2ELb1EEvPKcS1_S1_S1_S1_PKiPfP15HIP_vector_typeIfLj2EEffffjfiS5_IjLj3EEiiiiiiiiiiiliiliiiiil,comdat
	.globl	_ZL15flash_attn_tileILi64ELi64ELi4ELi2ELb1EEvPKcS1_S1_S1_S1_PKiPfP15HIP_vector_typeIfLj2EEffffjfiS5_IjLj3EEiiiiiiiiiiiliiliiiiil ; -- Begin function _ZL15flash_attn_tileILi64ELi64ELi4ELi2ELb1EEvPKcS1_S1_S1_S1_PKiPfP15HIP_vector_typeIfLj2EEffffjfiS5_IjLj3EEiiiiiiiiiiiliiliiiiil
	.p2align	8
	.type	_ZL15flash_attn_tileILi64ELi64ELi4ELi2ELb1EEvPKcS1_S1_S1_S1_PKiPfP15HIP_vector_typeIfLj2EEffffjfiS5_IjLj3EEiiiiiiiiiiiliiliiiiil,@function
_ZL15flash_attn_tileILi64ELi64ELi4ELi2ELb1EEvPKcS1_S1_S1_S1_PKiPfP15HIP_vector_typeIfLj2EEffffjfiS5_IjLj3EEiiiiiiiiiiiliiliiiiil: ; @_ZL15flash_attn_tileILi64ELi64ELi4ELi2ELb1EEvPKcS1_S1_S1_S1_PKiPfP15HIP_vector_typeIfLj2EEffffjfiS5_IjLj3EEiiiiiiiiiiiliiliiiiil
; %bb.0:
	s_get_pc_i64 s[2:3]
	s_add_nc_u64 s[2:3], s[2:3], _ZL14no_device_codePKciS0_iS0_@rel64+4
	s_add_nc_u64 s[8:9], s[0:1], 0xd0
	s_mov_b32 s32, 0
	s_swap_pc_i64 s[30:31], s[2:3]
	.section	.rodata,"a",@progbits
	.p2align	6, 0x0
	.amdhsa_kernel _ZL15flash_attn_tileILi64ELi64ELi4ELi2ELb1EEvPKcS1_S1_S1_S1_PKiPfP15HIP_vector_typeIfLj2EEffffjfiS5_IjLj3EEiiiiiiiiiiiliiliiiiil
		.amdhsa_group_segment_fixed_size 0
		.amdhsa_private_segment_fixed_size 16
		.amdhsa_kernarg_size 464
		.amdhsa_user_sgpr_count 2
		.amdhsa_user_sgpr_dispatch_ptr 0
		.amdhsa_user_sgpr_queue_ptr 0
		.amdhsa_user_sgpr_kernarg_segment_ptr 1
		.amdhsa_user_sgpr_dispatch_id 0
		.amdhsa_user_sgpr_kernarg_preload_length 0
		.amdhsa_user_sgpr_kernarg_preload_offset 0
		.amdhsa_user_sgpr_private_segment_size 0
		.amdhsa_wavefront_size32 1
		.amdhsa_uses_dynamic_stack 0
		.amdhsa_enable_private_segment 1
		.amdhsa_system_sgpr_workgroup_id_x 1
		.amdhsa_system_sgpr_workgroup_id_y 0
		.amdhsa_system_sgpr_workgroup_id_z 0
		.amdhsa_system_sgpr_workgroup_info 0
		.amdhsa_system_vgpr_workitem_id 0
		.amdhsa_next_free_vgpr 50
		.amdhsa_next_free_sgpr 34
		.amdhsa_named_barrier_count 0
		.amdhsa_reserve_vcc 1
		.amdhsa_float_round_mode_32 0
		.amdhsa_float_round_mode_16_64 0
		.amdhsa_float_denorm_mode_32 3
		.amdhsa_float_denorm_mode_16_64 3
		.amdhsa_fp16_overflow 0
		.amdhsa_memory_ordered 1
		.amdhsa_forward_progress 1
		.amdhsa_inst_pref_size 1
		.amdhsa_round_robin_scheduling 0
		.amdhsa_exception_fp_ieee_invalid_op 0
		.amdhsa_exception_fp_denorm_src 0
		.amdhsa_exception_fp_ieee_div_zero 0
		.amdhsa_exception_fp_ieee_overflow 0
		.amdhsa_exception_fp_ieee_underflow 0
		.amdhsa_exception_fp_ieee_inexact 0
		.amdhsa_exception_int_div_zero 0
	.end_amdhsa_kernel
	.section	.text._ZL15flash_attn_tileILi64ELi64ELi4ELi2ELb1EEvPKcS1_S1_S1_S1_PKiPfP15HIP_vector_typeIfLj2EEffffjfiS5_IjLj3EEiiiiiiiiiiiliiliiiiil,"axG",@progbits,_ZL15flash_attn_tileILi64ELi64ELi4ELi2ELb1EEvPKcS1_S1_S1_S1_PKiPfP15HIP_vector_typeIfLj2EEffffjfiS5_IjLj3EEiiiiiiiiiiiliiliiiiil,comdat
.Lfunc_end86:
	.size	_ZL15flash_attn_tileILi64ELi64ELi4ELi2ELb1EEvPKcS1_S1_S1_S1_PKiPfP15HIP_vector_typeIfLj2EEffffjfiS5_IjLj3EEiiiiiiiiiiiliiliiiiil, .Lfunc_end86-_ZL15flash_attn_tileILi64ELi64ELi4ELi2ELb1EEvPKcS1_S1_S1_S1_PKiPfP15HIP_vector_typeIfLj2EEffffjfiS5_IjLj3EEiiiiiiiiiiiliiliiiiil
                                        ; -- End function
	.set _ZL15flash_attn_tileILi64ELi64ELi4ELi2ELb1EEvPKcS1_S1_S1_S1_PKiPfP15HIP_vector_typeIfLj2EEffffjfiS5_IjLj3EEiiiiiiiiiiiliiliiiiil.num_vgpr, max(0, .L_ZL14no_device_codePKciS0_iS0_.num_vgpr)
	.set _ZL15flash_attn_tileILi64ELi64ELi4ELi2ELb1EEvPKcS1_S1_S1_S1_PKiPfP15HIP_vector_typeIfLj2EEffffjfiS5_IjLj3EEiiiiiiiiiiiliiliiiiil.num_agpr, max(0, .L_ZL14no_device_codePKciS0_iS0_.num_agpr)
	.set _ZL15flash_attn_tileILi64ELi64ELi4ELi2ELb1EEvPKcS1_S1_S1_S1_PKiPfP15HIP_vector_typeIfLj2EEffffjfiS5_IjLj3EEiiiiiiiiiiiliiliiiiil.numbered_sgpr, max(33, .L_ZL14no_device_codePKciS0_iS0_.numbered_sgpr)
	.set _ZL15flash_attn_tileILi64ELi64ELi4ELi2ELb1EEvPKcS1_S1_S1_S1_PKiPfP15HIP_vector_typeIfLj2EEffffjfiS5_IjLj3EEiiiiiiiiiiiliiliiiiil.num_named_barrier, max(0, .L_ZL14no_device_codePKciS0_iS0_.num_named_barrier)
	.set _ZL15flash_attn_tileILi64ELi64ELi4ELi2ELb1EEvPKcS1_S1_S1_S1_PKiPfP15HIP_vector_typeIfLj2EEffffjfiS5_IjLj3EEiiiiiiiiiiiliiliiiiil.private_seg_size, 0+max(.L_ZL14no_device_codePKciS0_iS0_.private_seg_size)
	.set _ZL15flash_attn_tileILi64ELi64ELi4ELi2ELb1EEvPKcS1_S1_S1_S1_PKiPfP15HIP_vector_typeIfLj2EEffffjfiS5_IjLj3EEiiiiiiiiiiiliiliiiiil.uses_vcc, or(1, .L_ZL14no_device_codePKciS0_iS0_.uses_vcc)
	.set _ZL15flash_attn_tileILi64ELi64ELi4ELi2ELb1EEvPKcS1_S1_S1_S1_PKiPfP15HIP_vector_typeIfLj2EEffffjfiS5_IjLj3EEiiiiiiiiiiiliiliiiiil.uses_flat_scratch, or(0, .L_ZL14no_device_codePKciS0_iS0_.uses_flat_scratch)
	.set _ZL15flash_attn_tileILi64ELi64ELi4ELi2ELb1EEvPKcS1_S1_S1_S1_PKiPfP15HIP_vector_typeIfLj2EEffffjfiS5_IjLj3EEiiiiiiiiiiiliiliiiiil.has_dyn_sized_stack, or(0, .L_ZL14no_device_codePKciS0_iS0_.has_dyn_sized_stack)
	.set _ZL15flash_attn_tileILi64ELi64ELi4ELi2ELb1EEvPKcS1_S1_S1_S1_PKiPfP15HIP_vector_typeIfLj2EEffffjfiS5_IjLj3EEiiiiiiiiiiiliiliiiiil.has_recursion, or(0, .L_ZL14no_device_codePKciS0_iS0_.has_recursion)
	.set _ZL15flash_attn_tileILi64ELi64ELi4ELi2ELb1EEvPKcS1_S1_S1_S1_PKiPfP15HIP_vector_typeIfLj2EEffffjfiS5_IjLj3EEiiiiiiiiiiiliiliiiiil.has_indirect_call, or(0, .L_ZL14no_device_codePKciS0_iS0_.has_indirect_call)
	.section	.AMDGPU.csdata,"",@progbits
; Kernel info:
; codeLenInByte = 32
; TotalNumSgprs: 36
; NumVgprs: 50
; ScratchSize: 16
; MemoryBound: 0
; FloatMode: 240
; IeeeMode: 1
; LDSByteSize: 0 bytes/workgroup (compile time only)
; SGPRBlocks: 0
; VGPRBlocks: 3
; NumSGPRsForWavesPerEU: 36
; NumVGPRsForWavesPerEU: 50
; NamedBarCnt: 0
; Occupancy: 16
; WaveLimiterHint : 1
; COMPUTE_PGM_RSRC2:SCRATCH_EN: 1
; COMPUTE_PGM_RSRC2:USER_SGPR: 2
; COMPUTE_PGM_RSRC2:TRAP_HANDLER: 0
; COMPUTE_PGM_RSRC2:TGID_X_EN: 1
; COMPUTE_PGM_RSRC2:TGID_Y_EN: 0
; COMPUTE_PGM_RSRC2:TGID_Z_EN: 0
; COMPUTE_PGM_RSRC2:TIDIG_COMP_CNT: 0
	.section	.text._ZL15flash_attn_tileILi64ELi64ELi2ELi2ELb1EEvPKcS1_S1_S1_S1_PKiPfP15HIP_vector_typeIfLj2EEffffjfiS5_IjLj3EEiiiiiiiiiiiliiliiiiil,"axG",@progbits,_ZL15flash_attn_tileILi64ELi64ELi2ELi2ELb1EEvPKcS1_S1_S1_S1_PKiPfP15HIP_vector_typeIfLj2EEffffjfiS5_IjLj3EEiiiiiiiiiiiliiliiiiil,comdat
	.globl	_ZL15flash_attn_tileILi64ELi64ELi2ELi2ELb1EEvPKcS1_S1_S1_S1_PKiPfP15HIP_vector_typeIfLj2EEffffjfiS5_IjLj3EEiiiiiiiiiiiliiliiiiil ; -- Begin function _ZL15flash_attn_tileILi64ELi64ELi2ELi2ELb1EEvPKcS1_S1_S1_S1_PKiPfP15HIP_vector_typeIfLj2EEffffjfiS5_IjLj3EEiiiiiiiiiiiliiliiiiil
	.p2align	8
	.type	_ZL15flash_attn_tileILi64ELi64ELi2ELi2ELb1EEvPKcS1_S1_S1_S1_PKiPfP15HIP_vector_typeIfLj2EEffffjfiS5_IjLj3EEiiiiiiiiiiiliiliiiiil,@function
_ZL15flash_attn_tileILi64ELi64ELi2ELi2ELb1EEvPKcS1_S1_S1_S1_PKiPfP15HIP_vector_typeIfLj2EEffffjfiS5_IjLj3EEiiiiiiiiiiiliiliiiiil: ; @_ZL15flash_attn_tileILi64ELi64ELi2ELi2ELb1EEvPKcS1_S1_S1_S1_PKiPfP15HIP_vector_typeIfLj2EEffffjfiS5_IjLj3EEiiiiiiiiiiiliiliiiiil
; %bb.0:
	s_get_pc_i64 s[2:3]
	s_add_nc_u64 s[2:3], s[2:3], _ZL14no_device_codePKciS0_iS0_@rel64+4
	s_add_nc_u64 s[8:9], s[0:1], 0xd0
	s_mov_b32 s32, 0
	s_swap_pc_i64 s[30:31], s[2:3]
	.section	.rodata,"a",@progbits
	.p2align	6, 0x0
	.amdhsa_kernel _ZL15flash_attn_tileILi64ELi64ELi2ELi2ELb1EEvPKcS1_S1_S1_S1_PKiPfP15HIP_vector_typeIfLj2EEffffjfiS5_IjLj3EEiiiiiiiiiiiliiliiiiil
		.amdhsa_group_segment_fixed_size 0
		.amdhsa_private_segment_fixed_size 16
		.amdhsa_kernarg_size 464
		.amdhsa_user_sgpr_count 2
		.amdhsa_user_sgpr_dispatch_ptr 0
		.amdhsa_user_sgpr_queue_ptr 0
		.amdhsa_user_sgpr_kernarg_segment_ptr 1
		.amdhsa_user_sgpr_dispatch_id 0
		.amdhsa_user_sgpr_kernarg_preload_length 0
		.amdhsa_user_sgpr_kernarg_preload_offset 0
		.amdhsa_user_sgpr_private_segment_size 0
		.amdhsa_wavefront_size32 1
		.amdhsa_uses_dynamic_stack 0
		.amdhsa_enable_private_segment 1
		.amdhsa_system_sgpr_workgroup_id_x 1
		.amdhsa_system_sgpr_workgroup_id_y 0
		.amdhsa_system_sgpr_workgroup_id_z 0
		.amdhsa_system_sgpr_workgroup_info 0
		.amdhsa_system_vgpr_workitem_id 0
		.amdhsa_next_free_vgpr 50
		.amdhsa_next_free_sgpr 34
		.amdhsa_named_barrier_count 0
		.amdhsa_reserve_vcc 1
		.amdhsa_float_round_mode_32 0
		.amdhsa_float_round_mode_16_64 0
		.amdhsa_float_denorm_mode_32 3
		.amdhsa_float_denorm_mode_16_64 3
		.amdhsa_fp16_overflow 0
		.amdhsa_memory_ordered 1
		.amdhsa_forward_progress 1
		.amdhsa_inst_pref_size 1
		.amdhsa_round_robin_scheduling 0
		.amdhsa_exception_fp_ieee_invalid_op 0
		.amdhsa_exception_fp_denorm_src 0
		.amdhsa_exception_fp_ieee_div_zero 0
		.amdhsa_exception_fp_ieee_overflow 0
		.amdhsa_exception_fp_ieee_underflow 0
		.amdhsa_exception_fp_ieee_inexact 0
		.amdhsa_exception_int_div_zero 0
	.end_amdhsa_kernel
	.section	.text._ZL15flash_attn_tileILi64ELi64ELi2ELi2ELb1EEvPKcS1_S1_S1_S1_PKiPfP15HIP_vector_typeIfLj2EEffffjfiS5_IjLj3EEiiiiiiiiiiiliiliiiiil,"axG",@progbits,_ZL15flash_attn_tileILi64ELi64ELi2ELi2ELb1EEvPKcS1_S1_S1_S1_PKiPfP15HIP_vector_typeIfLj2EEffffjfiS5_IjLj3EEiiiiiiiiiiiliiliiiiil,comdat
.Lfunc_end87:
	.size	_ZL15flash_attn_tileILi64ELi64ELi2ELi2ELb1EEvPKcS1_S1_S1_S1_PKiPfP15HIP_vector_typeIfLj2EEffffjfiS5_IjLj3EEiiiiiiiiiiiliiliiiiil, .Lfunc_end87-_ZL15flash_attn_tileILi64ELi64ELi2ELi2ELb1EEvPKcS1_S1_S1_S1_PKiPfP15HIP_vector_typeIfLj2EEffffjfiS5_IjLj3EEiiiiiiiiiiiliiliiiiil
                                        ; -- End function
	.set _ZL15flash_attn_tileILi64ELi64ELi2ELi2ELb1EEvPKcS1_S1_S1_S1_PKiPfP15HIP_vector_typeIfLj2EEffffjfiS5_IjLj3EEiiiiiiiiiiiliiliiiiil.num_vgpr, max(0, .L_ZL14no_device_codePKciS0_iS0_.num_vgpr)
	.set _ZL15flash_attn_tileILi64ELi64ELi2ELi2ELb1EEvPKcS1_S1_S1_S1_PKiPfP15HIP_vector_typeIfLj2EEffffjfiS5_IjLj3EEiiiiiiiiiiiliiliiiiil.num_agpr, max(0, .L_ZL14no_device_codePKciS0_iS0_.num_agpr)
	.set _ZL15flash_attn_tileILi64ELi64ELi2ELi2ELb1EEvPKcS1_S1_S1_S1_PKiPfP15HIP_vector_typeIfLj2EEffffjfiS5_IjLj3EEiiiiiiiiiiiliiliiiiil.numbered_sgpr, max(33, .L_ZL14no_device_codePKciS0_iS0_.numbered_sgpr)
	.set _ZL15flash_attn_tileILi64ELi64ELi2ELi2ELb1EEvPKcS1_S1_S1_S1_PKiPfP15HIP_vector_typeIfLj2EEffffjfiS5_IjLj3EEiiiiiiiiiiiliiliiiiil.num_named_barrier, max(0, .L_ZL14no_device_codePKciS0_iS0_.num_named_barrier)
	.set _ZL15flash_attn_tileILi64ELi64ELi2ELi2ELb1EEvPKcS1_S1_S1_S1_PKiPfP15HIP_vector_typeIfLj2EEffffjfiS5_IjLj3EEiiiiiiiiiiiliiliiiiil.private_seg_size, 0+max(.L_ZL14no_device_codePKciS0_iS0_.private_seg_size)
	.set _ZL15flash_attn_tileILi64ELi64ELi2ELi2ELb1EEvPKcS1_S1_S1_S1_PKiPfP15HIP_vector_typeIfLj2EEffffjfiS5_IjLj3EEiiiiiiiiiiiliiliiiiil.uses_vcc, or(1, .L_ZL14no_device_codePKciS0_iS0_.uses_vcc)
	.set _ZL15flash_attn_tileILi64ELi64ELi2ELi2ELb1EEvPKcS1_S1_S1_S1_PKiPfP15HIP_vector_typeIfLj2EEffffjfiS5_IjLj3EEiiiiiiiiiiiliiliiiiil.uses_flat_scratch, or(0, .L_ZL14no_device_codePKciS0_iS0_.uses_flat_scratch)
	.set _ZL15flash_attn_tileILi64ELi64ELi2ELi2ELb1EEvPKcS1_S1_S1_S1_PKiPfP15HIP_vector_typeIfLj2EEffffjfiS5_IjLj3EEiiiiiiiiiiiliiliiiiil.has_dyn_sized_stack, or(0, .L_ZL14no_device_codePKciS0_iS0_.has_dyn_sized_stack)
	.set _ZL15flash_attn_tileILi64ELi64ELi2ELi2ELb1EEvPKcS1_S1_S1_S1_PKiPfP15HIP_vector_typeIfLj2EEffffjfiS5_IjLj3EEiiiiiiiiiiiliiliiiiil.has_recursion, or(0, .L_ZL14no_device_codePKciS0_iS0_.has_recursion)
	.set _ZL15flash_attn_tileILi64ELi64ELi2ELi2ELb1EEvPKcS1_S1_S1_S1_PKiPfP15HIP_vector_typeIfLj2EEffffjfiS5_IjLj3EEiiiiiiiiiiiliiliiiiil.has_indirect_call, or(0, .L_ZL14no_device_codePKciS0_iS0_.has_indirect_call)
	.section	.AMDGPU.csdata,"",@progbits
; Kernel info:
; codeLenInByte = 32
; TotalNumSgprs: 36
; NumVgprs: 50
; ScratchSize: 16
; MemoryBound: 0
; FloatMode: 240
; IeeeMode: 1
; LDSByteSize: 0 bytes/workgroup (compile time only)
; SGPRBlocks: 0
; VGPRBlocks: 3
; NumSGPRsForWavesPerEU: 36
; NumVGPRsForWavesPerEU: 50
; NamedBarCnt: 0
; Occupancy: 16
; WaveLimiterHint : 1
; COMPUTE_PGM_RSRC2:SCRATCH_EN: 1
; COMPUTE_PGM_RSRC2:USER_SGPR: 2
; COMPUTE_PGM_RSRC2:TRAP_HANDLER: 0
; COMPUTE_PGM_RSRC2:TGID_X_EN: 1
; COMPUTE_PGM_RSRC2:TGID_Y_EN: 0
; COMPUTE_PGM_RSRC2:TGID_Z_EN: 0
; COMPUTE_PGM_RSRC2:TIDIG_COMP_CNT: 0
	.section	.text._ZL15flash_attn_tileILi64ELi64ELi1ELi2ELb1EEvPKcS1_S1_S1_S1_PKiPfP15HIP_vector_typeIfLj2EEffffjfiS5_IjLj3EEiiiiiiiiiiiliiliiiiil,"axG",@progbits,_ZL15flash_attn_tileILi64ELi64ELi1ELi2ELb1EEvPKcS1_S1_S1_S1_PKiPfP15HIP_vector_typeIfLj2EEffffjfiS5_IjLj3EEiiiiiiiiiiiliiliiiiil,comdat
	.globl	_ZL15flash_attn_tileILi64ELi64ELi1ELi2ELb1EEvPKcS1_S1_S1_S1_PKiPfP15HIP_vector_typeIfLj2EEffffjfiS5_IjLj3EEiiiiiiiiiiiliiliiiiil ; -- Begin function _ZL15flash_attn_tileILi64ELi64ELi1ELi2ELb1EEvPKcS1_S1_S1_S1_PKiPfP15HIP_vector_typeIfLj2EEffffjfiS5_IjLj3EEiiiiiiiiiiiliiliiiiil
	.p2align	8
	.type	_ZL15flash_attn_tileILi64ELi64ELi1ELi2ELb1EEvPKcS1_S1_S1_S1_PKiPfP15HIP_vector_typeIfLj2EEffffjfiS5_IjLj3EEiiiiiiiiiiiliiliiiiil,@function
_ZL15flash_attn_tileILi64ELi64ELi1ELi2ELb1EEvPKcS1_S1_S1_S1_PKiPfP15HIP_vector_typeIfLj2EEffffjfiS5_IjLj3EEiiiiiiiiiiiliiliiiiil: ; @_ZL15flash_attn_tileILi64ELi64ELi1ELi2ELb1EEvPKcS1_S1_S1_S1_PKiPfP15HIP_vector_typeIfLj2EEffffjfiS5_IjLj3EEiiiiiiiiiiiliiliiiiil
; %bb.0:
	s_get_pc_i64 s[2:3]
	s_add_nc_u64 s[2:3], s[2:3], _ZL14no_device_codePKciS0_iS0_@rel64+4
	s_add_nc_u64 s[8:9], s[0:1], 0xd0
	s_mov_b32 s32, 0
	s_swap_pc_i64 s[30:31], s[2:3]
	.section	.rodata,"a",@progbits
	.p2align	6, 0x0
	.amdhsa_kernel _ZL15flash_attn_tileILi64ELi64ELi1ELi2ELb1EEvPKcS1_S1_S1_S1_PKiPfP15HIP_vector_typeIfLj2EEffffjfiS5_IjLj3EEiiiiiiiiiiiliiliiiiil
		.amdhsa_group_segment_fixed_size 0
		.amdhsa_private_segment_fixed_size 16
		.amdhsa_kernarg_size 464
		.amdhsa_user_sgpr_count 2
		.amdhsa_user_sgpr_dispatch_ptr 0
		.amdhsa_user_sgpr_queue_ptr 0
		.amdhsa_user_sgpr_kernarg_segment_ptr 1
		.amdhsa_user_sgpr_dispatch_id 0
		.amdhsa_user_sgpr_kernarg_preload_length 0
		.amdhsa_user_sgpr_kernarg_preload_offset 0
		.amdhsa_user_sgpr_private_segment_size 0
		.amdhsa_wavefront_size32 1
		.amdhsa_uses_dynamic_stack 0
		.amdhsa_enable_private_segment 1
		.amdhsa_system_sgpr_workgroup_id_x 1
		.amdhsa_system_sgpr_workgroup_id_y 0
		.amdhsa_system_sgpr_workgroup_id_z 0
		.amdhsa_system_sgpr_workgroup_info 0
		.amdhsa_system_vgpr_workitem_id 0
		.amdhsa_next_free_vgpr 50
		.amdhsa_next_free_sgpr 34
		.amdhsa_named_barrier_count 0
		.amdhsa_reserve_vcc 1
		.amdhsa_float_round_mode_32 0
		.amdhsa_float_round_mode_16_64 0
		.amdhsa_float_denorm_mode_32 3
		.amdhsa_float_denorm_mode_16_64 3
		.amdhsa_fp16_overflow 0
		.amdhsa_memory_ordered 1
		.amdhsa_forward_progress 1
		.amdhsa_inst_pref_size 1
		.amdhsa_round_robin_scheduling 0
		.amdhsa_exception_fp_ieee_invalid_op 0
		.amdhsa_exception_fp_denorm_src 0
		.amdhsa_exception_fp_ieee_div_zero 0
		.amdhsa_exception_fp_ieee_overflow 0
		.amdhsa_exception_fp_ieee_underflow 0
		.amdhsa_exception_fp_ieee_inexact 0
		.amdhsa_exception_int_div_zero 0
	.end_amdhsa_kernel
	.section	.text._ZL15flash_attn_tileILi64ELi64ELi1ELi2ELb1EEvPKcS1_S1_S1_S1_PKiPfP15HIP_vector_typeIfLj2EEffffjfiS5_IjLj3EEiiiiiiiiiiiliiliiiiil,"axG",@progbits,_ZL15flash_attn_tileILi64ELi64ELi1ELi2ELb1EEvPKcS1_S1_S1_S1_PKiPfP15HIP_vector_typeIfLj2EEffffjfiS5_IjLj3EEiiiiiiiiiiiliiliiiiil,comdat
.Lfunc_end88:
	.size	_ZL15flash_attn_tileILi64ELi64ELi1ELi2ELb1EEvPKcS1_S1_S1_S1_PKiPfP15HIP_vector_typeIfLj2EEffffjfiS5_IjLj3EEiiiiiiiiiiiliiliiiiil, .Lfunc_end88-_ZL15flash_attn_tileILi64ELi64ELi1ELi2ELb1EEvPKcS1_S1_S1_S1_PKiPfP15HIP_vector_typeIfLj2EEffffjfiS5_IjLj3EEiiiiiiiiiiiliiliiiiil
                                        ; -- End function
	.set _ZL15flash_attn_tileILi64ELi64ELi1ELi2ELb1EEvPKcS1_S1_S1_S1_PKiPfP15HIP_vector_typeIfLj2EEffffjfiS5_IjLj3EEiiiiiiiiiiiliiliiiiil.num_vgpr, max(0, .L_ZL14no_device_codePKciS0_iS0_.num_vgpr)
	.set _ZL15flash_attn_tileILi64ELi64ELi1ELi2ELb1EEvPKcS1_S1_S1_S1_PKiPfP15HIP_vector_typeIfLj2EEffffjfiS5_IjLj3EEiiiiiiiiiiiliiliiiiil.num_agpr, max(0, .L_ZL14no_device_codePKciS0_iS0_.num_agpr)
	.set _ZL15flash_attn_tileILi64ELi64ELi1ELi2ELb1EEvPKcS1_S1_S1_S1_PKiPfP15HIP_vector_typeIfLj2EEffffjfiS5_IjLj3EEiiiiiiiiiiiliiliiiiil.numbered_sgpr, max(33, .L_ZL14no_device_codePKciS0_iS0_.numbered_sgpr)
	.set _ZL15flash_attn_tileILi64ELi64ELi1ELi2ELb1EEvPKcS1_S1_S1_S1_PKiPfP15HIP_vector_typeIfLj2EEffffjfiS5_IjLj3EEiiiiiiiiiiiliiliiiiil.num_named_barrier, max(0, .L_ZL14no_device_codePKciS0_iS0_.num_named_barrier)
	.set _ZL15flash_attn_tileILi64ELi64ELi1ELi2ELb1EEvPKcS1_S1_S1_S1_PKiPfP15HIP_vector_typeIfLj2EEffffjfiS5_IjLj3EEiiiiiiiiiiiliiliiiiil.private_seg_size, 0+max(.L_ZL14no_device_codePKciS0_iS0_.private_seg_size)
	.set _ZL15flash_attn_tileILi64ELi64ELi1ELi2ELb1EEvPKcS1_S1_S1_S1_PKiPfP15HIP_vector_typeIfLj2EEffffjfiS5_IjLj3EEiiiiiiiiiiiliiliiiiil.uses_vcc, or(1, .L_ZL14no_device_codePKciS0_iS0_.uses_vcc)
	.set _ZL15flash_attn_tileILi64ELi64ELi1ELi2ELb1EEvPKcS1_S1_S1_S1_PKiPfP15HIP_vector_typeIfLj2EEffffjfiS5_IjLj3EEiiiiiiiiiiiliiliiiiil.uses_flat_scratch, or(0, .L_ZL14no_device_codePKciS0_iS0_.uses_flat_scratch)
	.set _ZL15flash_attn_tileILi64ELi64ELi1ELi2ELb1EEvPKcS1_S1_S1_S1_PKiPfP15HIP_vector_typeIfLj2EEffffjfiS5_IjLj3EEiiiiiiiiiiiliiliiiiil.has_dyn_sized_stack, or(0, .L_ZL14no_device_codePKciS0_iS0_.has_dyn_sized_stack)
	.set _ZL15flash_attn_tileILi64ELi64ELi1ELi2ELb1EEvPKcS1_S1_S1_S1_PKiPfP15HIP_vector_typeIfLj2EEffffjfiS5_IjLj3EEiiiiiiiiiiiliiliiiiil.has_recursion, or(0, .L_ZL14no_device_codePKciS0_iS0_.has_recursion)
	.set _ZL15flash_attn_tileILi64ELi64ELi1ELi2ELb1EEvPKcS1_S1_S1_S1_PKiPfP15HIP_vector_typeIfLj2EEffffjfiS5_IjLj3EEiiiiiiiiiiiliiliiiiil.has_indirect_call, or(0, .L_ZL14no_device_codePKciS0_iS0_.has_indirect_call)
	.section	.AMDGPU.csdata,"",@progbits
; Kernel info:
; codeLenInByte = 32
; TotalNumSgprs: 36
; NumVgprs: 50
; ScratchSize: 16
; MemoryBound: 0
; FloatMode: 240
; IeeeMode: 1
; LDSByteSize: 0 bytes/workgroup (compile time only)
; SGPRBlocks: 0
; VGPRBlocks: 3
; NumSGPRsForWavesPerEU: 36
; NumVGPRsForWavesPerEU: 50
; NamedBarCnt: 0
; Occupancy: 16
; WaveLimiterHint : 1
; COMPUTE_PGM_RSRC2:SCRATCH_EN: 1
; COMPUTE_PGM_RSRC2:USER_SGPR: 2
; COMPUTE_PGM_RSRC2:TRAP_HANDLER: 0
; COMPUTE_PGM_RSRC2:TGID_X_EN: 1
; COMPUTE_PGM_RSRC2:TGID_Y_EN: 0
; COMPUTE_PGM_RSRC2:TGID_Z_EN: 0
; COMPUTE_PGM_RSRC2:TIDIG_COMP_CNT: 0
	.section	.text._ZL15flash_attn_tileILi64ELi64ELi64ELi1ELb1EEvPKcS1_S1_S1_S1_PKiPfP15HIP_vector_typeIfLj2EEffffjfiS5_IjLj3EEiiiiiiiiiiiliiliiiiil,"axG",@progbits,_ZL15flash_attn_tileILi64ELi64ELi64ELi1ELb1EEvPKcS1_S1_S1_S1_PKiPfP15HIP_vector_typeIfLj2EEffffjfiS5_IjLj3EEiiiiiiiiiiiliiliiiiil,comdat
	.globl	_ZL15flash_attn_tileILi64ELi64ELi64ELi1ELb1EEvPKcS1_S1_S1_S1_PKiPfP15HIP_vector_typeIfLj2EEffffjfiS5_IjLj3EEiiiiiiiiiiiliiliiiiil ; -- Begin function _ZL15flash_attn_tileILi64ELi64ELi64ELi1ELb1EEvPKcS1_S1_S1_S1_PKiPfP15HIP_vector_typeIfLj2EEffffjfiS5_IjLj3EEiiiiiiiiiiiliiliiiiil
	.p2align	8
	.type	_ZL15flash_attn_tileILi64ELi64ELi64ELi1ELb1EEvPKcS1_S1_S1_S1_PKiPfP15HIP_vector_typeIfLj2EEffffjfiS5_IjLj3EEiiiiiiiiiiiliiliiiiil,@function
_ZL15flash_attn_tileILi64ELi64ELi64ELi1ELb1EEvPKcS1_S1_S1_S1_PKiPfP15HIP_vector_typeIfLj2EEffffjfiS5_IjLj3EEiiiiiiiiiiiliiliiiiil: ; @_ZL15flash_attn_tileILi64ELi64ELi64ELi1ELb1EEvPKcS1_S1_S1_S1_PKiPfP15HIP_vector_typeIfLj2EEffffjfiS5_IjLj3EEiiiiiiiiiiiliiliiiiil
; %bb.0:
	s_get_pc_i64 s[2:3]
	s_add_nc_u64 s[2:3], s[2:3], _ZL14no_device_codePKciS0_iS0_@rel64+4
	s_add_nc_u64 s[8:9], s[0:1], 0xd0
	s_mov_b32 s32, 0
	s_swap_pc_i64 s[30:31], s[2:3]
	.section	.rodata,"a",@progbits
	.p2align	6, 0x0
	.amdhsa_kernel _ZL15flash_attn_tileILi64ELi64ELi64ELi1ELb1EEvPKcS1_S1_S1_S1_PKiPfP15HIP_vector_typeIfLj2EEffffjfiS5_IjLj3EEiiiiiiiiiiiliiliiiiil
		.amdhsa_group_segment_fixed_size 0
		.amdhsa_private_segment_fixed_size 16
		.amdhsa_kernarg_size 464
		.amdhsa_user_sgpr_count 2
		.amdhsa_user_sgpr_dispatch_ptr 0
		.amdhsa_user_sgpr_queue_ptr 0
		.amdhsa_user_sgpr_kernarg_segment_ptr 1
		.amdhsa_user_sgpr_dispatch_id 0
		.amdhsa_user_sgpr_kernarg_preload_length 0
		.amdhsa_user_sgpr_kernarg_preload_offset 0
		.amdhsa_user_sgpr_private_segment_size 0
		.amdhsa_wavefront_size32 1
		.amdhsa_uses_dynamic_stack 0
		.amdhsa_enable_private_segment 1
		.amdhsa_system_sgpr_workgroup_id_x 1
		.amdhsa_system_sgpr_workgroup_id_y 0
		.amdhsa_system_sgpr_workgroup_id_z 0
		.amdhsa_system_sgpr_workgroup_info 0
		.amdhsa_system_vgpr_workitem_id 0
		.amdhsa_next_free_vgpr 50
		.amdhsa_next_free_sgpr 34
		.amdhsa_named_barrier_count 0
		.amdhsa_reserve_vcc 1
		.amdhsa_float_round_mode_32 0
		.amdhsa_float_round_mode_16_64 0
		.amdhsa_float_denorm_mode_32 3
		.amdhsa_float_denorm_mode_16_64 3
		.amdhsa_fp16_overflow 0
		.amdhsa_memory_ordered 1
		.amdhsa_forward_progress 1
		.amdhsa_inst_pref_size 1
		.amdhsa_round_robin_scheduling 0
		.amdhsa_exception_fp_ieee_invalid_op 0
		.amdhsa_exception_fp_denorm_src 0
		.amdhsa_exception_fp_ieee_div_zero 0
		.amdhsa_exception_fp_ieee_overflow 0
		.amdhsa_exception_fp_ieee_underflow 0
		.amdhsa_exception_fp_ieee_inexact 0
		.amdhsa_exception_int_div_zero 0
	.end_amdhsa_kernel
	.section	.text._ZL15flash_attn_tileILi64ELi64ELi64ELi1ELb1EEvPKcS1_S1_S1_S1_PKiPfP15HIP_vector_typeIfLj2EEffffjfiS5_IjLj3EEiiiiiiiiiiiliiliiiiil,"axG",@progbits,_ZL15flash_attn_tileILi64ELi64ELi64ELi1ELb1EEvPKcS1_S1_S1_S1_PKiPfP15HIP_vector_typeIfLj2EEffffjfiS5_IjLj3EEiiiiiiiiiiiliiliiiiil,comdat
.Lfunc_end89:
	.size	_ZL15flash_attn_tileILi64ELi64ELi64ELi1ELb1EEvPKcS1_S1_S1_S1_PKiPfP15HIP_vector_typeIfLj2EEffffjfiS5_IjLj3EEiiiiiiiiiiiliiliiiiil, .Lfunc_end89-_ZL15flash_attn_tileILi64ELi64ELi64ELi1ELb1EEvPKcS1_S1_S1_S1_PKiPfP15HIP_vector_typeIfLj2EEffffjfiS5_IjLj3EEiiiiiiiiiiiliiliiiiil
                                        ; -- End function
	.set _ZL15flash_attn_tileILi64ELi64ELi64ELi1ELb1EEvPKcS1_S1_S1_S1_PKiPfP15HIP_vector_typeIfLj2EEffffjfiS5_IjLj3EEiiiiiiiiiiiliiliiiiil.num_vgpr, max(0, .L_ZL14no_device_codePKciS0_iS0_.num_vgpr)
	.set _ZL15flash_attn_tileILi64ELi64ELi64ELi1ELb1EEvPKcS1_S1_S1_S1_PKiPfP15HIP_vector_typeIfLj2EEffffjfiS5_IjLj3EEiiiiiiiiiiiliiliiiiil.num_agpr, max(0, .L_ZL14no_device_codePKciS0_iS0_.num_agpr)
	.set _ZL15flash_attn_tileILi64ELi64ELi64ELi1ELb1EEvPKcS1_S1_S1_S1_PKiPfP15HIP_vector_typeIfLj2EEffffjfiS5_IjLj3EEiiiiiiiiiiiliiliiiiil.numbered_sgpr, max(33, .L_ZL14no_device_codePKciS0_iS0_.numbered_sgpr)
	.set _ZL15flash_attn_tileILi64ELi64ELi64ELi1ELb1EEvPKcS1_S1_S1_S1_PKiPfP15HIP_vector_typeIfLj2EEffffjfiS5_IjLj3EEiiiiiiiiiiiliiliiiiil.num_named_barrier, max(0, .L_ZL14no_device_codePKciS0_iS0_.num_named_barrier)
	.set _ZL15flash_attn_tileILi64ELi64ELi64ELi1ELb1EEvPKcS1_S1_S1_S1_PKiPfP15HIP_vector_typeIfLj2EEffffjfiS5_IjLj3EEiiiiiiiiiiiliiliiiiil.private_seg_size, 0+max(.L_ZL14no_device_codePKciS0_iS0_.private_seg_size)
	.set _ZL15flash_attn_tileILi64ELi64ELi64ELi1ELb1EEvPKcS1_S1_S1_S1_PKiPfP15HIP_vector_typeIfLj2EEffffjfiS5_IjLj3EEiiiiiiiiiiiliiliiiiil.uses_vcc, or(1, .L_ZL14no_device_codePKciS0_iS0_.uses_vcc)
	.set _ZL15flash_attn_tileILi64ELi64ELi64ELi1ELb1EEvPKcS1_S1_S1_S1_PKiPfP15HIP_vector_typeIfLj2EEffffjfiS5_IjLj3EEiiiiiiiiiiiliiliiiiil.uses_flat_scratch, or(0, .L_ZL14no_device_codePKciS0_iS0_.uses_flat_scratch)
	.set _ZL15flash_attn_tileILi64ELi64ELi64ELi1ELb1EEvPKcS1_S1_S1_S1_PKiPfP15HIP_vector_typeIfLj2EEffffjfiS5_IjLj3EEiiiiiiiiiiiliiliiiiil.has_dyn_sized_stack, or(0, .L_ZL14no_device_codePKciS0_iS0_.has_dyn_sized_stack)
	.set _ZL15flash_attn_tileILi64ELi64ELi64ELi1ELb1EEvPKcS1_S1_S1_S1_PKiPfP15HIP_vector_typeIfLj2EEffffjfiS5_IjLj3EEiiiiiiiiiiiliiliiiiil.has_recursion, or(0, .L_ZL14no_device_codePKciS0_iS0_.has_recursion)
	.set _ZL15flash_attn_tileILi64ELi64ELi64ELi1ELb1EEvPKcS1_S1_S1_S1_PKiPfP15HIP_vector_typeIfLj2EEffffjfiS5_IjLj3EEiiiiiiiiiiiliiliiiiil.has_indirect_call, or(0, .L_ZL14no_device_codePKciS0_iS0_.has_indirect_call)
	.section	.AMDGPU.csdata,"",@progbits
; Kernel info:
; codeLenInByte = 32
; TotalNumSgprs: 36
; NumVgprs: 50
; ScratchSize: 16
; MemoryBound: 0
; FloatMode: 240
; IeeeMode: 1
; LDSByteSize: 0 bytes/workgroup (compile time only)
; SGPRBlocks: 0
; VGPRBlocks: 3
; NumSGPRsForWavesPerEU: 36
; NumVGPRsForWavesPerEU: 50
; NamedBarCnt: 0
; Occupancy: 16
; WaveLimiterHint : 1
; COMPUTE_PGM_RSRC2:SCRATCH_EN: 1
; COMPUTE_PGM_RSRC2:USER_SGPR: 2
; COMPUTE_PGM_RSRC2:TRAP_HANDLER: 0
; COMPUTE_PGM_RSRC2:TGID_X_EN: 1
; COMPUTE_PGM_RSRC2:TGID_Y_EN: 0
; COMPUTE_PGM_RSRC2:TGID_Z_EN: 0
; COMPUTE_PGM_RSRC2:TIDIG_COMP_CNT: 0
	.section	.text._ZL15flash_attn_tileILi64ELi64ELi32ELi1ELb1EEvPKcS1_S1_S1_S1_PKiPfP15HIP_vector_typeIfLj2EEffffjfiS5_IjLj3EEiiiiiiiiiiiliiliiiiil,"axG",@progbits,_ZL15flash_attn_tileILi64ELi64ELi32ELi1ELb1EEvPKcS1_S1_S1_S1_PKiPfP15HIP_vector_typeIfLj2EEffffjfiS5_IjLj3EEiiiiiiiiiiiliiliiiiil,comdat
	.globl	_ZL15flash_attn_tileILi64ELi64ELi32ELi1ELb1EEvPKcS1_S1_S1_S1_PKiPfP15HIP_vector_typeIfLj2EEffffjfiS5_IjLj3EEiiiiiiiiiiiliiliiiiil ; -- Begin function _ZL15flash_attn_tileILi64ELi64ELi32ELi1ELb1EEvPKcS1_S1_S1_S1_PKiPfP15HIP_vector_typeIfLj2EEffffjfiS5_IjLj3EEiiiiiiiiiiiliiliiiiil
	.p2align	8
	.type	_ZL15flash_attn_tileILi64ELi64ELi32ELi1ELb1EEvPKcS1_S1_S1_S1_PKiPfP15HIP_vector_typeIfLj2EEffffjfiS5_IjLj3EEiiiiiiiiiiiliiliiiiil,@function
_ZL15flash_attn_tileILi64ELi64ELi32ELi1ELb1EEvPKcS1_S1_S1_S1_PKiPfP15HIP_vector_typeIfLj2EEffffjfiS5_IjLj3EEiiiiiiiiiiiliiliiiiil: ; @_ZL15flash_attn_tileILi64ELi64ELi32ELi1ELb1EEvPKcS1_S1_S1_S1_PKiPfP15HIP_vector_typeIfLj2EEffffjfiS5_IjLj3EEiiiiiiiiiiiliiliiiiil
; %bb.0:
	s_get_pc_i64 s[2:3]
	s_add_nc_u64 s[2:3], s[2:3], _ZL14no_device_codePKciS0_iS0_@rel64+4
	s_add_nc_u64 s[8:9], s[0:1], 0xd0
	s_mov_b32 s32, 0
	s_swap_pc_i64 s[30:31], s[2:3]
	.section	.rodata,"a",@progbits
	.p2align	6, 0x0
	.amdhsa_kernel _ZL15flash_attn_tileILi64ELi64ELi32ELi1ELb1EEvPKcS1_S1_S1_S1_PKiPfP15HIP_vector_typeIfLj2EEffffjfiS5_IjLj3EEiiiiiiiiiiiliiliiiiil
		.amdhsa_group_segment_fixed_size 0
		.amdhsa_private_segment_fixed_size 16
		.amdhsa_kernarg_size 464
		.amdhsa_user_sgpr_count 2
		.amdhsa_user_sgpr_dispatch_ptr 0
		.amdhsa_user_sgpr_queue_ptr 0
		.amdhsa_user_sgpr_kernarg_segment_ptr 1
		.amdhsa_user_sgpr_dispatch_id 0
		.amdhsa_user_sgpr_kernarg_preload_length 0
		.amdhsa_user_sgpr_kernarg_preload_offset 0
		.amdhsa_user_sgpr_private_segment_size 0
		.amdhsa_wavefront_size32 1
		.amdhsa_uses_dynamic_stack 0
		.amdhsa_enable_private_segment 1
		.amdhsa_system_sgpr_workgroup_id_x 1
		.amdhsa_system_sgpr_workgroup_id_y 0
		.amdhsa_system_sgpr_workgroup_id_z 0
		.amdhsa_system_sgpr_workgroup_info 0
		.amdhsa_system_vgpr_workitem_id 0
		.amdhsa_next_free_vgpr 50
		.amdhsa_next_free_sgpr 34
		.amdhsa_named_barrier_count 0
		.amdhsa_reserve_vcc 1
		.amdhsa_float_round_mode_32 0
		.amdhsa_float_round_mode_16_64 0
		.amdhsa_float_denorm_mode_32 3
		.amdhsa_float_denorm_mode_16_64 3
		.amdhsa_fp16_overflow 0
		.amdhsa_memory_ordered 1
		.amdhsa_forward_progress 1
		.amdhsa_inst_pref_size 1
		.amdhsa_round_robin_scheduling 0
		.amdhsa_exception_fp_ieee_invalid_op 0
		.amdhsa_exception_fp_denorm_src 0
		.amdhsa_exception_fp_ieee_div_zero 0
		.amdhsa_exception_fp_ieee_overflow 0
		.amdhsa_exception_fp_ieee_underflow 0
		.amdhsa_exception_fp_ieee_inexact 0
		.amdhsa_exception_int_div_zero 0
	.end_amdhsa_kernel
	.section	.text._ZL15flash_attn_tileILi64ELi64ELi32ELi1ELb1EEvPKcS1_S1_S1_S1_PKiPfP15HIP_vector_typeIfLj2EEffffjfiS5_IjLj3EEiiiiiiiiiiiliiliiiiil,"axG",@progbits,_ZL15flash_attn_tileILi64ELi64ELi32ELi1ELb1EEvPKcS1_S1_S1_S1_PKiPfP15HIP_vector_typeIfLj2EEffffjfiS5_IjLj3EEiiiiiiiiiiiliiliiiiil,comdat
.Lfunc_end90:
	.size	_ZL15flash_attn_tileILi64ELi64ELi32ELi1ELb1EEvPKcS1_S1_S1_S1_PKiPfP15HIP_vector_typeIfLj2EEffffjfiS5_IjLj3EEiiiiiiiiiiiliiliiiiil, .Lfunc_end90-_ZL15flash_attn_tileILi64ELi64ELi32ELi1ELb1EEvPKcS1_S1_S1_S1_PKiPfP15HIP_vector_typeIfLj2EEffffjfiS5_IjLj3EEiiiiiiiiiiiliiliiiiil
                                        ; -- End function
	.set _ZL15flash_attn_tileILi64ELi64ELi32ELi1ELb1EEvPKcS1_S1_S1_S1_PKiPfP15HIP_vector_typeIfLj2EEffffjfiS5_IjLj3EEiiiiiiiiiiiliiliiiiil.num_vgpr, max(0, .L_ZL14no_device_codePKciS0_iS0_.num_vgpr)
	.set _ZL15flash_attn_tileILi64ELi64ELi32ELi1ELb1EEvPKcS1_S1_S1_S1_PKiPfP15HIP_vector_typeIfLj2EEffffjfiS5_IjLj3EEiiiiiiiiiiiliiliiiiil.num_agpr, max(0, .L_ZL14no_device_codePKciS0_iS0_.num_agpr)
	.set _ZL15flash_attn_tileILi64ELi64ELi32ELi1ELb1EEvPKcS1_S1_S1_S1_PKiPfP15HIP_vector_typeIfLj2EEffffjfiS5_IjLj3EEiiiiiiiiiiiliiliiiiil.numbered_sgpr, max(33, .L_ZL14no_device_codePKciS0_iS0_.numbered_sgpr)
	.set _ZL15flash_attn_tileILi64ELi64ELi32ELi1ELb1EEvPKcS1_S1_S1_S1_PKiPfP15HIP_vector_typeIfLj2EEffffjfiS5_IjLj3EEiiiiiiiiiiiliiliiiiil.num_named_barrier, max(0, .L_ZL14no_device_codePKciS0_iS0_.num_named_barrier)
	.set _ZL15flash_attn_tileILi64ELi64ELi32ELi1ELb1EEvPKcS1_S1_S1_S1_PKiPfP15HIP_vector_typeIfLj2EEffffjfiS5_IjLj3EEiiiiiiiiiiiliiliiiiil.private_seg_size, 0+max(.L_ZL14no_device_codePKciS0_iS0_.private_seg_size)
	.set _ZL15flash_attn_tileILi64ELi64ELi32ELi1ELb1EEvPKcS1_S1_S1_S1_PKiPfP15HIP_vector_typeIfLj2EEffffjfiS5_IjLj3EEiiiiiiiiiiiliiliiiiil.uses_vcc, or(1, .L_ZL14no_device_codePKciS0_iS0_.uses_vcc)
	.set _ZL15flash_attn_tileILi64ELi64ELi32ELi1ELb1EEvPKcS1_S1_S1_S1_PKiPfP15HIP_vector_typeIfLj2EEffffjfiS5_IjLj3EEiiiiiiiiiiiliiliiiiil.uses_flat_scratch, or(0, .L_ZL14no_device_codePKciS0_iS0_.uses_flat_scratch)
	.set _ZL15flash_attn_tileILi64ELi64ELi32ELi1ELb1EEvPKcS1_S1_S1_S1_PKiPfP15HIP_vector_typeIfLj2EEffffjfiS5_IjLj3EEiiiiiiiiiiiliiliiiiil.has_dyn_sized_stack, or(0, .L_ZL14no_device_codePKciS0_iS0_.has_dyn_sized_stack)
	.set _ZL15flash_attn_tileILi64ELi64ELi32ELi1ELb1EEvPKcS1_S1_S1_S1_PKiPfP15HIP_vector_typeIfLj2EEffffjfiS5_IjLj3EEiiiiiiiiiiiliiliiiiil.has_recursion, or(0, .L_ZL14no_device_codePKciS0_iS0_.has_recursion)
	.set _ZL15flash_attn_tileILi64ELi64ELi32ELi1ELb1EEvPKcS1_S1_S1_S1_PKiPfP15HIP_vector_typeIfLj2EEffffjfiS5_IjLj3EEiiiiiiiiiiiliiliiiiil.has_indirect_call, or(0, .L_ZL14no_device_codePKciS0_iS0_.has_indirect_call)
	.section	.AMDGPU.csdata,"",@progbits
; Kernel info:
; codeLenInByte = 32
; TotalNumSgprs: 36
; NumVgprs: 50
; ScratchSize: 16
; MemoryBound: 0
; FloatMode: 240
; IeeeMode: 1
; LDSByteSize: 0 bytes/workgroup (compile time only)
; SGPRBlocks: 0
; VGPRBlocks: 3
; NumSGPRsForWavesPerEU: 36
; NumVGPRsForWavesPerEU: 50
; NamedBarCnt: 0
; Occupancy: 16
; WaveLimiterHint : 1
; COMPUTE_PGM_RSRC2:SCRATCH_EN: 1
; COMPUTE_PGM_RSRC2:USER_SGPR: 2
; COMPUTE_PGM_RSRC2:TRAP_HANDLER: 0
; COMPUTE_PGM_RSRC2:TGID_X_EN: 1
; COMPUTE_PGM_RSRC2:TGID_Y_EN: 0
; COMPUTE_PGM_RSRC2:TGID_Z_EN: 0
; COMPUTE_PGM_RSRC2:TIDIG_COMP_CNT: 0
	.section	.text._ZL15flash_attn_tileILi64ELi64ELi16ELi1ELb1EEvPKcS1_S1_S1_S1_PKiPfP15HIP_vector_typeIfLj2EEffffjfiS5_IjLj3EEiiiiiiiiiiiliiliiiiil,"axG",@progbits,_ZL15flash_attn_tileILi64ELi64ELi16ELi1ELb1EEvPKcS1_S1_S1_S1_PKiPfP15HIP_vector_typeIfLj2EEffffjfiS5_IjLj3EEiiiiiiiiiiiliiliiiiil,comdat
	.globl	_ZL15flash_attn_tileILi64ELi64ELi16ELi1ELb1EEvPKcS1_S1_S1_S1_PKiPfP15HIP_vector_typeIfLj2EEffffjfiS5_IjLj3EEiiiiiiiiiiiliiliiiiil ; -- Begin function _ZL15flash_attn_tileILi64ELi64ELi16ELi1ELb1EEvPKcS1_S1_S1_S1_PKiPfP15HIP_vector_typeIfLj2EEffffjfiS5_IjLj3EEiiiiiiiiiiiliiliiiiil
	.p2align	8
	.type	_ZL15flash_attn_tileILi64ELi64ELi16ELi1ELb1EEvPKcS1_S1_S1_S1_PKiPfP15HIP_vector_typeIfLj2EEffffjfiS5_IjLj3EEiiiiiiiiiiiliiliiiiil,@function
_ZL15flash_attn_tileILi64ELi64ELi16ELi1ELb1EEvPKcS1_S1_S1_S1_PKiPfP15HIP_vector_typeIfLj2EEffffjfiS5_IjLj3EEiiiiiiiiiiiliiliiiiil: ; @_ZL15flash_attn_tileILi64ELi64ELi16ELi1ELb1EEvPKcS1_S1_S1_S1_PKiPfP15HIP_vector_typeIfLj2EEffffjfiS5_IjLj3EEiiiiiiiiiiiliiliiiiil
; %bb.0:
	s_get_pc_i64 s[2:3]
	s_add_nc_u64 s[2:3], s[2:3], _ZL14no_device_codePKciS0_iS0_@rel64+4
	s_add_nc_u64 s[8:9], s[0:1], 0xd0
	s_mov_b32 s32, 0
	s_swap_pc_i64 s[30:31], s[2:3]
	.section	.rodata,"a",@progbits
	.p2align	6, 0x0
	.amdhsa_kernel _ZL15flash_attn_tileILi64ELi64ELi16ELi1ELb1EEvPKcS1_S1_S1_S1_PKiPfP15HIP_vector_typeIfLj2EEffffjfiS5_IjLj3EEiiiiiiiiiiiliiliiiiil
		.amdhsa_group_segment_fixed_size 0
		.amdhsa_private_segment_fixed_size 16
		.amdhsa_kernarg_size 464
		.amdhsa_user_sgpr_count 2
		.amdhsa_user_sgpr_dispatch_ptr 0
		.amdhsa_user_sgpr_queue_ptr 0
		.amdhsa_user_sgpr_kernarg_segment_ptr 1
		.amdhsa_user_sgpr_dispatch_id 0
		.amdhsa_user_sgpr_kernarg_preload_length 0
		.amdhsa_user_sgpr_kernarg_preload_offset 0
		.amdhsa_user_sgpr_private_segment_size 0
		.amdhsa_wavefront_size32 1
		.amdhsa_uses_dynamic_stack 0
		.amdhsa_enable_private_segment 1
		.amdhsa_system_sgpr_workgroup_id_x 1
		.amdhsa_system_sgpr_workgroup_id_y 0
		.amdhsa_system_sgpr_workgroup_id_z 0
		.amdhsa_system_sgpr_workgroup_info 0
		.amdhsa_system_vgpr_workitem_id 0
		.amdhsa_next_free_vgpr 50
		.amdhsa_next_free_sgpr 34
		.amdhsa_named_barrier_count 0
		.amdhsa_reserve_vcc 1
		.amdhsa_float_round_mode_32 0
		.amdhsa_float_round_mode_16_64 0
		.amdhsa_float_denorm_mode_32 3
		.amdhsa_float_denorm_mode_16_64 3
		.amdhsa_fp16_overflow 0
		.amdhsa_memory_ordered 1
		.amdhsa_forward_progress 1
		.amdhsa_inst_pref_size 1
		.amdhsa_round_robin_scheduling 0
		.amdhsa_exception_fp_ieee_invalid_op 0
		.amdhsa_exception_fp_denorm_src 0
		.amdhsa_exception_fp_ieee_div_zero 0
		.amdhsa_exception_fp_ieee_overflow 0
		.amdhsa_exception_fp_ieee_underflow 0
		.amdhsa_exception_fp_ieee_inexact 0
		.amdhsa_exception_int_div_zero 0
	.end_amdhsa_kernel
	.section	.text._ZL15flash_attn_tileILi64ELi64ELi16ELi1ELb1EEvPKcS1_S1_S1_S1_PKiPfP15HIP_vector_typeIfLj2EEffffjfiS5_IjLj3EEiiiiiiiiiiiliiliiiiil,"axG",@progbits,_ZL15flash_attn_tileILi64ELi64ELi16ELi1ELb1EEvPKcS1_S1_S1_S1_PKiPfP15HIP_vector_typeIfLj2EEffffjfiS5_IjLj3EEiiiiiiiiiiiliiliiiiil,comdat
.Lfunc_end91:
	.size	_ZL15flash_attn_tileILi64ELi64ELi16ELi1ELb1EEvPKcS1_S1_S1_S1_PKiPfP15HIP_vector_typeIfLj2EEffffjfiS5_IjLj3EEiiiiiiiiiiiliiliiiiil, .Lfunc_end91-_ZL15flash_attn_tileILi64ELi64ELi16ELi1ELb1EEvPKcS1_S1_S1_S1_PKiPfP15HIP_vector_typeIfLj2EEffffjfiS5_IjLj3EEiiiiiiiiiiiliiliiiiil
                                        ; -- End function
	.set _ZL15flash_attn_tileILi64ELi64ELi16ELi1ELb1EEvPKcS1_S1_S1_S1_PKiPfP15HIP_vector_typeIfLj2EEffffjfiS5_IjLj3EEiiiiiiiiiiiliiliiiiil.num_vgpr, max(0, .L_ZL14no_device_codePKciS0_iS0_.num_vgpr)
	.set _ZL15flash_attn_tileILi64ELi64ELi16ELi1ELb1EEvPKcS1_S1_S1_S1_PKiPfP15HIP_vector_typeIfLj2EEffffjfiS5_IjLj3EEiiiiiiiiiiiliiliiiiil.num_agpr, max(0, .L_ZL14no_device_codePKciS0_iS0_.num_agpr)
	.set _ZL15flash_attn_tileILi64ELi64ELi16ELi1ELb1EEvPKcS1_S1_S1_S1_PKiPfP15HIP_vector_typeIfLj2EEffffjfiS5_IjLj3EEiiiiiiiiiiiliiliiiiil.numbered_sgpr, max(33, .L_ZL14no_device_codePKciS0_iS0_.numbered_sgpr)
	.set _ZL15flash_attn_tileILi64ELi64ELi16ELi1ELb1EEvPKcS1_S1_S1_S1_PKiPfP15HIP_vector_typeIfLj2EEffffjfiS5_IjLj3EEiiiiiiiiiiiliiliiiiil.num_named_barrier, max(0, .L_ZL14no_device_codePKciS0_iS0_.num_named_barrier)
	.set _ZL15flash_attn_tileILi64ELi64ELi16ELi1ELb1EEvPKcS1_S1_S1_S1_PKiPfP15HIP_vector_typeIfLj2EEffffjfiS5_IjLj3EEiiiiiiiiiiiliiliiiiil.private_seg_size, 0+max(.L_ZL14no_device_codePKciS0_iS0_.private_seg_size)
	.set _ZL15flash_attn_tileILi64ELi64ELi16ELi1ELb1EEvPKcS1_S1_S1_S1_PKiPfP15HIP_vector_typeIfLj2EEffffjfiS5_IjLj3EEiiiiiiiiiiiliiliiiiil.uses_vcc, or(1, .L_ZL14no_device_codePKciS0_iS0_.uses_vcc)
	.set _ZL15flash_attn_tileILi64ELi64ELi16ELi1ELb1EEvPKcS1_S1_S1_S1_PKiPfP15HIP_vector_typeIfLj2EEffffjfiS5_IjLj3EEiiiiiiiiiiiliiliiiiil.uses_flat_scratch, or(0, .L_ZL14no_device_codePKciS0_iS0_.uses_flat_scratch)
	.set _ZL15flash_attn_tileILi64ELi64ELi16ELi1ELb1EEvPKcS1_S1_S1_S1_PKiPfP15HIP_vector_typeIfLj2EEffffjfiS5_IjLj3EEiiiiiiiiiiiliiliiiiil.has_dyn_sized_stack, or(0, .L_ZL14no_device_codePKciS0_iS0_.has_dyn_sized_stack)
	.set _ZL15flash_attn_tileILi64ELi64ELi16ELi1ELb1EEvPKcS1_S1_S1_S1_PKiPfP15HIP_vector_typeIfLj2EEffffjfiS5_IjLj3EEiiiiiiiiiiiliiliiiiil.has_recursion, or(0, .L_ZL14no_device_codePKciS0_iS0_.has_recursion)
	.set _ZL15flash_attn_tileILi64ELi64ELi16ELi1ELb1EEvPKcS1_S1_S1_S1_PKiPfP15HIP_vector_typeIfLj2EEffffjfiS5_IjLj3EEiiiiiiiiiiiliiliiiiil.has_indirect_call, or(0, .L_ZL14no_device_codePKciS0_iS0_.has_indirect_call)
	.section	.AMDGPU.csdata,"",@progbits
; Kernel info:
; codeLenInByte = 32
; TotalNumSgprs: 36
; NumVgprs: 50
; ScratchSize: 16
; MemoryBound: 0
; FloatMode: 240
; IeeeMode: 1
; LDSByteSize: 0 bytes/workgroup (compile time only)
; SGPRBlocks: 0
; VGPRBlocks: 3
; NumSGPRsForWavesPerEU: 36
; NumVGPRsForWavesPerEU: 50
; NamedBarCnt: 0
; Occupancy: 16
; WaveLimiterHint : 1
; COMPUTE_PGM_RSRC2:SCRATCH_EN: 1
; COMPUTE_PGM_RSRC2:USER_SGPR: 2
; COMPUTE_PGM_RSRC2:TRAP_HANDLER: 0
; COMPUTE_PGM_RSRC2:TGID_X_EN: 1
; COMPUTE_PGM_RSRC2:TGID_Y_EN: 0
; COMPUTE_PGM_RSRC2:TGID_Z_EN: 0
; COMPUTE_PGM_RSRC2:TIDIG_COMP_CNT: 0
	.section	.text._ZL15flash_attn_tileILi64ELi64ELi8ELi1ELb1EEvPKcS1_S1_S1_S1_PKiPfP15HIP_vector_typeIfLj2EEffffjfiS5_IjLj3EEiiiiiiiiiiiliiliiiiil,"axG",@progbits,_ZL15flash_attn_tileILi64ELi64ELi8ELi1ELb1EEvPKcS1_S1_S1_S1_PKiPfP15HIP_vector_typeIfLj2EEffffjfiS5_IjLj3EEiiiiiiiiiiiliiliiiiil,comdat
	.globl	_ZL15flash_attn_tileILi64ELi64ELi8ELi1ELb1EEvPKcS1_S1_S1_S1_PKiPfP15HIP_vector_typeIfLj2EEffffjfiS5_IjLj3EEiiiiiiiiiiiliiliiiiil ; -- Begin function _ZL15flash_attn_tileILi64ELi64ELi8ELi1ELb1EEvPKcS1_S1_S1_S1_PKiPfP15HIP_vector_typeIfLj2EEffffjfiS5_IjLj3EEiiiiiiiiiiiliiliiiiil
	.p2align	8
	.type	_ZL15flash_attn_tileILi64ELi64ELi8ELi1ELb1EEvPKcS1_S1_S1_S1_PKiPfP15HIP_vector_typeIfLj2EEffffjfiS5_IjLj3EEiiiiiiiiiiiliiliiiiil,@function
_ZL15flash_attn_tileILi64ELi64ELi8ELi1ELb1EEvPKcS1_S1_S1_S1_PKiPfP15HIP_vector_typeIfLj2EEffffjfiS5_IjLj3EEiiiiiiiiiiiliiliiiiil: ; @_ZL15flash_attn_tileILi64ELi64ELi8ELi1ELb1EEvPKcS1_S1_S1_S1_PKiPfP15HIP_vector_typeIfLj2EEffffjfiS5_IjLj3EEiiiiiiiiiiiliiliiiiil
; %bb.0:
	s_get_pc_i64 s[2:3]
	s_add_nc_u64 s[2:3], s[2:3], _ZL14no_device_codePKciS0_iS0_@rel64+4
	s_add_nc_u64 s[8:9], s[0:1], 0xd0
	s_mov_b32 s32, 0
	s_swap_pc_i64 s[30:31], s[2:3]
	.section	.rodata,"a",@progbits
	.p2align	6, 0x0
	.amdhsa_kernel _ZL15flash_attn_tileILi64ELi64ELi8ELi1ELb1EEvPKcS1_S1_S1_S1_PKiPfP15HIP_vector_typeIfLj2EEffffjfiS5_IjLj3EEiiiiiiiiiiiliiliiiiil
		.amdhsa_group_segment_fixed_size 0
		.amdhsa_private_segment_fixed_size 16
		.amdhsa_kernarg_size 464
		.amdhsa_user_sgpr_count 2
		.amdhsa_user_sgpr_dispatch_ptr 0
		.amdhsa_user_sgpr_queue_ptr 0
		.amdhsa_user_sgpr_kernarg_segment_ptr 1
		.amdhsa_user_sgpr_dispatch_id 0
		.amdhsa_user_sgpr_kernarg_preload_length 0
		.amdhsa_user_sgpr_kernarg_preload_offset 0
		.amdhsa_user_sgpr_private_segment_size 0
		.amdhsa_wavefront_size32 1
		.amdhsa_uses_dynamic_stack 0
		.amdhsa_enable_private_segment 1
		.amdhsa_system_sgpr_workgroup_id_x 1
		.amdhsa_system_sgpr_workgroup_id_y 0
		.amdhsa_system_sgpr_workgroup_id_z 0
		.amdhsa_system_sgpr_workgroup_info 0
		.amdhsa_system_vgpr_workitem_id 0
		.amdhsa_next_free_vgpr 50
		.amdhsa_next_free_sgpr 34
		.amdhsa_named_barrier_count 0
		.amdhsa_reserve_vcc 1
		.amdhsa_float_round_mode_32 0
		.amdhsa_float_round_mode_16_64 0
		.amdhsa_float_denorm_mode_32 3
		.amdhsa_float_denorm_mode_16_64 3
		.amdhsa_fp16_overflow 0
		.amdhsa_memory_ordered 1
		.amdhsa_forward_progress 1
		.amdhsa_inst_pref_size 1
		.amdhsa_round_robin_scheduling 0
		.amdhsa_exception_fp_ieee_invalid_op 0
		.amdhsa_exception_fp_denorm_src 0
		.amdhsa_exception_fp_ieee_div_zero 0
		.amdhsa_exception_fp_ieee_overflow 0
		.amdhsa_exception_fp_ieee_underflow 0
		.amdhsa_exception_fp_ieee_inexact 0
		.amdhsa_exception_int_div_zero 0
	.end_amdhsa_kernel
	.section	.text._ZL15flash_attn_tileILi64ELi64ELi8ELi1ELb1EEvPKcS1_S1_S1_S1_PKiPfP15HIP_vector_typeIfLj2EEffffjfiS5_IjLj3EEiiiiiiiiiiiliiliiiiil,"axG",@progbits,_ZL15flash_attn_tileILi64ELi64ELi8ELi1ELb1EEvPKcS1_S1_S1_S1_PKiPfP15HIP_vector_typeIfLj2EEffffjfiS5_IjLj3EEiiiiiiiiiiiliiliiiiil,comdat
.Lfunc_end92:
	.size	_ZL15flash_attn_tileILi64ELi64ELi8ELi1ELb1EEvPKcS1_S1_S1_S1_PKiPfP15HIP_vector_typeIfLj2EEffffjfiS5_IjLj3EEiiiiiiiiiiiliiliiiiil, .Lfunc_end92-_ZL15flash_attn_tileILi64ELi64ELi8ELi1ELb1EEvPKcS1_S1_S1_S1_PKiPfP15HIP_vector_typeIfLj2EEffffjfiS5_IjLj3EEiiiiiiiiiiiliiliiiiil
                                        ; -- End function
	.set _ZL15flash_attn_tileILi64ELi64ELi8ELi1ELb1EEvPKcS1_S1_S1_S1_PKiPfP15HIP_vector_typeIfLj2EEffffjfiS5_IjLj3EEiiiiiiiiiiiliiliiiiil.num_vgpr, max(0, .L_ZL14no_device_codePKciS0_iS0_.num_vgpr)
	.set _ZL15flash_attn_tileILi64ELi64ELi8ELi1ELb1EEvPKcS1_S1_S1_S1_PKiPfP15HIP_vector_typeIfLj2EEffffjfiS5_IjLj3EEiiiiiiiiiiiliiliiiiil.num_agpr, max(0, .L_ZL14no_device_codePKciS0_iS0_.num_agpr)
	.set _ZL15flash_attn_tileILi64ELi64ELi8ELi1ELb1EEvPKcS1_S1_S1_S1_PKiPfP15HIP_vector_typeIfLj2EEffffjfiS5_IjLj3EEiiiiiiiiiiiliiliiiiil.numbered_sgpr, max(33, .L_ZL14no_device_codePKciS0_iS0_.numbered_sgpr)
	.set _ZL15flash_attn_tileILi64ELi64ELi8ELi1ELb1EEvPKcS1_S1_S1_S1_PKiPfP15HIP_vector_typeIfLj2EEffffjfiS5_IjLj3EEiiiiiiiiiiiliiliiiiil.num_named_barrier, max(0, .L_ZL14no_device_codePKciS0_iS0_.num_named_barrier)
	.set _ZL15flash_attn_tileILi64ELi64ELi8ELi1ELb1EEvPKcS1_S1_S1_S1_PKiPfP15HIP_vector_typeIfLj2EEffffjfiS5_IjLj3EEiiiiiiiiiiiliiliiiiil.private_seg_size, 0+max(.L_ZL14no_device_codePKciS0_iS0_.private_seg_size)
	.set _ZL15flash_attn_tileILi64ELi64ELi8ELi1ELb1EEvPKcS1_S1_S1_S1_PKiPfP15HIP_vector_typeIfLj2EEffffjfiS5_IjLj3EEiiiiiiiiiiiliiliiiiil.uses_vcc, or(1, .L_ZL14no_device_codePKciS0_iS0_.uses_vcc)
	.set _ZL15flash_attn_tileILi64ELi64ELi8ELi1ELb1EEvPKcS1_S1_S1_S1_PKiPfP15HIP_vector_typeIfLj2EEffffjfiS5_IjLj3EEiiiiiiiiiiiliiliiiiil.uses_flat_scratch, or(0, .L_ZL14no_device_codePKciS0_iS0_.uses_flat_scratch)
	.set _ZL15flash_attn_tileILi64ELi64ELi8ELi1ELb1EEvPKcS1_S1_S1_S1_PKiPfP15HIP_vector_typeIfLj2EEffffjfiS5_IjLj3EEiiiiiiiiiiiliiliiiiil.has_dyn_sized_stack, or(0, .L_ZL14no_device_codePKciS0_iS0_.has_dyn_sized_stack)
	.set _ZL15flash_attn_tileILi64ELi64ELi8ELi1ELb1EEvPKcS1_S1_S1_S1_PKiPfP15HIP_vector_typeIfLj2EEffffjfiS5_IjLj3EEiiiiiiiiiiiliiliiiiil.has_recursion, or(0, .L_ZL14no_device_codePKciS0_iS0_.has_recursion)
	.set _ZL15flash_attn_tileILi64ELi64ELi8ELi1ELb1EEvPKcS1_S1_S1_S1_PKiPfP15HIP_vector_typeIfLj2EEffffjfiS5_IjLj3EEiiiiiiiiiiiliiliiiiil.has_indirect_call, or(0, .L_ZL14no_device_codePKciS0_iS0_.has_indirect_call)
	.section	.AMDGPU.csdata,"",@progbits
; Kernel info:
; codeLenInByte = 32
; TotalNumSgprs: 36
; NumVgprs: 50
; ScratchSize: 16
; MemoryBound: 0
; FloatMode: 240
; IeeeMode: 1
; LDSByteSize: 0 bytes/workgroup (compile time only)
; SGPRBlocks: 0
; VGPRBlocks: 3
; NumSGPRsForWavesPerEU: 36
; NumVGPRsForWavesPerEU: 50
; NamedBarCnt: 0
; Occupancy: 16
; WaveLimiterHint : 1
; COMPUTE_PGM_RSRC2:SCRATCH_EN: 1
; COMPUTE_PGM_RSRC2:USER_SGPR: 2
; COMPUTE_PGM_RSRC2:TRAP_HANDLER: 0
; COMPUTE_PGM_RSRC2:TGID_X_EN: 1
; COMPUTE_PGM_RSRC2:TGID_Y_EN: 0
; COMPUTE_PGM_RSRC2:TGID_Z_EN: 0
; COMPUTE_PGM_RSRC2:TIDIG_COMP_CNT: 0
	.section	.text._ZL15flash_attn_tileILi64ELi64ELi4ELi1ELb1EEvPKcS1_S1_S1_S1_PKiPfP15HIP_vector_typeIfLj2EEffffjfiS5_IjLj3EEiiiiiiiiiiiliiliiiiil,"axG",@progbits,_ZL15flash_attn_tileILi64ELi64ELi4ELi1ELb1EEvPKcS1_S1_S1_S1_PKiPfP15HIP_vector_typeIfLj2EEffffjfiS5_IjLj3EEiiiiiiiiiiiliiliiiiil,comdat
	.globl	_ZL15flash_attn_tileILi64ELi64ELi4ELi1ELb1EEvPKcS1_S1_S1_S1_PKiPfP15HIP_vector_typeIfLj2EEffffjfiS5_IjLj3EEiiiiiiiiiiiliiliiiiil ; -- Begin function _ZL15flash_attn_tileILi64ELi64ELi4ELi1ELb1EEvPKcS1_S1_S1_S1_PKiPfP15HIP_vector_typeIfLj2EEffffjfiS5_IjLj3EEiiiiiiiiiiiliiliiiiil
	.p2align	8
	.type	_ZL15flash_attn_tileILi64ELi64ELi4ELi1ELb1EEvPKcS1_S1_S1_S1_PKiPfP15HIP_vector_typeIfLj2EEffffjfiS5_IjLj3EEiiiiiiiiiiiliiliiiiil,@function
_ZL15flash_attn_tileILi64ELi64ELi4ELi1ELb1EEvPKcS1_S1_S1_S1_PKiPfP15HIP_vector_typeIfLj2EEffffjfiS5_IjLj3EEiiiiiiiiiiiliiliiiiil: ; @_ZL15flash_attn_tileILi64ELi64ELi4ELi1ELb1EEvPKcS1_S1_S1_S1_PKiPfP15HIP_vector_typeIfLj2EEffffjfiS5_IjLj3EEiiiiiiiiiiiliiliiiiil
; %bb.0:
	s_get_pc_i64 s[2:3]
	s_add_nc_u64 s[2:3], s[2:3], _ZL14no_device_codePKciS0_iS0_@rel64+4
	s_add_nc_u64 s[8:9], s[0:1], 0xd0
	s_mov_b32 s32, 0
	s_swap_pc_i64 s[30:31], s[2:3]
	.section	.rodata,"a",@progbits
	.p2align	6, 0x0
	.amdhsa_kernel _ZL15flash_attn_tileILi64ELi64ELi4ELi1ELb1EEvPKcS1_S1_S1_S1_PKiPfP15HIP_vector_typeIfLj2EEffffjfiS5_IjLj3EEiiiiiiiiiiiliiliiiiil
		.amdhsa_group_segment_fixed_size 0
		.amdhsa_private_segment_fixed_size 16
		.amdhsa_kernarg_size 464
		.amdhsa_user_sgpr_count 2
		.amdhsa_user_sgpr_dispatch_ptr 0
		.amdhsa_user_sgpr_queue_ptr 0
		.amdhsa_user_sgpr_kernarg_segment_ptr 1
		.amdhsa_user_sgpr_dispatch_id 0
		.amdhsa_user_sgpr_kernarg_preload_length 0
		.amdhsa_user_sgpr_kernarg_preload_offset 0
		.amdhsa_user_sgpr_private_segment_size 0
		.amdhsa_wavefront_size32 1
		.amdhsa_uses_dynamic_stack 0
		.amdhsa_enable_private_segment 1
		.amdhsa_system_sgpr_workgroup_id_x 1
		.amdhsa_system_sgpr_workgroup_id_y 0
		.amdhsa_system_sgpr_workgroup_id_z 0
		.amdhsa_system_sgpr_workgroup_info 0
		.amdhsa_system_vgpr_workitem_id 0
		.amdhsa_next_free_vgpr 50
		.amdhsa_next_free_sgpr 34
		.amdhsa_named_barrier_count 0
		.amdhsa_reserve_vcc 1
		.amdhsa_float_round_mode_32 0
		.amdhsa_float_round_mode_16_64 0
		.amdhsa_float_denorm_mode_32 3
		.amdhsa_float_denorm_mode_16_64 3
		.amdhsa_fp16_overflow 0
		.amdhsa_memory_ordered 1
		.amdhsa_forward_progress 1
		.amdhsa_inst_pref_size 1
		.amdhsa_round_robin_scheduling 0
		.amdhsa_exception_fp_ieee_invalid_op 0
		.amdhsa_exception_fp_denorm_src 0
		.amdhsa_exception_fp_ieee_div_zero 0
		.amdhsa_exception_fp_ieee_overflow 0
		.amdhsa_exception_fp_ieee_underflow 0
		.amdhsa_exception_fp_ieee_inexact 0
		.amdhsa_exception_int_div_zero 0
	.end_amdhsa_kernel
	.section	.text._ZL15flash_attn_tileILi64ELi64ELi4ELi1ELb1EEvPKcS1_S1_S1_S1_PKiPfP15HIP_vector_typeIfLj2EEffffjfiS5_IjLj3EEiiiiiiiiiiiliiliiiiil,"axG",@progbits,_ZL15flash_attn_tileILi64ELi64ELi4ELi1ELb1EEvPKcS1_S1_S1_S1_PKiPfP15HIP_vector_typeIfLj2EEffffjfiS5_IjLj3EEiiiiiiiiiiiliiliiiiil,comdat
.Lfunc_end93:
	.size	_ZL15flash_attn_tileILi64ELi64ELi4ELi1ELb1EEvPKcS1_S1_S1_S1_PKiPfP15HIP_vector_typeIfLj2EEffffjfiS5_IjLj3EEiiiiiiiiiiiliiliiiiil, .Lfunc_end93-_ZL15flash_attn_tileILi64ELi64ELi4ELi1ELb1EEvPKcS1_S1_S1_S1_PKiPfP15HIP_vector_typeIfLj2EEffffjfiS5_IjLj3EEiiiiiiiiiiiliiliiiiil
                                        ; -- End function
	.set _ZL15flash_attn_tileILi64ELi64ELi4ELi1ELb1EEvPKcS1_S1_S1_S1_PKiPfP15HIP_vector_typeIfLj2EEffffjfiS5_IjLj3EEiiiiiiiiiiiliiliiiiil.num_vgpr, max(0, .L_ZL14no_device_codePKciS0_iS0_.num_vgpr)
	.set _ZL15flash_attn_tileILi64ELi64ELi4ELi1ELb1EEvPKcS1_S1_S1_S1_PKiPfP15HIP_vector_typeIfLj2EEffffjfiS5_IjLj3EEiiiiiiiiiiiliiliiiiil.num_agpr, max(0, .L_ZL14no_device_codePKciS0_iS0_.num_agpr)
	.set _ZL15flash_attn_tileILi64ELi64ELi4ELi1ELb1EEvPKcS1_S1_S1_S1_PKiPfP15HIP_vector_typeIfLj2EEffffjfiS5_IjLj3EEiiiiiiiiiiiliiliiiiil.numbered_sgpr, max(33, .L_ZL14no_device_codePKciS0_iS0_.numbered_sgpr)
	.set _ZL15flash_attn_tileILi64ELi64ELi4ELi1ELb1EEvPKcS1_S1_S1_S1_PKiPfP15HIP_vector_typeIfLj2EEffffjfiS5_IjLj3EEiiiiiiiiiiiliiliiiiil.num_named_barrier, max(0, .L_ZL14no_device_codePKciS0_iS0_.num_named_barrier)
	.set _ZL15flash_attn_tileILi64ELi64ELi4ELi1ELb1EEvPKcS1_S1_S1_S1_PKiPfP15HIP_vector_typeIfLj2EEffffjfiS5_IjLj3EEiiiiiiiiiiiliiliiiiil.private_seg_size, 0+max(.L_ZL14no_device_codePKciS0_iS0_.private_seg_size)
	.set _ZL15flash_attn_tileILi64ELi64ELi4ELi1ELb1EEvPKcS1_S1_S1_S1_PKiPfP15HIP_vector_typeIfLj2EEffffjfiS5_IjLj3EEiiiiiiiiiiiliiliiiiil.uses_vcc, or(1, .L_ZL14no_device_codePKciS0_iS0_.uses_vcc)
	.set _ZL15flash_attn_tileILi64ELi64ELi4ELi1ELb1EEvPKcS1_S1_S1_S1_PKiPfP15HIP_vector_typeIfLj2EEffffjfiS5_IjLj3EEiiiiiiiiiiiliiliiiiil.uses_flat_scratch, or(0, .L_ZL14no_device_codePKciS0_iS0_.uses_flat_scratch)
	.set _ZL15flash_attn_tileILi64ELi64ELi4ELi1ELb1EEvPKcS1_S1_S1_S1_PKiPfP15HIP_vector_typeIfLj2EEffffjfiS5_IjLj3EEiiiiiiiiiiiliiliiiiil.has_dyn_sized_stack, or(0, .L_ZL14no_device_codePKciS0_iS0_.has_dyn_sized_stack)
	.set _ZL15flash_attn_tileILi64ELi64ELi4ELi1ELb1EEvPKcS1_S1_S1_S1_PKiPfP15HIP_vector_typeIfLj2EEffffjfiS5_IjLj3EEiiiiiiiiiiiliiliiiiil.has_recursion, or(0, .L_ZL14no_device_codePKciS0_iS0_.has_recursion)
	.set _ZL15flash_attn_tileILi64ELi64ELi4ELi1ELb1EEvPKcS1_S1_S1_S1_PKiPfP15HIP_vector_typeIfLj2EEffffjfiS5_IjLj3EEiiiiiiiiiiiliiliiiiil.has_indirect_call, or(0, .L_ZL14no_device_codePKciS0_iS0_.has_indirect_call)
	.section	.AMDGPU.csdata,"",@progbits
; Kernel info:
; codeLenInByte = 32
; TotalNumSgprs: 36
; NumVgprs: 50
; ScratchSize: 16
; MemoryBound: 0
; FloatMode: 240
; IeeeMode: 1
; LDSByteSize: 0 bytes/workgroup (compile time only)
; SGPRBlocks: 0
; VGPRBlocks: 3
; NumSGPRsForWavesPerEU: 36
; NumVGPRsForWavesPerEU: 50
; NamedBarCnt: 0
; Occupancy: 16
; WaveLimiterHint : 1
; COMPUTE_PGM_RSRC2:SCRATCH_EN: 1
; COMPUTE_PGM_RSRC2:USER_SGPR: 2
; COMPUTE_PGM_RSRC2:TRAP_HANDLER: 0
; COMPUTE_PGM_RSRC2:TGID_X_EN: 1
; COMPUTE_PGM_RSRC2:TGID_Y_EN: 0
; COMPUTE_PGM_RSRC2:TGID_Z_EN: 0
; COMPUTE_PGM_RSRC2:TIDIG_COMP_CNT: 0
	.section	.text._ZL15flash_attn_tileILi64ELi64ELi2ELi1ELb1EEvPKcS1_S1_S1_S1_PKiPfP15HIP_vector_typeIfLj2EEffffjfiS5_IjLj3EEiiiiiiiiiiiliiliiiiil,"axG",@progbits,_ZL15flash_attn_tileILi64ELi64ELi2ELi1ELb1EEvPKcS1_S1_S1_S1_PKiPfP15HIP_vector_typeIfLj2EEffffjfiS5_IjLj3EEiiiiiiiiiiiliiliiiiil,comdat
	.globl	_ZL15flash_attn_tileILi64ELi64ELi2ELi1ELb1EEvPKcS1_S1_S1_S1_PKiPfP15HIP_vector_typeIfLj2EEffffjfiS5_IjLj3EEiiiiiiiiiiiliiliiiiil ; -- Begin function _ZL15flash_attn_tileILi64ELi64ELi2ELi1ELb1EEvPKcS1_S1_S1_S1_PKiPfP15HIP_vector_typeIfLj2EEffffjfiS5_IjLj3EEiiiiiiiiiiiliiliiiiil
	.p2align	8
	.type	_ZL15flash_attn_tileILi64ELi64ELi2ELi1ELb1EEvPKcS1_S1_S1_S1_PKiPfP15HIP_vector_typeIfLj2EEffffjfiS5_IjLj3EEiiiiiiiiiiiliiliiiiil,@function
_ZL15flash_attn_tileILi64ELi64ELi2ELi1ELb1EEvPKcS1_S1_S1_S1_PKiPfP15HIP_vector_typeIfLj2EEffffjfiS5_IjLj3EEiiiiiiiiiiiliiliiiiil: ; @_ZL15flash_attn_tileILi64ELi64ELi2ELi1ELb1EEvPKcS1_S1_S1_S1_PKiPfP15HIP_vector_typeIfLj2EEffffjfiS5_IjLj3EEiiiiiiiiiiiliiliiiiil
; %bb.0:
	s_get_pc_i64 s[2:3]
	s_add_nc_u64 s[2:3], s[2:3], _ZL14no_device_codePKciS0_iS0_@rel64+4
	s_add_nc_u64 s[8:9], s[0:1], 0xd0
	s_mov_b32 s32, 0
	s_swap_pc_i64 s[30:31], s[2:3]
	.section	.rodata,"a",@progbits
	.p2align	6, 0x0
	.amdhsa_kernel _ZL15flash_attn_tileILi64ELi64ELi2ELi1ELb1EEvPKcS1_S1_S1_S1_PKiPfP15HIP_vector_typeIfLj2EEffffjfiS5_IjLj3EEiiiiiiiiiiiliiliiiiil
		.amdhsa_group_segment_fixed_size 0
		.amdhsa_private_segment_fixed_size 16
		.amdhsa_kernarg_size 464
		.amdhsa_user_sgpr_count 2
		.amdhsa_user_sgpr_dispatch_ptr 0
		.amdhsa_user_sgpr_queue_ptr 0
		.amdhsa_user_sgpr_kernarg_segment_ptr 1
		.amdhsa_user_sgpr_dispatch_id 0
		.amdhsa_user_sgpr_kernarg_preload_length 0
		.amdhsa_user_sgpr_kernarg_preload_offset 0
		.amdhsa_user_sgpr_private_segment_size 0
		.amdhsa_wavefront_size32 1
		.amdhsa_uses_dynamic_stack 0
		.amdhsa_enable_private_segment 1
		.amdhsa_system_sgpr_workgroup_id_x 1
		.amdhsa_system_sgpr_workgroup_id_y 0
		.amdhsa_system_sgpr_workgroup_id_z 0
		.amdhsa_system_sgpr_workgroup_info 0
		.amdhsa_system_vgpr_workitem_id 0
		.amdhsa_next_free_vgpr 50
		.amdhsa_next_free_sgpr 34
		.amdhsa_named_barrier_count 0
		.amdhsa_reserve_vcc 1
		.amdhsa_float_round_mode_32 0
		.amdhsa_float_round_mode_16_64 0
		.amdhsa_float_denorm_mode_32 3
		.amdhsa_float_denorm_mode_16_64 3
		.amdhsa_fp16_overflow 0
		.amdhsa_memory_ordered 1
		.amdhsa_forward_progress 1
		.amdhsa_inst_pref_size 1
		.amdhsa_round_robin_scheduling 0
		.amdhsa_exception_fp_ieee_invalid_op 0
		.amdhsa_exception_fp_denorm_src 0
		.amdhsa_exception_fp_ieee_div_zero 0
		.amdhsa_exception_fp_ieee_overflow 0
		.amdhsa_exception_fp_ieee_underflow 0
		.amdhsa_exception_fp_ieee_inexact 0
		.amdhsa_exception_int_div_zero 0
	.end_amdhsa_kernel
	.section	.text._ZL15flash_attn_tileILi64ELi64ELi2ELi1ELb1EEvPKcS1_S1_S1_S1_PKiPfP15HIP_vector_typeIfLj2EEffffjfiS5_IjLj3EEiiiiiiiiiiiliiliiiiil,"axG",@progbits,_ZL15flash_attn_tileILi64ELi64ELi2ELi1ELb1EEvPKcS1_S1_S1_S1_PKiPfP15HIP_vector_typeIfLj2EEffffjfiS5_IjLj3EEiiiiiiiiiiiliiliiiiil,comdat
.Lfunc_end94:
	.size	_ZL15flash_attn_tileILi64ELi64ELi2ELi1ELb1EEvPKcS1_S1_S1_S1_PKiPfP15HIP_vector_typeIfLj2EEffffjfiS5_IjLj3EEiiiiiiiiiiiliiliiiiil, .Lfunc_end94-_ZL15flash_attn_tileILi64ELi64ELi2ELi1ELb1EEvPKcS1_S1_S1_S1_PKiPfP15HIP_vector_typeIfLj2EEffffjfiS5_IjLj3EEiiiiiiiiiiiliiliiiiil
                                        ; -- End function
	.set _ZL15flash_attn_tileILi64ELi64ELi2ELi1ELb1EEvPKcS1_S1_S1_S1_PKiPfP15HIP_vector_typeIfLj2EEffffjfiS5_IjLj3EEiiiiiiiiiiiliiliiiiil.num_vgpr, max(0, .L_ZL14no_device_codePKciS0_iS0_.num_vgpr)
	.set _ZL15flash_attn_tileILi64ELi64ELi2ELi1ELb1EEvPKcS1_S1_S1_S1_PKiPfP15HIP_vector_typeIfLj2EEffffjfiS5_IjLj3EEiiiiiiiiiiiliiliiiiil.num_agpr, max(0, .L_ZL14no_device_codePKciS0_iS0_.num_agpr)
	.set _ZL15flash_attn_tileILi64ELi64ELi2ELi1ELb1EEvPKcS1_S1_S1_S1_PKiPfP15HIP_vector_typeIfLj2EEffffjfiS5_IjLj3EEiiiiiiiiiiiliiliiiiil.numbered_sgpr, max(33, .L_ZL14no_device_codePKciS0_iS0_.numbered_sgpr)
	.set _ZL15flash_attn_tileILi64ELi64ELi2ELi1ELb1EEvPKcS1_S1_S1_S1_PKiPfP15HIP_vector_typeIfLj2EEffffjfiS5_IjLj3EEiiiiiiiiiiiliiliiiiil.num_named_barrier, max(0, .L_ZL14no_device_codePKciS0_iS0_.num_named_barrier)
	.set _ZL15flash_attn_tileILi64ELi64ELi2ELi1ELb1EEvPKcS1_S1_S1_S1_PKiPfP15HIP_vector_typeIfLj2EEffffjfiS5_IjLj3EEiiiiiiiiiiiliiliiiiil.private_seg_size, 0+max(.L_ZL14no_device_codePKciS0_iS0_.private_seg_size)
	.set _ZL15flash_attn_tileILi64ELi64ELi2ELi1ELb1EEvPKcS1_S1_S1_S1_PKiPfP15HIP_vector_typeIfLj2EEffffjfiS5_IjLj3EEiiiiiiiiiiiliiliiiiil.uses_vcc, or(1, .L_ZL14no_device_codePKciS0_iS0_.uses_vcc)
	.set _ZL15flash_attn_tileILi64ELi64ELi2ELi1ELb1EEvPKcS1_S1_S1_S1_PKiPfP15HIP_vector_typeIfLj2EEffffjfiS5_IjLj3EEiiiiiiiiiiiliiliiiiil.uses_flat_scratch, or(0, .L_ZL14no_device_codePKciS0_iS0_.uses_flat_scratch)
	.set _ZL15flash_attn_tileILi64ELi64ELi2ELi1ELb1EEvPKcS1_S1_S1_S1_PKiPfP15HIP_vector_typeIfLj2EEffffjfiS5_IjLj3EEiiiiiiiiiiiliiliiiiil.has_dyn_sized_stack, or(0, .L_ZL14no_device_codePKciS0_iS0_.has_dyn_sized_stack)
	.set _ZL15flash_attn_tileILi64ELi64ELi2ELi1ELb1EEvPKcS1_S1_S1_S1_PKiPfP15HIP_vector_typeIfLj2EEffffjfiS5_IjLj3EEiiiiiiiiiiiliiliiiiil.has_recursion, or(0, .L_ZL14no_device_codePKciS0_iS0_.has_recursion)
	.set _ZL15flash_attn_tileILi64ELi64ELi2ELi1ELb1EEvPKcS1_S1_S1_S1_PKiPfP15HIP_vector_typeIfLj2EEffffjfiS5_IjLj3EEiiiiiiiiiiiliiliiiiil.has_indirect_call, or(0, .L_ZL14no_device_codePKciS0_iS0_.has_indirect_call)
	.section	.AMDGPU.csdata,"",@progbits
; Kernel info:
; codeLenInByte = 32
; TotalNumSgprs: 36
; NumVgprs: 50
; ScratchSize: 16
; MemoryBound: 0
; FloatMode: 240
; IeeeMode: 1
; LDSByteSize: 0 bytes/workgroup (compile time only)
; SGPRBlocks: 0
; VGPRBlocks: 3
; NumSGPRsForWavesPerEU: 36
; NumVGPRsForWavesPerEU: 50
; NamedBarCnt: 0
; Occupancy: 16
; WaveLimiterHint : 1
; COMPUTE_PGM_RSRC2:SCRATCH_EN: 1
; COMPUTE_PGM_RSRC2:USER_SGPR: 2
; COMPUTE_PGM_RSRC2:TRAP_HANDLER: 0
; COMPUTE_PGM_RSRC2:TGID_X_EN: 1
; COMPUTE_PGM_RSRC2:TGID_Y_EN: 0
; COMPUTE_PGM_RSRC2:TGID_Z_EN: 0
; COMPUTE_PGM_RSRC2:TIDIG_COMP_CNT: 0
	.text
	.p2alignl 7, 3214868480
	.fill 96, 4, 3214868480
	.section	.AMDGPU.gpr_maximums,"",@progbits
	.set amdgpu.max_num_vgpr, 50
	.set amdgpu.max_num_agpr, 0
	.set amdgpu.max_num_sgpr, 34
	.text
	.type	.str.3,@object                  ; @.str.3
	.section	.rodata.str1.1,"aMS",@progbits,1
.str.3:
	.asciz	"/root/src/amdgpu-assembly/repos/ggml-org__llama.cpp/ggml/src/ggml-cuda/template-instances/../fattn-tile.cuh"
	.size	.str.3, 108

	.type	__FUNCTION__._ZL15flash_attn_tileILi64ELi64ELi8ELi8ELb1EEvPKcS1_S1_S1_S1_PKiPfP15HIP_vector_typeIfLj2EEffffjfiS5_IjLj3EEiiiiiiiiiiiliiliiiiil,@object ; @__FUNCTION__._ZL15flash_attn_tileILi64ELi64ELi8ELi8ELb1EEvPKcS1_S1_S1_S1_PKiPfP15HIP_vector_typeIfLj2EEffffjfiS5_IjLj3EEiiiiiiiiiiiliiliiiiil
__FUNCTION__._ZL15flash_attn_tileILi64ELi64ELi8ELi8ELb1EEvPKcS1_S1_S1_S1_PKiPfP15HIP_vector_typeIfLj2EEffffjfiS5_IjLj3EEiiiiiiiiiiiliiliiiiil:
	.asciz	"flash_attn_tile"
	.size	__FUNCTION__._ZL15flash_attn_tileILi64ELi64ELi8ELi8ELb1EEvPKcS1_S1_S1_S1_PKiPfP15HIP_vector_typeIfLj2EEffffjfiS5_IjLj3EEiiiiiiiiiiiliiliiiiil, 16

	.type	.str.5,@object                  ; @.str.5
.str.5:
	.asciz	"%s:%d: ERROR: HIP kernel %s has no device code compatible with HIP arch %d.\n"
	.size	.str.5, 77

	.type	__hip_cuid_c26475ee1015a5a,@object ; @__hip_cuid_c26475ee1015a5a
	.section	.bss,"aw",@nobits
	.globl	__hip_cuid_c26475ee1015a5a
__hip_cuid_c26475ee1015a5a:
	.byte	0                               ; 0x0
	.size	__hip_cuid_c26475ee1015a5a, 1

	.ident	"AMD clang version 22.0.0git (https://github.com/RadeonOpenCompute/llvm-project roc-7.2.4 26084 f58b06dce1f9c15707c5f808fd002e18c2accf7e)"
	.section	".note.GNU-stack","",@progbits
	.addrsig
	.addrsig_sym __hip_cuid_c26475ee1015a5a
	.amdgpu_metadata
---
amdhsa.kernels:
  - .args:
      - .address_space:  global
        .offset:         0
        .size:           8
        .value_kind:     global_buffer
      - .address_space:  global
        .offset:         8
        .size:           8
        .value_kind:     global_buffer
      - .address_space:  global
        .offset:         16
        .size:           8
        .value_kind:     global_buffer
      - .address_space:  global
        .offset:         24
        .size:           8
        .value_kind:     global_buffer
      - .address_space:  global
        .offset:         32
        .size:           8
        .value_kind:     global_buffer
      - .address_space:  global
        .offset:         40
        .size:           8
        .value_kind:     global_buffer
      - .address_space:  global
        .offset:         48
        .size:           8
        .value_kind:     global_buffer
      - .address_space:  global
        .offset:         56
        .size:           8
        .value_kind:     global_buffer
      - .offset:         64
        .size:           4
        .value_kind:     by_value
      - .offset:         68
        .size:           4
        .value_kind:     by_value
      - .offset:         72
        .size:           4
        .value_kind:     by_value
      - .offset:         76
        .size:           4
        .value_kind:     by_value
      - .offset:         80
        .size:           4
        .value_kind:     by_value
      - .offset:         84
        .size:           4
        .value_kind:     by_value
      - .offset:         88
        .size:           4
        .value_kind:     by_value
      - .offset:         92
        .size:           12
        .value_kind:     by_value
      - .offset:         104
        .size:           4
        .value_kind:     by_value
      - .offset:         108
        .size:           4
        .value_kind:     by_value
      - .offset:         112
        .size:           4
        .value_kind:     by_value
      - .offset:         116
        .size:           4
        .value_kind:     by_value
      - .offset:         120
        .size:           4
        .value_kind:     by_value
      - .offset:         124
        .size:           4
        .value_kind:     by_value
      - .offset:         128
        .size:           4
        .value_kind:     by_value
      - .offset:         132
        .size:           4
        .value_kind:     by_value
      - .offset:         136
        .size:           4
        .value_kind:     by_value
      - .offset:         140
        .size:           4
        .value_kind:     by_value
      - .offset:         144
        .size:           4
        .value_kind:     by_value
      - .offset:         152
        .size:           8
        .value_kind:     by_value
      - .offset:         160
        .size:           4
        .value_kind:     by_value
      - .offset:         164
        .size:           4
        .value_kind:     by_value
      - .offset:         168
        .size:           8
        .value_kind:     by_value
      - .offset:         176
        .size:           4
        .value_kind:     by_value
      - .offset:         180
        .size:           4
        .value_kind:     by_value
      - .offset:         184
        .size:           4
        .value_kind:     by_value
      - .offset:         188
        .size:           4
        .value_kind:     by_value
      - .offset:         192
        .size:           4
        .value_kind:     by_value
      - .offset:         200
        .size:           8
        .value_kind:     by_value
      - .offset:         208
        .size:           4
        .value_kind:     hidden_block_count_x
      - .offset:         212
        .size:           4
        .value_kind:     hidden_block_count_y
      - .offset:         216
        .size:           4
        .value_kind:     hidden_block_count_z
      - .offset:         220
        .size:           2
        .value_kind:     hidden_group_size_x
      - .offset:         222
        .size:           2
        .value_kind:     hidden_group_size_y
      - .offset:         224
        .size:           2
        .value_kind:     hidden_group_size_z
      - .offset:         226
        .size:           2
        .value_kind:     hidden_remainder_x
      - .offset:         228
        .size:           2
        .value_kind:     hidden_remainder_y
      - .offset:         230
        .size:           2
        .value_kind:     hidden_remainder_z
      - .offset:         248
        .size:           8
        .value_kind:     hidden_global_offset_x
      - .offset:         256
        .size:           8
        .value_kind:     hidden_global_offset_y
      - .offset:         264
        .size:           8
        .value_kind:     hidden_global_offset_z
      - .offset:         272
        .size:           2
        .value_kind:     hidden_grid_dims
    .group_segment_fixed_size: 25600
    .kernarg_segment_align: 8
    .kernarg_segment_size: 464
    .language:       OpenCL C
    .language_version:
      - 2
      - 0
    .max_flat_workgroup_size: 128
    .name:           _ZL15flash_attn_tileILi64ELi64ELi8ELi8ELb0EEvPKcS1_S1_S1_S1_PKiPfP15HIP_vector_typeIfLj2EEffffjfiS5_IjLj3EEiiiiiiiiiiiliiliiiiil
    .private_segment_fixed_size: 80
    .sgpr_count:     52
    .sgpr_spill_count: 0
    .symbol:         _ZL15flash_attn_tileILi64ELi64ELi8ELi8ELb0EEvPKcS1_S1_S1_S1_PKiPfP15HIP_vector_typeIfLj2EEffffjfiS5_IjLj3EEiiiiiiiiiiiliiliiiiil.kd
    .uniform_work_group_size: 1
    .uses_dynamic_stack: false
    .vgpr_count:     192
    .vgpr_spill_count: 19
    .wavefront_size: 32
  - .args:
      - .actual_access:  read_only
        .address_space:  global
        .offset:         0
        .size:           8
        .value_kind:     global_buffer
      - .actual_access:  write_only
        .address_space:  global
        .offset:         8
        .size:           8
        .value_kind:     global_buffer
      - .offset:         16
        .size:           4
        .value_kind:     by_value
      - .offset:         20
        .size:           4
        .value_kind:     by_value
      - .offset:         24
        .size:           4
        .value_kind:     by_value
      - .offset:         32
        .size:           4
        .value_kind:     hidden_block_count_x
      - .offset:         36
        .size:           4
        .value_kind:     hidden_block_count_y
      - .offset:         40
        .size:           4
        .value_kind:     hidden_block_count_z
      - .offset:         44
        .size:           2
        .value_kind:     hidden_group_size_x
      - .offset:         46
        .size:           2
        .value_kind:     hidden_group_size_y
      - .offset:         48
        .size:           2
        .value_kind:     hidden_group_size_z
      - .offset:         50
        .size:           2
        .value_kind:     hidden_remainder_x
      - .offset:         52
        .size:           2
        .value_kind:     hidden_remainder_y
      - .offset:         54
        .size:           2
        .value_kind:     hidden_remainder_z
      - .offset:         72
        .size:           8
        .value_kind:     hidden_global_offset_x
      - .offset:         80
        .size:           8
        .value_kind:     hidden_global_offset_y
      - .offset:         88
        .size:           8
        .value_kind:     hidden_global_offset_z
      - .offset:         96
        .size:           2
        .value_kind:     hidden_grid_dims
    .group_segment_fixed_size: 128
    .kernarg_segment_align: 8
    .kernarg_segment_size: 288
    .language:       OpenCL C
    .language_version:
      - 2
      - 0
    .max_flat_workgroup_size: 128
    .name:           _ZL25flash_attn_mask_to_KV_maxILi8EEvPK7__half2Piiii
    .private_segment_fixed_size: 0
    .sgpr_count:     29
    .sgpr_spill_count: 0
    .symbol:         _ZL25flash_attn_mask_to_KV_maxILi8EEvPK7__half2Piiii.kd
    .uniform_work_group_size: 1
    .uses_dynamic_stack: false
    .vgpr_count:     6
    .vgpr_spill_count: 0
    .wavefront_size: 32
  - .args:
      - .address_space:  global
        .offset:         0
        .size:           8
        .value_kind:     global_buffer
      - .address_space:  global
        .offset:         8
        .size:           8
        .value_kind:     global_buffer
      - .offset:         16
        .size:           4
        .value_kind:     by_value
      - .offset:         20
        .size:           4
        .value_kind:     by_value
      - .offset:         24
        .size:           4
        .value_kind:     by_value
      - .offset:         28
        .size:           4
        .value_kind:     by_value
      - .offset:         32
        .size:           4
        .value_kind:     by_value
      - .offset:         36
        .size:           4
        .value_kind:     by_value
      - .offset:         40
        .size:           12
        .value_kind:     by_value
      - .offset:         52
        .size:           12
        .value_kind:     by_value
      - .offset:         64
        .size:           12
        .value_kind:     by_value
    .group_segment_fixed_size: 0
    .kernarg_segment_align: 8
    .kernarg_segment_size: 76
    .language:       OpenCL C
    .language_version:
      - 2
      - 0
    .max_flat_workgroup_size: 64
    .name:           _ZL33flash_attn_stream_k_fixup_uniformILi64ELi8ELi8EEvPfPK15HIP_vector_typeIfLj2EEiiiiiiS1_IjLj3EES5_S5_
    .private_segment_fixed_size: 0
    .sgpr_count:     23
    .sgpr_spill_count: 0
    .symbol:         _ZL33flash_attn_stream_k_fixup_uniformILi64ELi8ELi8EEvPfPK15HIP_vector_typeIfLj2EEiiiiiiS1_IjLj3EES5_S5_.kd
    .uniform_work_group_size: 1
    .uses_dynamic_stack: false
    .vgpr_count:     12
    .vgpr_spill_count: 0
    .wavefront_size: 32
  - .args:
      - .address_space:  global
        .offset:         0
        .size:           8
        .value_kind:     global_buffer
      - .address_space:  global
        .offset:         8
        .size:           8
        .value_kind:     global_buffer
      - .offset:         16
        .size:           4
        .value_kind:     by_value
      - .offset:         20
        .size:           4
        .value_kind:     by_value
      - .offset:         24
        .size:           4
        .value_kind:     by_value
      - .offset:         28
        .size:           4
        .value_kind:     by_value
      - .offset:         32
        .size:           12
        .value_kind:     by_value
      - .offset:         44
        .size:           12
        .value_kind:     by_value
      - .offset:         56
        .size:           12
        .value_kind:     by_value
      - .offset:         68
        .size:           12
        .value_kind:     by_value
      - .offset:         80
        .size:           4
        .value_kind:     hidden_block_count_x
      - .offset:         84
        .size:           4
        .value_kind:     hidden_block_count_y
      - .offset:         88
        .size:           4
        .value_kind:     hidden_block_count_z
      - .offset:         92
        .size:           2
        .value_kind:     hidden_group_size_x
      - .offset:         94
        .size:           2
        .value_kind:     hidden_group_size_y
      - .offset:         96
        .size:           2
        .value_kind:     hidden_group_size_z
      - .offset:         98
        .size:           2
        .value_kind:     hidden_remainder_x
      - .offset:         100
        .size:           2
        .value_kind:     hidden_remainder_y
      - .offset:         102
        .size:           2
        .value_kind:     hidden_remainder_z
      - .offset:         120
        .size:           8
        .value_kind:     hidden_global_offset_x
      - .offset:         128
        .size:           8
        .value_kind:     hidden_global_offset_y
      - .offset:         136
        .size:           8
        .value_kind:     hidden_global_offset_z
      - .offset:         144
        .size:           2
        .value_kind:     hidden_grid_dims
    .group_segment_fixed_size: 0
    .kernarg_segment_align: 8
    .kernarg_segment_size: 336
    .language:       OpenCL C
    .language_version:
      - 2
      - 0
    .max_flat_workgroup_size: 64
    .name:           _ZL33flash_attn_stream_k_fixup_generalILi64ELi8ELi8EEvPfPK15HIP_vector_typeIfLj2EEiiiiS1_IjLj3EES5_S5_S5_
    .private_segment_fixed_size: 0
    .sgpr_count:     48
    .sgpr_spill_count: 0
    .symbol:         _ZL33flash_attn_stream_k_fixup_generalILi64ELi8ELi8EEvPfPK15HIP_vector_typeIfLj2EEiiiiS1_IjLj3EES5_S5_S5_.kd
    .uniform_work_group_size: 1
    .uses_dynamic_stack: false
    .vgpr_count:     12
    .vgpr_spill_count: 0
    .wavefront_size: 32
  - .args:
      - .address_space:  global
        .offset:         0
        .size:           8
        .value_kind:     global_buffer
      - .address_space:  global
        .offset:         8
        .size:           8
        .value_kind:     global_buffer
      - .address_space:  global
        .offset:         16
        .size:           8
        .value_kind:     global_buffer
      - .offset:         24
        .size:           4
        .value_kind:     by_value
      - .offset:         32
        .size:           4
        .value_kind:     hidden_block_count_x
      - .offset:         36
        .size:           4
        .value_kind:     hidden_block_count_y
      - .offset:         40
        .size:           4
        .value_kind:     hidden_block_count_z
      - .offset:         44
        .size:           2
        .value_kind:     hidden_group_size_x
      - .offset:         46
        .size:           2
        .value_kind:     hidden_group_size_y
      - .offset:         48
        .size:           2
        .value_kind:     hidden_group_size_z
      - .offset:         50
        .size:           2
        .value_kind:     hidden_remainder_x
      - .offset:         52
        .size:           2
        .value_kind:     hidden_remainder_y
      - .offset:         54
        .size:           2
        .value_kind:     hidden_remainder_z
      - .offset:         72
        .size:           8
        .value_kind:     hidden_global_offset_x
      - .offset:         80
        .size:           8
        .value_kind:     hidden_global_offset_y
      - .offset:         88
        .size:           8
        .value_kind:     hidden_global_offset_z
      - .offset:         96
        .size:           2
        .value_kind:     hidden_grid_dims
      - .offset:         152
        .size:           4
        .value_kind:     hidden_dynamic_lds_size
    .group_segment_fixed_size: 0
    .kernarg_segment_align: 8
    .kernarg_segment_size: 288
    .language:       OpenCL C
    .language_version:
      - 2
      - 0
    .max_flat_workgroup_size: 64
    .name:           _ZL26flash_attn_combine_resultsILi64EEvPKfPK15HIP_vector_typeIfLj2EEPfi
    .private_segment_fixed_size: 0
    .sgpr_count:     45
    .sgpr_spill_count: 0
    .symbol:         _ZL26flash_attn_combine_resultsILi64EEvPKfPK15HIP_vector_typeIfLj2EEPfi.kd
    .uniform_work_group_size: 1
    .uses_dynamic_stack: false
    .vgpr_count:     36
    .vgpr_spill_count: 0
    .wavefront_size: 32
  - .args:
      - .address_space:  global
        .offset:         0
        .size:           8
        .value_kind:     global_buffer
      - .address_space:  global
        .offset:         8
        .size:           8
        .value_kind:     global_buffer
      - .address_space:  global
        .offset:         16
        .size:           8
        .value_kind:     global_buffer
      - .address_space:  global
        .offset:         24
        .size:           8
        .value_kind:     global_buffer
      - .address_space:  global
        .offset:         32
        .size:           8
        .value_kind:     global_buffer
      - .address_space:  global
        .offset:         40
        .size:           8
        .value_kind:     global_buffer
      - .address_space:  global
        .offset:         48
        .size:           8
        .value_kind:     global_buffer
      - .address_space:  global
        .offset:         56
        .size:           8
        .value_kind:     global_buffer
      - .offset:         64
        .size:           4
        .value_kind:     by_value
      - .offset:         68
        .size:           4
        .value_kind:     by_value
      - .offset:         72
        .size:           4
        .value_kind:     by_value
      - .offset:         76
        .size:           4
        .value_kind:     by_value
      - .offset:         80
        .size:           4
        .value_kind:     by_value
      - .offset:         84
        .size:           4
        .value_kind:     by_value
      - .offset:         88
        .size:           4
        .value_kind:     by_value
      - .offset:         92
        .size:           12
        .value_kind:     by_value
      - .offset:         104
        .size:           4
        .value_kind:     by_value
      - .offset:         108
        .size:           4
        .value_kind:     by_value
      - .offset:         112
        .size:           4
        .value_kind:     by_value
      - .offset:         116
        .size:           4
        .value_kind:     by_value
      - .offset:         120
        .size:           4
        .value_kind:     by_value
      - .offset:         124
        .size:           4
        .value_kind:     by_value
      - .offset:         128
        .size:           4
        .value_kind:     by_value
      - .offset:         132
        .size:           4
        .value_kind:     by_value
      - .offset:         136
        .size:           4
        .value_kind:     by_value
      - .offset:         140
        .size:           4
        .value_kind:     by_value
      - .offset:         144
        .size:           4
        .value_kind:     by_value
      - .offset:         152
        .size:           8
        .value_kind:     by_value
      - .offset:         160
        .size:           4
        .value_kind:     by_value
      - .offset:         164
        .size:           4
        .value_kind:     by_value
      - .offset:         168
        .size:           8
        .value_kind:     by_value
      - .offset:         176
        .size:           4
        .value_kind:     by_value
      - .offset:         180
        .size:           4
        .value_kind:     by_value
      - .offset:         184
        .size:           4
        .value_kind:     by_value
      - .offset:         188
        .size:           4
        .value_kind:     by_value
      - .offset:         192
        .size:           4
        .value_kind:     by_value
      - .offset:         200
        .size:           8
        .value_kind:     by_value
      - .offset:         208
        .size:           4
        .value_kind:     hidden_block_count_x
      - .offset:         212
        .size:           4
        .value_kind:     hidden_block_count_y
      - .offset:         216
        .size:           4
        .value_kind:     hidden_block_count_z
      - .offset:         220
        .size:           2
        .value_kind:     hidden_group_size_x
      - .offset:         222
        .size:           2
        .value_kind:     hidden_group_size_y
      - .offset:         224
        .size:           2
        .value_kind:     hidden_group_size_z
      - .offset:         226
        .size:           2
        .value_kind:     hidden_remainder_x
      - .offset:         228
        .size:           2
        .value_kind:     hidden_remainder_y
      - .offset:         230
        .size:           2
        .value_kind:     hidden_remainder_z
      - .offset:         248
        .size:           8
        .value_kind:     hidden_global_offset_x
      - .offset:         256
        .size:           8
        .value_kind:     hidden_global_offset_y
      - .offset:         264
        .size:           8
        .value_kind:     hidden_global_offset_z
      - .offset:         272
        .size:           2
        .value_kind:     hidden_grid_dims
    .group_segment_fixed_size: 17408
    .kernarg_segment_align: 8
    .kernarg_segment_size: 464
    .language:       OpenCL C
    .language_version:
      - 2
      - 0
    .max_flat_workgroup_size: 128
    .name:           _ZL15flash_attn_tileILi64ELi64ELi4ELi8ELb0EEvPKcS1_S1_S1_S1_PKiPfP15HIP_vector_typeIfLj2EEffffjfiS5_IjLj3EEiiiiiiiiiiiliiliiiiil
    .private_segment_fixed_size: 0
    .sgpr_count:     45
    .sgpr_spill_count: 0
    .symbol:         _ZL15flash_attn_tileILi64ELi64ELi4ELi8ELb0EEvPKcS1_S1_S1_S1_PKiPfP15HIP_vector_typeIfLj2EEffffjfiS5_IjLj3EEiiiiiiiiiiiliiliiiiil.kd
    .uniform_work_group_size: 1
    .uses_dynamic_stack: false
    .vgpr_count:     140
    .vgpr_spill_count: 0
    .wavefront_size: 32
  - .args:
      - .actual_access:  read_only
        .address_space:  global
        .offset:         0
        .size:           8
        .value_kind:     global_buffer
      - .actual_access:  write_only
        .address_space:  global
        .offset:         8
        .size:           8
        .value_kind:     global_buffer
      - .offset:         16
        .size:           4
        .value_kind:     by_value
      - .offset:         20
        .size:           4
        .value_kind:     by_value
      - .offset:         24
        .size:           4
        .value_kind:     by_value
      - .offset:         32
        .size:           4
        .value_kind:     hidden_block_count_x
      - .offset:         36
        .size:           4
        .value_kind:     hidden_block_count_y
      - .offset:         40
        .size:           4
        .value_kind:     hidden_block_count_z
      - .offset:         44
        .size:           2
        .value_kind:     hidden_group_size_x
      - .offset:         46
        .size:           2
        .value_kind:     hidden_group_size_y
      - .offset:         48
        .size:           2
        .value_kind:     hidden_group_size_z
      - .offset:         50
        .size:           2
        .value_kind:     hidden_remainder_x
      - .offset:         52
        .size:           2
        .value_kind:     hidden_remainder_y
      - .offset:         54
        .size:           2
        .value_kind:     hidden_remainder_z
      - .offset:         72
        .size:           8
        .value_kind:     hidden_global_offset_x
      - .offset:         80
        .size:           8
        .value_kind:     hidden_global_offset_y
      - .offset:         88
        .size:           8
        .value_kind:     hidden_global_offset_z
      - .offset:         96
        .size:           2
        .value_kind:     hidden_grid_dims
    .group_segment_fixed_size: 128
    .kernarg_segment_align: 8
    .kernarg_segment_size: 288
    .language:       OpenCL C
    .language_version:
      - 2
      - 0
    .max_flat_workgroup_size: 128
    .name:           _ZL25flash_attn_mask_to_KV_maxILi4EEvPK7__half2Piiii
    .private_segment_fixed_size: 0
    .sgpr_count:     21
    .sgpr_spill_count: 0
    .symbol:         _ZL25flash_attn_mask_to_KV_maxILi4EEvPK7__half2Piiii.kd
    .uniform_work_group_size: 1
    .uses_dynamic_stack: false
    .vgpr_count:     6
    .vgpr_spill_count: 0
    .wavefront_size: 32
  - .args:
      - .address_space:  global
        .offset:         0
        .size:           8
        .value_kind:     global_buffer
      - .address_space:  global
        .offset:         8
        .size:           8
        .value_kind:     global_buffer
      - .offset:         16
        .size:           4
        .value_kind:     by_value
      - .offset:         20
        .size:           4
        .value_kind:     by_value
      - .offset:         24
        .size:           4
        .value_kind:     by_value
      - .offset:         28
        .size:           4
        .value_kind:     by_value
      - .offset:         32
        .size:           4
        .value_kind:     by_value
      - .offset:         36
        .size:           4
        .value_kind:     by_value
      - .offset:         40
        .size:           12
        .value_kind:     by_value
      - .offset:         52
        .size:           12
        .value_kind:     by_value
      - .offset:         64
        .size:           12
        .value_kind:     by_value
    .group_segment_fixed_size: 0
    .kernarg_segment_align: 8
    .kernarg_segment_size: 76
    .language:       OpenCL C
    .language_version:
      - 2
      - 0
    .max_flat_workgroup_size: 64
    .name:           _ZL33flash_attn_stream_k_fixup_uniformILi64ELi4ELi8EEvPfPK15HIP_vector_typeIfLj2EEiiiiiiS1_IjLj3EES5_S5_
    .private_segment_fixed_size: 0
    .sgpr_count:     23
    .sgpr_spill_count: 0
    .symbol:         _ZL33flash_attn_stream_k_fixup_uniformILi64ELi4ELi8EEvPfPK15HIP_vector_typeIfLj2EEiiiiiiS1_IjLj3EES5_S5_.kd
    .uniform_work_group_size: 1
    .uses_dynamic_stack: false
    .vgpr_count:     12
    .vgpr_spill_count: 0
    .wavefront_size: 32
  - .args:
      - .address_space:  global
        .offset:         0
        .size:           8
        .value_kind:     global_buffer
      - .address_space:  global
        .offset:         8
        .size:           8
        .value_kind:     global_buffer
      - .offset:         16
        .size:           4
        .value_kind:     by_value
      - .offset:         20
        .size:           4
        .value_kind:     by_value
      - .offset:         24
        .size:           4
        .value_kind:     by_value
      - .offset:         28
        .size:           4
        .value_kind:     by_value
      - .offset:         32
        .size:           12
        .value_kind:     by_value
      - .offset:         44
        .size:           12
        .value_kind:     by_value
      - .offset:         56
        .size:           12
        .value_kind:     by_value
      - .offset:         68
        .size:           12
        .value_kind:     by_value
      - .offset:         80
        .size:           4
        .value_kind:     hidden_block_count_x
      - .offset:         84
        .size:           4
        .value_kind:     hidden_block_count_y
      - .offset:         88
        .size:           4
        .value_kind:     hidden_block_count_z
      - .offset:         92
        .size:           2
        .value_kind:     hidden_group_size_x
      - .offset:         94
        .size:           2
        .value_kind:     hidden_group_size_y
      - .offset:         96
        .size:           2
        .value_kind:     hidden_group_size_z
      - .offset:         98
        .size:           2
        .value_kind:     hidden_remainder_x
      - .offset:         100
        .size:           2
        .value_kind:     hidden_remainder_y
      - .offset:         102
        .size:           2
        .value_kind:     hidden_remainder_z
      - .offset:         120
        .size:           8
        .value_kind:     hidden_global_offset_x
      - .offset:         128
        .size:           8
        .value_kind:     hidden_global_offset_y
      - .offset:         136
        .size:           8
        .value_kind:     hidden_global_offset_z
      - .offset:         144
        .size:           2
        .value_kind:     hidden_grid_dims
    .group_segment_fixed_size: 0
    .kernarg_segment_align: 8
    .kernarg_segment_size: 336
    .language:       OpenCL C
    .language_version:
      - 2
      - 0
    .max_flat_workgroup_size: 64
    .name:           _ZL33flash_attn_stream_k_fixup_generalILi64ELi4ELi8EEvPfPK15HIP_vector_typeIfLj2EEiiiiS1_IjLj3EES5_S5_S5_
    .private_segment_fixed_size: 0
    .sgpr_count:     48
    .sgpr_spill_count: 0
    .symbol:         _ZL33flash_attn_stream_k_fixup_generalILi64ELi4ELi8EEvPfPK15HIP_vector_typeIfLj2EEiiiiS1_IjLj3EES5_S5_S5_.kd
    .uniform_work_group_size: 1
    .uses_dynamic_stack: false
    .vgpr_count:     12
    .vgpr_spill_count: 0
    .wavefront_size: 32
  - .args:
      - .address_space:  global
        .offset:         0
        .size:           8
        .value_kind:     global_buffer
      - .address_space:  global
        .offset:         8
        .size:           8
        .value_kind:     global_buffer
      - .address_space:  global
        .offset:         16
        .size:           8
        .value_kind:     global_buffer
      - .address_space:  global
        .offset:         24
        .size:           8
        .value_kind:     global_buffer
      - .address_space:  global
        .offset:         32
        .size:           8
        .value_kind:     global_buffer
      - .address_space:  global
        .offset:         40
        .size:           8
        .value_kind:     global_buffer
      - .address_space:  global
        .offset:         48
        .size:           8
        .value_kind:     global_buffer
      - .address_space:  global
        .offset:         56
        .size:           8
        .value_kind:     global_buffer
      - .offset:         64
        .size:           4
        .value_kind:     by_value
      - .offset:         68
        .size:           4
        .value_kind:     by_value
      - .offset:         72
        .size:           4
        .value_kind:     by_value
      - .offset:         76
        .size:           4
        .value_kind:     by_value
      - .offset:         80
        .size:           4
        .value_kind:     by_value
      - .offset:         84
        .size:           4
        .value_kind:     by_value
      - .offset:         88
        .size:           4
        .value_kind:     by_value
      - .offset:         92
        .size:           12
        .value_kind:     by_value
      - .offset:         104
        .size:           4
        .value_kind:     by_value
      - .offset:         108
        .size:           4
        .value_kind:     by_value
      - .offset:         112
        .size:           4
        .value_kind:     by_value
      - .offset:         116
        .size:           4
        .value_kind:     by_value
      - .offset:         120
        .size:           4
        .value_kind:     by_value
      - .offset:         124
        .size:           4
        .value_kind:     by_value
      - .offset:         128
        .size:           4
        .value_kind:     by_value
      - .offset:         132
        .size:           4
        .value_kind:     by_value
      - .offset:         136
        .size:           4
        .value_kind:     by_value
      - .offset:         140
        .size:           4
        .value_kind:     by_value
      - .offset:         144
        .size:           4
        .value_kind:     by_value
      - .offset:         152
        .size:           8
        .value_kind:     by_value
      - .offset:         160
        .size:           4
        .value_kind:     by_value
      - .offset:         164
        .size:           4
        .value_kind:     by_value
      - .offset:         168
        .size:           8
        .value_kind:     by_value
      - .offset:         176
        .size:           4
        .value_kind:     by_value
      - .offset:         180
        .size:           4
        .value_kind:     by_value
      - .offset:         184
        .size:           4
        .value_kind:     by_value
      - .offset:         188
        .size:           4
        .value_kind:     by_value
      - .offset:         192
        .size:           4
        .value_kind:     by_value
      - .offset:         200
        .size:           8
        .value_kind:     by_value
      - .offset:         208
        .size:           4
        .value_kind:     hidden_block_count_x
      - .offset:         212
        .size:           4
        .value_kind:     hidden_block_count_y
      - .offset:         216
        .size:           4
        .value_kind:     hidden_block_count_z
      - .offset:         220
        .size:           2
        .value_kind:     hidden_group_size_x
      - .offset:         222
        .size:           2
        .value_kind:     hidden_group_size_y
      - .offset:         224
        .size:           2
        .value_kind:     hidden_group_size_z
      - .offset:         226
        .size:           2
        .value_kind:     hidden_remainder_x
      - .offset:         228
        .size:           2
        .value_kind:     hidden_remainder_y
      - .offset:         230
        .size:           2
        .value_kind:     hidden_remainder_z
      - .offset:         248
        .size:           8
        .value_kind:     hidden_global_offset_x
      - .offset:         256
        .size:           8
        .value_kind:     hidden_global_offset_y
      - .offset:         264
        .size:           8
        .value_kind:     hidden_global_offset_z
      - .offset:         272
        .size:           2
        .value_kind:     hidden_grid_dims
    .group_segment_fixed_size: 24576
    .kernarg_segment_align: 8
    .kernarg_segment_size: 464
    .language:       OpenCL C
    .language_version:
      - 2
      - 0
    .max_flat_workgroup_size: 128
    .name:           _ZL15flash_attn_tileILi64ELi64ELi2ELi8ELb0EEvPKcS1_S1_S1_S1_PKiPfP15HIP_vector_typeIfLj2EEffffjfiS5_IjLj3EEiiiiiiiiiiiliiliiiiil
    .private_segment_fixed_size: 0
    .sgpr_count:     44
    .sgpr_spill_count: 0
    .symbol:         _ZL15flash_attn_tileILi64ELi64ELi2ELi8ELb0EEvPKcS1_S1_S1_S1_PKiPfP15HIP_vector_typeIfLj2EEffffjfiS5_IjLj3EEiiiiiiiiiiiliiliiiiil.kd
    .uniform_work_group_size: 1
    .uses_dynamic_stack: false
    .vgpr_count:     136
    .vgpr_spill_count: 0
    .wavefront_size: 32
  - .args:
      - .actual_access:  read_only
        .address_space:  global
        .offset:         0
        .size:           8
        .value_kind:     global_buffer
      - .actual_access:  write_only
        .address_space:  global
        .offset:         8
        .size:           8
        .value_kind:     global_buffer
      - .offset:         16
        .size:           4
        .value_kind:     by_value
      - .offset:         20
        .size:           4
        .value_kind:     by_value
      - .offset:         24
        .size:           4
        .value_kind:     by_value
      - .offset:         32
        .size:           4
        .value_kind:     hidden_block_count_x
      - .offset:         36
        .size:           4
        .value_kind:     hidden_block_count_y
      - .offset:         40
        .size:           4
        .value_kind:     hidden_block_count_z
      - .offset:         44
        .size:           2
        .value_kind:     hidden_group_size_x
      - .offset:         46
        .size:           2
        .value_kind:     hidden_group_size_y
      - .offset:         48
        .size:           2
        .value_kind:     hidden_group_size_z
      - .offset:         50
        .size:           2
        .value_kind:     hidden_remainder_x
      - .offset:         52
        .size:           2
        .value_kind:     hidden_remainder_y
      - .offset:         54
        .size:           2
        .value_kind:     hidden_remainder_z
      - .offset:         72
        .size:           8
        .value_kind:     hidden_global_offset_x
      - .offset:         80
        .size:           8
        .value_kind:     hidden_global_offset_y
      - .offset:         88
        .size:           8
        .value_kind:     hidden_global_offset_z
      - .offset:         96
        .size:           2
        .value_kind:     hidden_grid_dims
    .group_segment_fixed_size: 128
    .kernarg_segment_align: 8
    .kernarg_segment_size: 288
    .language:       OpenCL C
    .language_version:
      - 2
      - 0
    .max_flat_workgroup_size: 128
    .name:           _ZL25flash_attn_mask_to_KV_maxILi2EEvPK7__half2Piiii
    .private_segment_fixed_size: 0
    .sgpr_count:     17
    .sgpr_spill_count: 0
    .symbol:         _ZL25flash_attn_mask_to_KV_maxILi2EEvPK7__half2Piiii.kd
    .uniform_work_group_size: 1
    .uses_dynamic_stack: false
    .vgpr_count:     6
    .vgpr_spill_count: 0
    .wavefront_size: 32
  - .args:
      - .address_space:  global
        .offset:         0
        .size:           8
        .value_kind:     global_buffer
      - .address_space:  global
        .offset:         8
        .size:           8
        .value_kind:     global_buffer
      - .offset:         16
        .size:           4
        .value_kind:     by_value
      - .offset:         20
        .size:           4
        .value_kind:     by_value
      - .offset:         24
        .size:           4
        .value_kind:     by_value
      - .offset:         28
        .size:           4
        .value_kind:     by_value
      - .offset:         32
        .size:           4
        .value_kind:     by_value
      - .offset:         36
        .size:           4
        .value_kind:     by_value
      - .offset:         40
        .size:           12
        .value_kind:     by_value
      - .offset:         52
        .size:           12
        .value_kind:     by_value
      - .offset:         64
        .size:           12
        .value_kind:     by_value
    .group_segment_fixed_size: 0
    .kernarg_segment_align: 8
    .kernarg_segment_size: 76
    .language:       OpenCL C
    .language_version:
      - 2
      - 0
    .max_flat_workgroup_size: 64
    .name:           _ZL33flash_attn_stream_k_fixup_uniformILi64ELi2ELi8EEvPfPK15HIP_vector_typeIfLj2EEiiiiiiS1_IjLj3EES5_S5_
    .private_segment_fixed_size: 0
    .sgpr_count:     23
    .sgpr_spill_count: 0
    .symbol:         _ZL33flash_attn_stream_k_fixup_uniformILi64ELi2ELi8EEvPfPK15HIP_vector_typeIfLj2EEiiiiiiS1_IjLj3EES5_S5_.kd
    .uniform_work_group_size: 1
    .uses_dynamic_stack: false
    .vgpr_count:     12
    .vgpr_spill_count: 0
    .wavefront_size: 32
  - .args:
      - .address_space:  global
        .offset:         0
        .size:           8
        .value_kind:     global_buffer
      - .address_space:  global
        .offset:         8
        .size:           8
        .value_kind:     global_buffer
      - .offset:         16
        .size:           4
        .value_kind:     by_value
      - .offset:         20
        .size:           4
        .value_kind:     by_value
      - .offset:         24
        .size:           4
        .value_kind:     by_value
      - .offset:         28
        .size:           4
        .value_kind:     by_value
      - .offset:         32
        .size:           12
        .value_kind:     by_value
      - .offset:         44
        .size:           12
        .value_kind:     by_value
      - .offset:         56
        .size:           12
        .value_kind:     by_value
      - .offset:         68
        .size:           12
        .value_kind:     by_value
      - .offset:         80
        .size:           4
        .value_kind:     hidden_block_count_x
      - .offset:         84
        .size:           4
        .value_kind:     hidden_block_count_y
      - .offset:         88
        .size:           4
        .value_kind:     hidden_block_count_z
      - .offset:         92
        .size:           2
        .value_kind:     hidden_group_size_x
      - .offset:         94
        .size:           2
        .value_kind:     hidden_group_size_y
      - .offset:         96
        .size:           2
        .value_kind:     hidden_group_size_z
      - .offset:         98
        .size:           2
        .value_kind:     hidden_remainder_x
      - .offset:         100
        .size:           2
        .value_kind:     hidden_remainder_y
      - .offset:         102
        .size:           2
        .value_kind:     hidden_remainder_z
      - .offset:         120
        .size:           8
        .value_kind:     hidden_global_offset_x
      - .offset:         128
        .size:           8
        .value_kind:     hidden_global_offset_y
      - .offset:         136
        .size:           8
        .value_kind:     hidden_global_offset_z
      - .offset:         144
        .size:           2
        .value_kind:     hidden_grid_dims
    .group_segment_fixed_size: 0
    .kernarg_segment_align: 8
    .kernarg_segment_size: 336
    .language:       OpenCL C
    .language_version:
      - 2
      - 0
    .max_flat_workgroup_size: 64
    .name:           _ZL33flash_attn_stream_k_fixup_generalILi64ELi2ELi8EEvPfPK15HIP_vector_typeIfLj2EEiiiiS1_IjLj3EES5_S5_S5_
    .private_segment_fixed_size: 0
    .sgpr_count:     48
    .sgpr_spill_count: 0
    .symbol:         _ZL33flash_attn_stream_k_fixup_generalILi64ELi2ELi8EEvPfPK15HIP_vector_typeIfLj2EEiiiiS1_IjLj3EES5_S5_S5_.kd
    .uniform_work_group_size: 1
    .uses_dynamic_stack: false
    .vgpr_count:     12
    .vgpr_spill_count: 0
    .wavefront_size: 32
  - .args:
      - .address_space:  global
        .offset:         0
        .size:           8
        .value_kind:     global_buffer
      - .address_space:  global
        .offset:         8
        .size:           8
        .value_kind:     global_buffer
      - .address_space:  global
        .offset:         16
        .size:           8
        .value_kind:     global_buffer
      - .address_space:  global
        .offset:         24
        .size:           8
        .value_kind:     global_buffer
      - .address_space:  global
        .offset:         32
        .size:           8
        .value_kind:     global_buffer
      - .address_space:  global
        .offset:         40
        .size:           8
        .value_kind:     global_buffer
      - .address_space:  global
        .offset:         48
        .size:           8
        .value_kind:     global_buffer
      - .address_space:  global
        .offset:         56
        .size:           8
        .value_kind:     global_buffer
      - .offset:         64
        .size:           4
        .value_kind:     by_value
      - .offset:         68
        .size:           4
        .value_kind:     by_value
      - .offset:         72
        .size:           4
        .value_kind:     by_value
      - .offset:         76
        .size:           4
        .value_kind:     by_value
      - .offset:         80
        .size:           4
        .value_kind:     by_value
      - .offset:         84
        .size:           4
        .value_kind:     by_value
      - .offset:         88
        .size:           4
        .value_kind:     by_value
      - .offset:         92
        .size:           12
        .value_kind:     by_value
      - .offset:         104
        .size:           4
        .value_kind:     by_value
      - .offset:         108
        .size:           4
        .value_kind:     by_value
      - .offset:         112
        .size:           4
        .value_kind:     by_value
      - .offset:         116
        .size:           4
        .value_kind:     by_value
      - .offset:         120
        .size:           4
        .value_kind:     by_value
      - .offset:         124
        .size:           4
        .value_kind:     by_value
      - .offset:         128
        .size:           4
        .value_kind:     by_value
      - .offset:         132
        .size:           4
        .value_kind:     by_value
      - .offset:         136
        .size:           4
        .value_kind:     by_value
      - .offset:         140
        .size:           4
        .value_kind:     by_value
      - .offset:         144
        .size:           4
        .value_kind:     by_value
      - .offset:         152
        .size:           8
        .value_kind:     by_value
      - .offset:         160
        .size:           4
        .value_kind:     by_value
      - .offset:         164
        .size:           4
        .value_kind:     by_value
      - .offset:         168
        .size:           8
        .value_kind:     by_value
      - .offset:         176
        .size:           4
        .value_kind:     by_value
      - .offset:         180
        .size:           4
        .value_kind:     by_value
      - .offset:         184
        .size:           4
        .value_kind:     by_value
      - .offset:         188
        .size:           4
        .value_kind:     by_value
      - .offset:         192
        .size:           4
        .value_kind:     by_value
      - .offset:         200
        .size:           8
        .value_kind:     by_value
      - .offset:         208
        .size:           4
        .value_kind:     hidden_block_count_x
      - .offset:         212
        .size:           4
        .value_kind:     hidden_block_count_y
      - .offset:         216
        .size:           4
        .value_kind:     hidden_block_count_z
      - .offset:         220
        .size:           2
        .value_kind:     hidden_group_size_x
      - .offset:         222
        .size:           2
        .value_kind:     hidden_group_size_y
      - .offset:         224
        .size:           2
        .value_kind:     hidden_group_size_z
      - .offset:         226
        .size:           2
        .value_kind:     hidden_remainder_x
      - .offset:         228
        .size:           2
        .value_kind:     hidden_remainder_y
      - .offset:         230
        .size:           2
        .value_kind:     hidden_remainder_z
      - .offset:         248
        .size:           8
        .value_kind:     hidden_global_offset_x
      - .offset:         256
        .size:           8
        .value_kind:     hidden_global_offset_y
      - .offset:         264
        .size:           8
        .value_kind:     hidden_global_offset_z
      - .offset:         272
        .size:           2
        .value_kind:     hidden_grid_dims
    .group_segment_fixed_size: 21504
    .kernarg_segment_align: 8
    .kernarg_segment_size: 464
    .language:       OpenCL C
    .language_version:
      - 2
      - 0
    .max_flat_workgroup_size: 128
    .name:           _ZL15flash_attn_tileILi64ELi64ELi1ELi8ELb0EEvPKcS1_S1_S1_S1_PKiPfP15HIP_vector_typeIfLj2EEffffjfiS5_IjLj3EEiiiiiiiiiiiliiliiiiil
    .private_segment_fixed_size: 0
    .sgpr_count:     45
    .sgpr_spill_count: 0
    .symbol:         _ZL15flash_attn_tileILi64ELi64ELi1ELi8ELb0EEvPKcS1_S1_S1_S1_PKiPfP15HIP_vector_typeIfLj2EEffffjfiS5_IjLj3EEiiiiiiiiiiiliiliiiiil.kd
    .uniform_work_group_size: 1
    .uses_dynamic_stack: false
    .vgpr_count:     122
    .vgpr_spill_count: 0
    .wavefront_size: 32
  - .args:
      - .actual_access:  read_only
        .address_space:  global
        .offset:         0
        .size:           8
        .value_kind:     global_buffer
      - .actual_access:  write_only
        .address_space:  global
        .offset:         8
        .size:           8
        .value_kind:     global_buffer
      - .offset:         16
        .size:           4
        .value_kind:     by_value
      - .offset:         20
        .size:           4
        .value_kind:     by_value
      - .offset:         24
        .size:           4
        .value_kind:     by_value
      - .offset:         32
        .size:           4
        .value_kind:     hidden_block_count_x
      - .offset:         36
        .size:           4
        .value_kind:     hidden_block_count_y
      - .offset:         40
        .size:           4
        .value_kind:     hidden_block_count_z
      - .offset:         44
        .size:           2
        .value_kind:     hidden_group_size_x
      - .offset:         46
        .size:           2
        .value_kind:     hidden_group_size_y
      - .offset:         48
        .size:           2
        .value_kind:     hidden_group_size_z
      - .offset:         50
        .size:           2
        .value_kind:     hidden_remainder_x
      - .offset:         52
        .size:           2
        .value_kind:     hidden_remainder_y
      - .offset:         54
        .size:           2
        .value_kind:     hidden_remainder_z
      - .offset:         72
        .size:           8
        .value_kind:     hidden_global_offset_x
      - .offset:         80
        .size:           8
        .value_kind:     hidden_global_offset_y
      - .offset:         88
        .size:           8
        .value_kind:     hidden_global_offset_z
      - .offset:         96
        .size:           2
        .value_kind:     hidden_grid_dims
    .group_segment_fixed_size: 128
    .kernarg_segment_align: 8
    .kernarg_segment_size: 288
    .language:       OpenCL C
    .language_version:
      - 2
      - 0
    .max_flat_workgroup_size: 128
    .name:           _ZL25flash_attn_mask_to_KV_maxILi1EEvPK7__half2Piiii
    .private_segment_fixed_size: 0
    .sgpr_count:     15
    .sgpr_spill_count: 0
    .symbol:         _ZL25flash_attn_mask_to_KV_maxILi1EEvPK7__half2Piiii.kd
    .uniform_work_group_size: 1
    .uses_dynamic_stack: false
    .vgpr_count:     5
    .vgpr_spill_count: 0
    .wavefront_size: 32
  - .args:
      - .address_space:  global
        .offset:         0
        .size:           8
        .value_kind:     global_buffer
      - .address_space:  global
        .offset:         8
        .size:           8
        .value_kind:     global_buffer
      - .offset:         16
        .size:           4
        .value_kind:     by_value
      - .offset:         20
        .size:           4
        .value_kind:     by_value
      - .offset:         24
        .size:           4
        .value_kind:     by_value
      - .offset:         28
        .size:           4
        .value_kind:     by_value
      - .offset:         32
        .size:           4
        .value_kind:     by_value
      - .offset:         36
        .size:           4
        .value_kind:     by_value
      - .offset:         40
        .size:           12
        .value_kind:     by_value
      - .offset:         52
        .size:           12
        .value_kind:     by_value
      - .offset:         64
        .size:           12
        .value_kind:     by_value
    .group_segment_fixed_size: 0
    .kernarg_segment_align: 8
    .kernarg_segment_size: 76
    .language:       OpenCL C
    .language_version:
      - 2
      - 0
    .max_flat_workgroup_size: 64
    .name:           _ZL33flash_attn_stream_k_fixup_uniformILi64ELi1ELi8EEvPfPK15HIP_vector_typeIfLj2EEiiiiiiS1_IjLj3EES5_S5_
    .private_segment_fixed_size: 0
    .sgpr_count:     23
    .sgpr_spill_count: 0
    .symbol:         _ZL33flash_attn_stream_k_fixup_uniformILi64ELi1ELi8EEvPfPK15HIP_vector_typeIfLj2EEiiiiiiS1_IjLj3EES5_S5_.kd
    .uniform_work_group_size: 1
    .uses_dynamic_stack: false
    .vgpr_count:     12
    .vgpr_spill_count: 0
    .wavefront_size: 32
  - .args:
      - .address_space:  global
        .offset:         0
        .size:           8
        .value_kind:     global_buffer
      - .address_space:  global
        .offset:         8
        .size:           8
        .value_kind:     global_buffer
      - .offset:         16
        .size:           4
        .value_kind:     by_value
      - .offset:         20
        .size:           4
        .value_kind:     by_value
      - .offset:         24
        .size:           4
        .value_kind:     by_value
      - .offset:         28
        .size:           4
        .value_kind:     by_value
      - .offset:         32
        .size:           12
        .value_kind:     by_value
      - .offset:         44
        .size:           12
        .value_kind:     by_value
      - .offset:         56
        .size:           12
        .value_kind:     by_value
      - .offset:         68
        .size:           12
        .value_kind:     by_value
      - .offset:         80
        .size:           4
        .value_kind:     hidden_block_count_x
      - .offset:         84
        .size:           4
        .value_kind:     hidden_block_count_y
      - .offset:         88
        .size:           4
        .value_kind:     hidden_block_count_z
      - .offset:         92
        .size:           2
        .value_kind:     hidden_group_size_x
      - .offset:         94
        .size:           2
        .value_kind:     hidden_group_size_y
      - .offset:         96
        .size:           2
        .value_kind:     hidden_group_size_z
      - .offset:         98
        .size:           2
        .value_kind:     hidden_remainder_x
      - .offset:         100
        .size:           2
        .value_kind:     hidden_remainder_y
      - .offset:         102
        .size:           2
        .value_kind:     hidden_remainder_z
      - .offset:         120
        .size:           8
        .value_kind:     hidden_global_offset_x
      - .offset:         128
        .size:           8
        .value_kind:     hidden_global_offset_y
      - .offset:         136
        .size:           8
        .value_kind:     hidden_global_offset_z
      - .offset:         144
        .size:           2
        .value_kind:     hidden_grid_dims
    .group_segment_fixed_size: 0
    .kernarg_segment_align: 8
    .kernarg_segment_size: 336
    .language:       OpenCL C
    .language_version:
      - 2
      - 0
    .max_flat_workgroup_size: 64
    .name:           _ZL33flash_attn_stream_k_fixup_generalILi64ELi1ELi8EEvPfPK15HIP_vector_typeIfLj2EEiiiiS1_IjLj3EES5_S5_S5_
    .private_segment_fixed_size: 0
    .sgpr_count:     48
    .sgpr_spill_count: 0
    .symbol:         _ZL33flash_attn_stream_k_fixup_generalILi64ELi1ELi8EEvPfPK15HIP_vector_typeIfLj2EEiiiiS1_IjLj3EES5_S5_S5_.kd
    .uniform_work_group_size: 1
    .uses_dynamic_stack: false
    .vgpr_count:     12
    .vgpr_spill_count: 0
    .wavefront_size: 32
  - .args:
      - .address_space:  global
        .offset:         0
        .size:           8
        .value_kind:     global_buffer
      - .address_space:  global
        .offset:         8
        .size:           8
        .value_kind:     global_buffer
      - .address_space:  global
        .offset:         16
        .size:           8
        .value_kind:     global_buffer
      - .address_space:  global
        .offset:         24
        .size:           8
        .value_kind:     global_buffer
      - .address_space:  global
        .offset:         32
        .size:           8
        .value_kind:     global_buffer
      - .address_space:  global
        .offset:         40
        .size:           8
        .value_kind:     global_buffer
      - .address_space:  global
        .offset:         48
        .size:           8
        .value_kind:     global_buffer
      - .address_space:  global
        .offset:         56
        .size:           8
        .value_kind:     global_buffer
      - .offset:         64
        .size:           4
        .value_kind:     by_value
      - .offset:         68
        .size:           4
        .value_kind:     by_value
      - .offset:         72
        .size:           4
        .value_kind:     by_value
      - .offset:         76
        .size:           4
        .value_kind:     by_value
      - .offset:         80
        .size:           4
        .value_kind:     by_value
      - .offset:         84
        .size:           4
        .value_kind:     by_value
      - .offset:         88
        .size:           4
        .value_kind:     by_value
      - .offset:         92
        .size:           12
        .value_kind:     by_value
      - .offset:         104
        .size:           4
        .value_kind:     by_value
      - .offset:         108
        .size:           4
        .value_kind:     by_value
      - .offset:         112
        .size:           4
        .value_kind:     by_value
      - .offset:         116
        .size:           4
        .value_kind:     by_value
      - .offset:         120
        .size:           4
        .value_kind:     by_value
      - .offset:         124
        .size:           4
        .value_kind:     by_value
      - .offset:         128
        .size:           4
        .value_kind:     by_value
      - .offset:         132
        .size:           4
        .value_kind:     by_value
      - .offset:         136
        .size:           4
        .value_kind:     by_value
      - .offset:         140
        .size:           4
        .value_kind:     by_value
      - .offset:         144
        .size:           4
        .value_kind:     by_value
      - .offset:         152
        .size:           8
        .value_kind:     by_value
      - .offset:         160
        .size:           4
        .value_kind:     by_value
      - .offset:         164
        .size:           4
        .value_kind:     by_value
      - .offset:         168
        .size:           8
        .value_kind:     by_value
      - .offset:         176
        .size:           4
        .value_kind:     by_value
      - .offset:         180
        .size:           4
        .value_kind:     by_value
      - .offset:         184
        .size:           4
        .value_kind:     by_value
      - .offset:         188
        .size:           4
        .value_kind:     by_value
      - .offset:         192
        .size:           4
        .value_kind:     by_value
      - .offset:         200
        .size:           8
        .value_kind:     by_value
      - .offset:         208
        .size:           4
        .value_kind:     hidden_block_count_x
      - .offset:         212
        .size:           4
        .value_kind:     hidden_block_count_y
      - .offset:         216
        .size:           4
        .value_kind:     hidden_block_count_z
      - .offset:         220
        .size:           2
        .value_kind:     hidden_group_size_x
      - .offset:         222
        .size:           2
        .value_kind:     hidden_group_size_y
      - .offset:         224
        .size:           2
        .value_kind:     hidden_group_size_z
      - .offset:         226
        .size:           2
        .value_kind:     hidden_remainder_x
      - .offset:         228
        .size:           2
        .value_kind:     hidden_remainder_y
      - .offset:         230
        .size:           2
        .value_kind:     hidden_remainder_z
      - .offset:         248
        .size:           8
        .value_kind:     hidden_global_offset_x
      - .offset:         256
        .size:           8
        .value_kind:     hidden_global_offset_y
      - .offset:         264
        .size:           8
        .value_kind:     hidden_global_offset_z
      - .offset:         272
        .size:           2
        .value_kind:     hidden_grid_dims
    .group_segment_fixed_size: 25600
    .kernarg_segment_align: 8
    .kernarg_segment_size: 464
    .language:       OpenCL C
    .language_version:
      - 2
      - 0
    .max_flat_workgroup_size: 128
    .name:           _ZL15flash_attn_tileILi64ELi64ELi16ELi4ELb0EEvPKcS1_S1_S1_S1_PKiPfP15HIP_vector_typeIfLj2EEffffjfiS5_IjLj3EEiiiiiiiiiiiliiliiiiil
    .private_segment_fixed_size: 120
    .sgpr_count:     49
    .sgpr_spill_count: 0
    .symbol:         _ZL15flash_attn_tileILi64ELi64ELi16ELi4ELb0EEvPKcS1_S1_S1_S1_PKiPfP15HIP_vector_typeIfLj2EEffffjfiS5_IjLj3EEiiiiiiiiiiiliiliiiiil.kd
    .uniform_work_group_size: 1
    .uses_dynamic_stack: false
    .vgpr_count:     192
    .vgpr_spill_count: 29
    .wavefront_size: 32
  - .args:
      - .actual_access:  read_only
        .address_space:  global
        .offset:         0
        .size:           8
        .value_kind:     global_buffer
      - .actual_access:  write_only
        .address_space:  global
        .offset:         8
        .size:           8
        .value_kind:     global_buffer
      - .offset:         16
        .size:           4
        .value_kind:     by_value
      - .offset:         20
        .size:           4
        .value_kind:     by_value
      - .offset:         24
        .size:           4
        .value_kind:     by_value
      - .offset:         32
        .size:           4
        .value_kind:     hidden_block_count_x
      - .offset:         36
        .size:           4
        .value_kind:     hidden_block_count_y
      - .offset:         40
        .size:           4
        .value_kind:     hidden_block_count_z
      - .offset:         44
        .size:           2
        .value_kind:     hidden_group_size_x
      - .offset:         46
        .size:           2
        .value_kind:     hidden_group_size_y
      - .offset:         48
        .size:           2
        .value_kind:     hidden_group_size_z
      - .offset:         50
        .size:           2
        .value_kind:     hidden_remainder_x
      - .offset:         52
        .size:           2
        .value_kind:     hidden_remainder_y
      - .offset:         54
        .size:           2
        .value_kind:     hidden_remainder_z
      - .offset:         72
        .size:           8
        .value_kind:     hidden_global_offset_x
      - .offset:         80
        .size:           8
        .value_kind:     hidden_global_offset_y
      - .offset:         88
        .size:           8
        .value_kind:     hidden_global_offset_z
      - .offset:         96
        .size:           2
        .value_kind:     hidden_grid_dims
    .group_segment_fixed_size: 128
    .kernarg_segment_align: 8
    .kernarg_segment_size: 288
    .language:       OpenCL C
    .language_version:
      - 2
      - 0
    .max_flat_workgroup_size: 128
    .name:           _ZL25flash_attn_mask_to_KV_maxILi16EEvPK7__half2Piiii
    .private_segment_fixed_size: 0
    .sgpr_count:     46
    .sgpr_spill_count: 0
    .symbol:         _ZL25flash_attn_mask_to_KV_maxILi16EEvPK7__half2Piiii.kd
    .uniform_work_group_size: 1
    .uses_dynamic_stack: false
    .vgpr_count:     6
    .vgpr_spill_count: 0
    .wavefront_size: 32
  - .args:
      - .address_space:  global
        .offset:         0
        .size:           8
        .value_kind:     global_buffer
      - .address_space:  global
        .offset:         8
        .size:           8
        .value_kind:     global_buffer
      - .offset:         16
        .size:           4
        .value_kind:     by_value
      - .offset:         20
        .size:           4
        .value_kind:     by_value
      - .offset:         24
        .size:           4
        .value_kind:     by_value
      - .offset:         28
        .size:           4
        .value_kind:     by_value
      - .offset:         32
        .size:           4
        .value_kind:     by_value
      - .offset:         36
        .size:           4
        .value_kind:     by_value
      - .offset:         40
        .size:           12
        .value_kind:     by_value
      - .offset:         52
        .size:           12
        .value_kind:     by_value
      - .offset:         64
        .size:           12
        .value_kind:     by_value
    .group_segment_fixed_size: 0
    .kernarg_segment_align: 8
    .kernarg_segment_size: 76
    .language:       OpenCL C
    .language_version:
      - 2
      - 0
    .max_flat_workgroup_size: 64
    .name:           _ZL33flash_attn_stream_k_fixup_uniformILi64ELi16ELi4EEvPfPK15HIP_vector_typeIfLj2EEiiiiiiS1_IjLj3EES5_S5_
    .private_segment_fixed_size: 0
    .sgpr_count:     23
    .sgpr_spill_count: 0
    .symbol:         _ZL33flash_attn_stream_k_fixup_uniformILi64ELi16ELi4EEvPfPK15HIP_vector_typeIfLj2EEiiiiiiS1_IjLj3EES5_S5_.kd
    .uniform_work_group_size: 1
    .uses_dynamic_stack: false
    .vgpr_count:     12
    .vgpr_spill_count: 0
    .wavefront_size: 32
  - .args:
      - .address_space:  global
        .offset:         0
        .size:           8
        .value_kind:     global_buffer
      - .address_space:  global
        .offset:         8
        .size:           8
        .value_kind:     global_buffer
      - .offset:         16
        .size:           4
        .value_kind:     by_value
      - .offset:         20
        .size:           4
        .value_kind:     by_value
      - .offset:         24
        .size:           4
        .value_kind:     by_value
      - .offset:         28
        .size:           4
        .value_kind:     by_value
      - .offset:         32
        .size:           12
        .value_kind:     by_value
      - .offset:         44
        .size:           12
        .value_kind:     by_value
      - .offset:         56
        .size:           12
        .value_kind:     by_value
      - .offset:         68
        .size:           12
        .value_kind:     by_value
      - .offset:         80
        .size:           4
        .value_kind:     hidden_block_count_x
      - .offset:         84
        .size:           4
        .value_kind:     hidden_block_count_y
      - .offset:         88
        .size:           4
        .value_kind:     hidden_block_count_z
      - .offset:         92
        .size:           2
        .value_kind:     hidden_group_size_x
      - .offset:         94
        .size:           2
        .value_kind:     hidden_group_size_y
      - .offset:         96
        .size:           2
        .value_kind:     hidden_group_size_z
      - .offset:         98
        .size:           2
        .value_kind:     hidden_remainder_x
      - .offset:         100
        .size:           2
        .value_kind:     hidden_remainder_y
      - .offset:         102
        .size:           2
        .value_kind:     hidden_remainder_z
      - .offset:         120
        .size:           8
        .value_kind:     hidden_global_offset_x
      - .offset:         128
        .size:           8
        .value_kind:     hidden_global_offset_y
      - .offset:         136
        .size:           8
        .value_kind:     hidden_global_offset_z
      - .offset:         144
        .size:           2
        .value_kind:     hidden_grid_dims
    .group_segment_fixed_size: 0
    .kernarg_segment_align: 8
    .kernarg_segment_size: 336
    .language:       OpenCL C
    .language_version:
      - 2
      - 0
    .max_flat_workgroup_size: 64
    .name:           _ZL33flash_attn_stream_k_fixup_generalILi64ELi16ELi4EEvPfPK15HIP_vector_typeIfLj2EEiiiiS1_IjLj3EES5_S5_S5_
    .private_segment_fixed_size: 0
    .sgpr_count:     48
    .sgpr_spill_count: 0
    .symbol:         _ZL33flash_attn_stream_k_fixup_generalILi64ELi16ELi4EEvPfPK15HIP_vector_typeIfLj2EEiiiiS1_IjLj3EES5_S5_S5_.kd
    .uniform_work_group_size: 1
    .uses_dynamic_stack: false
    .vgpr_count:     12
    .vgpr_spill_count: 0
    .wavefront_size: 32
  - .args:
      - .address_space:  global
        .offset:         0
        .size:           8
        .value_kind:     global_buffer
      - .address_space:  global
        .offset:         8
        .size:           8
        .value_kind:     global_buffer
      - .address_space:  global
        .offset:         16
        .size:           8
        .value_kind:     global_buffer
      - .address_space:  global
        .offset:         24
        .size:           8
        .value_kind:     global_buffer
      - .address_space:  global
        .offset:         32
        .size:           8
        .value_kind:     global_buffer
      - .address_space:  global
        .offset:         40
        .size:           8
        .value_kind:     global_buffer
      - .address_space:  global
        .offset:         48
        .size:           8
        .value_kind:     global_buffer
      - .address_space:  global
        .offset:         56
        .size:           8
        .value_kind:     global_buffer
      - .offset:         64
        .size:           4
        .value_kind:     by_value
      - .offset:         68
        .size:           4
        .value_kind:     by_value
      - .offset:         72
        .size:           4
        .value_kind:     by_value
      - .offset:         76
        .size:           4
        .value_kind:     by_value
      - .offset:         80
        .size:           4
        .value_kind:     by_value
      - .offset:         84
        .size:           4
        .value_kind:     by_value
      - .offset:         88
        .size:           4
        .value_kind:     by_value
      - .offset:         92
        .size:           12
        .value_kind:     by_value
      - .offset:         104
        .size:           4
        .value_kind:     by_value
      - .offset:         108
        .size:           4
        .value_kind:     by_value
      - .offset:         112
        .size:           4
        .value_kind:     by_value
      - .offset:         116
        .size:           4
        .value_kind:     by_value
      - .offset:         120
        .size:           4
        .value_kind:     by_value
      - .offset:         124
        .size:           4
        .value_kind:     by_value
      - .offset:         128
        .size:           4
        .value_kind:     by_value
      - .offset:         132
        .size:           4
        .value_kind:     by_value
      - .offset:         136
        .size:           4
        .value_kind:     by_value
      - .offset:         140
        .size:           4
        .value_kind:     by_value
      - .offset:         144
        .size:           4
        .value_kind:     by_value
      - .offset:         152
        .size:           8
        .value_kind:     by_value
      - .offset:         160
        .size:           4
        .value_kind:     by_value
      - .offset:         164
        .size:           4
        .value_kind:     by_value
      - .offset:         168
        .size:           8
        .value_kind:     by_value
      - .offset:         176
        .size:           4
        .value_kind:     by_value
      - .offset:         180
        .size:           4
        .value_kind:     by_value
      - .offset:         184
        .size:           4
        .value_kind:     by_value
      - .offset:         188
        .size:           4
        .value_kind:     by_value
      - .offset:         192
        .size:           4
        .value_kind:     by_value
      - .offset:         200
        .size:           8
        .value_kind:     by_value
      - .offset:         208
        .size:           4
        .value_kind:     hidden_block_count_x
      - .offset:         212
        .size:           4
        .value_kind:     hidden_block_count_y
      - .offset:         216
        .size:           4
        .value_kind:     hidden_block_count_z
      - .offset:         220
        .size:           2
        .value_kind:     hidden_group_size_x
      - .offset:         222
        .size:           2
        .value_kind:     hidden_group_size_y
      - .offset:         224
        .size:           2
        .value_kind:     hidden_group_size_z
      - .offset:         226
        .size:           2
        .value_kind:     hidden_remainder_x
      - .offset:         228
        .size:           2
        .value_kind:     hidden_remainder_y
      - .offset:         230
        .size:           2
        .value_kind:     hidden_remainder_z
      - .offset:         248
        .size:           8
        .value_kind:     hidden_global_offset_x
      - .offset:         256
        .size:           8
        .value_kind:     hidden_global_offset_y
      - .offset:         264
        .size:           8
        .value_kind:     hidden_global_offset_z
      - .offset:         272
        .size:           2
        .value_kind:     hidden_grid_dims
    .group_segment_fixed_size: 17408
    .kernarg_segment_align: 8
    .kernarg_segment_size: 464
    .language:       OpenCL C
    .language_version:
      - 2
      - 0
    .max_flat_workgroup_size: 128
    .name:           _ZL15flash_attn_tileILi64ELi64ELi8ELi4ELb0EEvPKcS1_S1_S1_S1_PKiPfP15HIP_vector_typeIfLj2EEffffjfiS5_IjLj3EEiiiiiiiiiiiliiliiiiil
    .private_segment_fixed_size: 0
    .sgpr_count:     48
    .sgpr_spill_count: 0
    .symbol:         _ZL15flash_attn_tileILi64ELi64ELi8ELi4ELb0EEvPKcS1_S1_S1_S1_PKiPfP15HIP_vector_typeIfLj2EEffffjfiS5_IjLj3EEiiiiiiiiiiiliiliiiiil.kd
    .uniform_work_group_size: 1
    .uses_dynamic_stack: false
    .vgpr_count:     162
    .vgpr_spill_count: 0
    .wavefront_size: 32
  - .args:
      - .address_space:  global
        .offset:         0
        .size:           8
        .value_kind:     global_buffer
      - .address_space:  global
        .offset:         8
        .size:           8
        .value_kind:     global_buffer
      - .offset:         16
        .size:           4
        .value_kind:     by_value
      - .offset:         20
        .size:           4
        .value_kind:     by_value
      - .offset:         24
        .size:           4
        .value_kind:     by_value
      - .offset:         28
        .size:           4
        .value_kind:     by_value
      - .offset:         32
        .size:           4
        .value_kind:     by_value
      - .offset:         36
        .size:           4
        .value_kind:     by_value
      - .offset:         40
        .size:           12
        .value_kind:     by_value
      - .offset:         52
        .size:           12
        .value_kind:     by_value
      - .offset:         64
        .size:           12
        .value_kind:     by_value
    .group_segment_fixed_size: 0
    .kernarg_segment_align: 8
    .kernarg_segment_size: 76
    .language:       OpenCL C
    .language_version:
      - 2
      - 0
    .max_flat_workgroup_size: 64
    .name:           _ZL33flash_attn_stream_k_fixup_uniformILi64ELi8ELi4EEvPfPK15HIP_vector_typeIfLj2EEiiiiiiS1_IjLj3EES5_S5_
    .private_segment_fixed_size: 0
    .sgpr_count:     23
    .sgpr_spill_count: 0
    .symbol:         _ZL33flash_attn_stream_k_fixup_uniformILi64ELi8ELi4EEvPfPK15HIP_vector_typeIfLj2EEiiiiiiS1_IjLj3EES5_S5_.kd
    .uniform_work_group_size: 1
    .uses_dynamic_stack: false
    .vgpr_count:     12
    .vgpr_spill_count: 0
    .wavefront_size: 32
  - .args:
      - .address_space:  global
        .offset:         0
        .size:           8
        .value_kind:     global_buffer
      - .address_space:  global
        .offset:         8
        .size:           8
        .value_kind:     global_buffer
      - .offset:         16
        .size:           4
        .value_kind:     by_value
      - .offset:         20
        .size:           4
        .value_kind:     by_value
      - .offset:         24
        .size:           4
        .value_kind:     by_value
      - .offset:         28
        .size:           4
        .value_kind:     by_value
      - .offset:         32
        .size:           12
        .value_kind:     by_value
      - .offset:         44
        .size:           12
        .value_kind:     by_value
      - .offset:         56
        .size:           12
        .value_kind:     by_value
      - .offset:         68
        .size:           12
        .value_kind:     by_value
      - .offset:         80
        .size:           4
        .value_kind:     hidden_block_count_x
      - .offset:         84
        .size:           4
        .value_kind:     hidden_block_count_y
      - .offset:         88
        .size:           4
        .value_kind:     hidden_block_count_z
      - .offset:         92
        .size:           2
        .value_kind:     hidden_group_size_x
      - .offset:         94
        .size:           2
        .value_kind:     hidden_group_size_y
      - .offset:         96
        .size:           2
        .value_kind:     hidden_group_size_z
      - .offset:         98
        .size:           2
        .value_kind:     hidden_remainder_x
      - .offset:         100
        .size:           2
        .value_kind:     hidden_remainder_y
      - .offset:         102
        .size:           2
        .value_kind:     hidden_remainder_z
      - .offset:         120
        .size:           8
        .value_kind:     hidden_global_offset_x
      - .offset:         128
        .size:           8
        .value_kind:     hidden_global_offset_y
      - .offset:         136
        .size:           8
        .value_kind:     hidden_global_offset_z
      - .offset:         144
        .size:           2
        .value_kind:     hidden_grid_dims
    .group_segment_fixed_size: 0
    .kernarg_segment_align: 8
    .kernarg_segment_size: 336
    .language:       OpenCL C
    .language_version:
      - 2
      - 0
    .max_flat_workgroup_size: 64
    .name:           _ZL33flash_attn_stream_k_fixup_generalILi64ELi8ELi4EEvPfPK15HIP_vector_typeIfLj2EEiiiiS1_IjLj3EES5_S5_S5_
    .private_segment_fixed_size: 0
    .sgpr_count:     48
    .sgpr_spill_count: 0
    .symbol:         _ZL33flash_attn_stream_k_fixup_generalILi64ELi8ELi4EEvPfPK15HIP_vector_typeIfLj2EEiiiiS1_IjLj3EES5_S5_S5_.kd
    .uniform_work_group_size: 1
    .uses_dynamic_stack: false
    .vgpr_count:     12
    .vgpr_spill_count: 0
    .wavefront_size: 32
  - .args:
      - .address_space:  global
        .offset:         0
        .size:           8
        .value_kind:     global_buffer
      - .address_space:  global
        .offset:         8
        .size:           8
        .value_kind:     global_buffer
      - .address_space:  global
        .offset:         16
        .size:           8
        .value_kind:     global_buffer
      - .address_space:  global
        .offset:         24
        .size:           8
        .value_kind:     global_buffer
      - .address_space:  global
        .offset:         32
        .size:           8
        .value_kind:     global_buffer
      - .address_space:  global
        .offset:         40
        .size:           8
        .value_kind:     global_buffer
      - .address_space:  global
        .offset:         48
        .size:           8
        .value_kind:     global_buffer
      - .address_space:  global
        .offset:         56
        .size:           8
        .value_kind:     global_buffer
      - .offset:         64
        .size:           4
        .value_kind:     by_value
      - .offset:         68
        .size:           4
        .value_kind:     by_value
      - .offset:         72
        .size:           4
        .value_kind:     by_value
      - .offset:         76
        .size:           4
        .value_kind:     by_value
      - .offset:         80
        .size:           4
        .value_kind:     by_value
      - .offset:         84
        .size:           4
        .value_kind:     by_value
      - .offset:         88
        .size:           4
        .value_kind:     by_value
      - .offset:         92
        .size:           12
        .value_kind:     by_value
      - .offset:         104
        .size:           4
        .value_kind:     by_value
      - .offset:         108
        .size:           4
        .value_kind:     by_value
      - .offset:         112
        .size:           4
        .value_kind:     by_value
      - .offset:         116
        .size:           4
        .value_kind:     by_value
      - .offset:         120
        .size:           4
        .value_kind:     by_value
      - .offset:         124
        .size:           4
        .value_kind:     by_value
      - .offset:         128
        .size:           4
        .value_kind:     by_value
      - .offset:         132
        .size:           4
        .value_kind:     by_value
      - .offset:         136
        .size:           4
        .value_kind:     by_value
      - .offset:         140
        .size:           4
        .value_kind:     by_value
      - .offset:         144
        .size:           4
        .value_kind:     by_value
      - .offset:         152
        .size:           8
        .value_kind:     by_value
      - .offset:         160
        .size:           4
        .value_kind:     by_value
      - .offset:         164
        .size:           4
        .value_kind:     by_value
      - .offset:         168
        .size:           8
        .value_kind:     by_value
      - .offset:         176
        .size:           4
        .value_kind:     by_value
      - .offset:         180
        .size:           4
        .value_kind:     by_value
      - .offset:         184
        .size:           4
        .value_kind:     by_value
      - .offset:         188
        .size:           4
        .value_kind:     by_value
      - .offset:         192
        .size:           4
        .value_kind:     by_value
      - .offset:         200
        .size:           8
        .value_kind:     by_value
      - .offset:         208
        .size:           4
        .value_kind:     hidden_block_count_x
      - .offset:         212
        .size:           4
        .value_kind:     hidden_block_count_y
      - .offset:         216
        .size:           4
        .value_kind:     hidden_block_count_z
      - .offset:         220
        .size:           2
        .value_kind:     hidden_group_size_x
      - .offset:         222
        .size:           2
        .value_kind:     hidden_group_size_y
      - .offset:         224
        .size:           2
        .value_kind:     hidden_group_size_z
      - .offset:         226
        .size:           2
        .value_kind:     hidden_remainder_x
      - .offset:         228
        .size:           2
        .value_kind:     hidden_remainder_y
      - .offset:         230
        .size:           2
        .value_kind:     hidden_remainder_z
      - .offset:         248
        .size:           8
        .value_kind:     hidden_global_offset_x
      - .offset:         256
        .size:           8
        .value_kind:     hidden_global_offset_y
      - .offset:         264
        .size:           8
        .value_kind:     hidden_global_offset_z
      - .offset:         272
        .size:           2
        .value_kind:     hidden_grid_dims
    .group_segment_fixed_size: 24576
    .kernarg_segment_align: 8
    .kernarg_segment_size: 464
    .language:       OpenCL C
    .language_version:
      - 2
      - 0
    .max_flat_workgroup_size: 128
    .name:           _ZL15flash_attn_tileILi64ELi64ELi4ELi4ELb0EEvPKcS1_S1_S1_S1_PKiPfP15HIP_vector_typeIfLj2EEffffjfiS5_IjLj3EEiiiiiiiiiiiliiliiiiil
    .private_segment_fixed_size: 0
    .sgpr_count:     45
    .sgpr_spill_count: 0
    .symbol:         _ZL15flash_attn_tileILi64ELi64ELi4ELi4ELb0EEvPKcS1_S1_S1_S1_PKiPfP15HIP_vector_typeIfLj2EEffffjfiS5_IjLj3EEiiiiiiiiiiiliiliiiiil.kd
    .uniform_work_group_size: 1
    .uses_dynamic_stack: false
    .vgpr_count:     136
    .vgpr_spill_count: 0
    .wavefront_size: 32
  - .args:
      - .address_space:  global
        .offset:         0
        .size:           8
        .value_kind:     global_buffer
      - .address_space:  global
        .offset:         8
        .size:           8
        .value_kind:     global_buffer
      - .offset:         16
        .size:           4
        .value_kind:     by_value
      - .offset:         20
        .size:           4
        .value_kind:     by_value
      - .offset:         24
        .size:           4
        .value_kind:     by_value
      - .offset:         28
        .size:           4
        .value_kind:     by_value
      - .offset:         32
        .size:           4
        .value_kind:     by_value
      - .offset:         36
        .size:           4
        .value_kind:     by_value
      - .offset:         40
        .size:           12
        .value_kind:     by_value
      - .offset:         52
        .size:           12
        .value_kind:     by_value
      - .offset:         64
        .size:           12
        .value_kind:     by_value
    .group_segment_fixed_size: 0
    .kernarg_segment_align: 8
    .kernarg_segment_size: 76
    .language:       OpenCL C
    .language_version:
      - 2
      - 0
    .max_flat_workgroup_size: 64
    .name:           _ZL33flash_attn_stream_k_fixup_uniformILi64ELi4ELi4EEvPfPK15HIP_vector_typeIfLj2EEiiiiiiS1_IjLj3EES5_S5_
    .private_segment_fixed_size: 0
    .sgpr_count:     23
    .sgpr_spill_count: 0
    .symbol:         _ZL33flash_attn_stream_k_fixup_uniformILi64ELi4ELi4EEvPfPK15HIP_vector_typeIfLj2EEiiiiiiS1_IjLj3EES5_S5_.kd
    .uniform_work_group_size: 1
    .uses_dynamic_stack: false
    .vgpr_count:     12
    .vgpr_spill_count: 0
    .wavefront_size: 32
  - .args:
      - .address_space:  global
        .offset:         0
        .size:           8
        .value_kind:     global_buffer
      - .address_space:  global
        .offset:         8
        .size:           8
        .value_kind:     global_buffer
      - .offset:         16
        .size:           4
        .value_kind:     by_value
      - .offset:         20
        .size:           4
        .value_kind:     by_value
      - .offset:         24
        .size:           4
        .value_kind:     by_value
      - .offset:         28
        .size:           4
        .value_kind:     by_value
      - .offset:         32
        .size:           12
        .value_kind:     by_value
      - .offset:         44
        .size:           12
        .value_kind:     by_value
      - .offset:         56
        .size:           12
        .value_kind:     by_value
      - .offset:         68
        .size:           12
        .value_kind:     by_value
      - .offset:         80
        .size:           4
        .value_kind:     hidden_block_count_x
      - .offset:         84
        .size:           4
        .value_kind:     hidden_block_count_y
      - .offset:         88
        .size:           4
        .value_kind:     hidden_block_count_z
      - .offset:         92
        .size:           2
        .value_kind:     hidden_group_size_x
      - .offset:         94
        .size:           2
        .value_kind:     hidden_group_size_y
      - .offset:         96
        .size:           2
        .value_kind:     hidden_group_size_z
      - .offset:         98
        .size:           2
        .value_kind:     hidden_remainder_x
      - .offset:         100
        .size:           2
        .value_kind:     hidden_remainder_y
      - .offset:         102
        .size:           2
        .value_kind:     hidden_remainder_z
      - .offset:         120
        .size:           8
        .value_kind:     hidden_global_offset_x
      - .offset:         128
        .size:           8
        .value_kind:     hidden_global_offset_y
      - .offset:         136
        .size:           8
        .value_kind:     hidden_global_offset_z
      - .offset:         144
        .size:           2
        .value_kind:     hidden_grid_dims
    .group_segment_fixed_size: 0
    .kernarg_segment_align: 8
    .kernarg_segment_size: 336
    .language:       OpenCL C
    .language_version:
      - 2
      - 0
    .max_flat_workgroup_size: 64
    .name:           _ZL33flash_attn_stream_k_fixup_generalILi64ELi4ELi4EEvPfPK15HIP_vector_typeIfLj2EEiiiiS1_IjLj3EES5_S5_S5_
    .private_segment_fixed_size: 0
    .sgpr_count:     48
    .sgpr_spill_count: 0
    .symbol:         _ZL33flash_attn_stream_k_fixup_generalILi64ELi4ELi4EEvPfPK15HIP_vector_typeIfLj2EEiiiiS1_IjLj3EES5_S5_S5_.kd
    .uniform_work_group_size: 1
    .uses_dynamic_stack: false
    .vgpr_count:     12
    .vgpr_spill_count: 0
    .wavefront_size: 32
  - .args:
      - .address_space:  global
        .offset:         0
        .size:           8
        .value_kind:     global_buffer
      - .address_space:  global
        .offset:         8
        .size:           8
        .value_kind:     global_buffer
      - .address_space:  global
        .offset:         16
        .size:           8
        .value_kind:     global_buffer
      - .address_space:  global
        .offset:         24
        .size:           8
        .value_kind:     global_buffer
      - .address_space:  global
        .offset:         32
        .size:           8
        .value_kind:     global_buffer
      - .address_space:  global
        .offset:         40
        .size:           8
        .value_kind:     global_buffer
      - .address_space:  global
        .offset:         48
        .size:           8
        .value_kind:     global_buffer
      - .address_space:  global
        .offset:         56
        .size:           8
        .value_kind:     global_buffer
      - .offset:         64
        .size:           4
        .value_kind:     by_value
      - .offset:         68
        .size:           4
        .value_kind:     by_value
      - .offset:         72
        .size:           4
        .value_kind:     by_value
      - .offset:         76
        .size:           4
        .value_kind:     by_value
      - .offset:         80
        .size:           4
        .value_kind:     by_value
      - .offset:         84
        .size:           4
        .value_kind:     by_value
      - .offset:         88
        .size:           4
        .value_kind:     by_value
      - .offset:         92
        .size:           12
        .value_kind:     by_value
      - .offset:         104
        .size:           4
        .value_kind:     by_value
      - .offset:         108
        .size:           4
        .value_kind:     by_value
      - .offset:         112
        .size:           4
        .value_kind:     by_value
      - .offset:         116
        .size:           4
        .value_kind:     by_value
      - .offset:         120
        .size:           4
        .value_kind:     by_value
      - .offset:         124
        .size:           4
        .value_kind:     by_value
      - .offset:         128
        .size:           4
        .value_kind:     by_value
      - .offset:         132
        .size:           4
        .value_kind:     by_value
      - .offset:         136
        .size:           4
        .value_kind:     by_value
      - .offset:         140
        .size:           4
        .value_kind:     by_value
      - .offset:         144
        .size:           4
        .value_kind:     by_value
      - .offset:         152
        .size:           8
        .value_kind:     by_value
      - .offset:         160
        .size:           4
        .value_kind:     by_value
      - .offset:         164
        .size:           4
        .value_kind:     by_value
      - .offset:         168
        .size:           8
        .value_kind:     by_value
      - .offset:         176
        .size:           4
        .value_kind:     by_value
      - .offset:         180
        .size:           4
        .value_kind:     by_value
      - .offset:         184
        .size:           4
        .value_kind:     by_value
      - .offset:         188
        .size:           4
        .value_kind:     by_value
      - .offset:         192
        .size:           4
        .value_kind:     by_value
      - .offset:         200
        .size:           8
        .value_kind:     by_value
      - .offset:         208
        .size:           4
        .value_kind:     hidden_block_count_x
      - .offset:         212
        .size:           4
        .value_kind:     hidden_block_count_y
      - .offset:         216
        .size:           4
        .value_kind:     hidden_block_count_z
      - .offset:         220
        .size:           2
        .value_kind:     hidden_group_size_x
      - .offset:         222
        .size:           2
        .value_kind:     hidden_group_size_y
      - .offset:         224
        .size:           2
        .value_kind:     hidden_group_size_z
      - .offset:         226
        .size:           2
        .value_kind:     hidden_remainder_x
      - .offset:         228
        .size:           2
        .value_kind:     hidden_remainder_y
      - .offset:         230
        .size:           2
        .value_kind:     hidden_remainder_z
      - .offset:         248
        .size:           8
        .value_kind:     hidden_global_offset_x
      - .offset:         256
        .size:           8
        .value_kind:     hidden_global_offset_y
      - .offset:         264
        .size:           8
        .value_kind:     hidden_global_offset_z
      - .offset:         272
        .size:           2
        .value_kind:     hidden_grid_dims
    .group_segment_fixed_size: 21504
    .kernarg_segment_align: 8
    .kernarg_segment_size: 464
    .language:       OpenCL C
    .language_version:
      - 2
      - 0
    .max_flat_workgroup_size: 128
    .name:           _ZL15flash_attn_tileILi64ELi64ELi2ELi4ELb0EEvPKcS1_S1_S1_S1_PKiPfP15HIP_vector_typeIfLj2EEffffjfiS5_IjLj3EEiiiiiiiiiiiliiliiiiil
    .private_segment_fixed_size: 0
    .sgpr_count:     45
    .sgpr_spill_count: 0
    .symbol:         _ZL15flash_attn_tileILi64ELi64ELi2ELi4ELb0EEvPKcS1_S1_S1_S1_PKiPfP15HIP_vector_typeIfLj2EEffffjfiS5_IjLj3EEiiiiiiiiiiiliiliiiiil.kd
    .uniform_work_group_size: 1
    .uses_dynamic_stack: false
    .vgpr_count:     122
    .vgpr_spill_count: 0
    .wavefront_size: 32
  - .args:
      - .address_space:  global
        .offset:         0
        .size:           8
        .value_kind:     global_buffer
      - .address_space:  global
        .offset:         8
        .size:           8
        .value_kind:     global_buffer
      - .offset:         16
        .size:           4
        .value_kind:     by_value
      - .offset:         20
        .size:           4
        .value_kind:     by_value
      - .offset:         24
        .size:           4
        .value_kind:     by_value
      - .offset:         28
        .size:           4
        .value_kind:     by_value
      - .offset:         32
        .size:           4
        .value_kind:     by_value
      - .offset:         36
        .size:           4
        .value_kind:     by_value
      - .offset:         40
        .size:           12
        .value_kind:     by_value
      - .offset:         52
        .size:           12
        .value_kind:     by_value
      - .offset:         64
        .size:           12
        .value_kind:     by_value
    .group_segment_fixed_size: 0
    .kernarg_segment_align: 8
    .kernarg_segment_size: 76
    .language:       OpenCL C
    .language_version:
      - 2
      - 0
    .max_flat_workgroup_size: 64
    .name:           _ZL33flash_attn_stream_k_fixup_uniformILi64ELi2ELi4EEvPfPK15HIP_vector_typeIfLj2EEiiiiiiS1_IjLj3EES5_S5_
    .private_segment_fixed_size: 0
    .sgpr_count:     23
    .sgpr_spill_count: 0
    .symbol:         _ZL33flash_attn_stream_k_fixup_uniformILi64ELi2ELi4EEvPfPK15HIP_vector_typeIfLj2EEiiiiiiS1_IjLj3EES5_S5_.kd
    .uniform_work_group_size: 1
    .uses_dynamic_stack: false
    .vgpr_count:     12
    .vgpr_spill_count: 0
    .wavefront_size: 32
  - .args:
      - .address_space:  global
        .offset:         0
        .size:           8
        .value_kind:     global_buffer
      - .address_space:  global
        .offset:         8
        .size:           8
        .value_kind:     global_buffer
      - .offset:         16
        .size:           4
        .value_kind:     by_value
      - .offset:         20
        .size:           4
        .value_kind:     by_value
      - .offset:         24
        .size:           4
        .value_kind:     by_value
      - .offset:         28
        .size:           4
        .value_kind:     by_value
      - .offset:         32
        .size:           12
        .value_kind:     by_value
      - .offset:         44
        .size:           12
        .value_kind:     by_value
      - .offset:         56
        .size:           12
        .value_kind:     by_value
      - .offset:         68
        .size:           12
        .value_kind:     by_value
      - .offset:         80
        .size:           4
        .value_kind:     hidden_block_count_x
      - .offset:         84
        .size:           4
        .value_kind:     hidden_block_count_y
      - .offset:         88
        .size:           4
        .value_kind:     hidden_block_count_z
      - .offset:         92
        .size:           2
        .value_kind:     hidden_group_size_x
      - .offset:         94
        .size:           2
        .value_kind:     hidden_group_size_y
      - .offset:         96
        .size:           2
        .value_kind:     hidden_group_size_z
      - .offset:         98
        .size:           2
        .value_kind:     hidden_remainder_x
      - .offset:         100
        .size:           2
        .value_kind:     hidden_remainder_y
      - .offset:         102
        .size:           2
        .value_kind:     hidden_remainder_z
      - .offset:         120
        .size:           8
        .value_kind:     hidden_global_offset_x
      - .offset:         128
        .size:           8
        .value_kind:     hidden_global_offset_y
      - .offset:         136
        .size:           8
        .value_kind:     hidden_global_offset_z
      - .offset:         144
        .size:           2
        .value_kind:     hidden_grid_dims
    .group_segment_fixed_size: 0
    .kernarg_segment_align: 8
    .kernarg_segment_size: 336
    .language:       OpenCL C
    .language_version:
      - 2
      - 0
    .max_flat_workgroup_size: 64
    .name:           _ZL33flash_attn_stream_k_fixup_generalILi64ELi2ELi4EEvPfPK15HIP_vector_typeIfLj2EEiiiiS1_IjLj3EES5_S5_S5_
    .private_segment_fixed_size: 0
    .sgpr_count:     48
    .sgpr_spill_count: 0
    .symbol:         _ZL33flash_attn_stream_k_fixup_generalILi64ELi2ELi4EEvPfPK15HIP_vector_typeIfLj2EEiiiiS1_IjLj3EES5_S5_S5_.kd
    .uniform_work_group_size: 1
    .uses_dynamic_stack: false
    .vgpr_count:     12
    .vgpr_spill_count: 0
    .wavefront_size: 32
  - .args:
      - .address_space:  global
        .offset:         0
        .size:           8
        .value_kind:     global_buffer
      - .address_space:  global
        .offset:         8
        .size:           8
        .value_kind:     global_buffer
      - .address_space:  global
        .offset:         16
        .size:           8
        .value_kind:     global_buffer
      - .address_space:  global
        .offset:         24
        .size:           8
        .value_kind:     global_buffer
      - .address_space:  global
        .offset:         32
        .size:           8
        .value_kind:     global_buffer
      - .address_space:  global
        .offset:         40
        .size:           8
        .value_kind:     global_buffer
      - .address_space:  global
        .offset:         48
        .size:           8
        .value_kind:     global_buffer
      - .address_space:  global
        .offset:         56
        .size:           8
        .value_kind:     global_buffer
      - .offset:         64
        .size:           4
        .value_kind:     by_value
      - .offset:         68
        .size:           4
        .value_kind:     by_value
      - .offset:         72
        .size:           4
        .value_kind:     by_value
      - .offset:         76
        .size:           4
        .value_kind:     by_value
      - .offset:         80
        .size:           4
        .value_kind:     by_value
      - .offset:         84
        .size:           4
        .value_kind:     by_value
      - .offset:         88
        .size:           4
        .value_kind:     by_value
      - .offset:         92
        .size:           12
        .value_kind:     by_value
      - .offset:         104
        .size:           4
        .value_kind:     by_value
      - .offset:         108
        .size:           4
        .value_kind:     by_value
      - .offset:         112
        .size:           4
        .value_kind:     by_value
      - .offset:         116
        .size:           4
        .value_kind:     by_value
      - .offset:         120
        .size:           4
        .value_kind:     by_value
      - .offset:         124
        .size:           4
        .value_kind:     by_value
      - .offset:         128
        .size:           4
        .value_kind:     by_value
      - .offset:         132
        .size:           4
        .value_kind:     by_value
      - .offset:         136
        .size:           4
        .value_kind:     by_value
      - .offset:         140
        .size:           4
        .value_kind:     by_value
      - .offset:         144
        .size:           4
        .value_kind:     by_value
      - .offset:         152
        .size:           8
        .value_kind:     by_value
      - .offset:         160
        .size:           4
        .value_kind:     by_value
      - .offset:         164
        .size:           4
        .value_kind:     by_value
      - .offset:         168
        .size:           8
        .value_kind:     by_value
      - .offset:         176
        .size:           4
        .value_kind:     by_value
      - .offset:         180
        .size:           4
        .value_kind:     by_value
      - .offset:         184
        .size:           4
        .value_kind:     by_value
      - .offset:         188
        .size:           4
        .value_kind:     by_value
      - .offset:         192
        .size:           4
        .value_kind:     by_value
      - .offset:         200
        .size:           8
        .value_kind:     by_value
      - .offset:         208
        .size:           4
        .value_kind:     hidden_block_count_x
      - .offset:         212
        .size:           4
        .value_kind:     hidden_block_count_y
      - .offset:         216
        .size:           4
        .value_kind:     hidden_block_count_z
      - .offset:         220
        .size:           2
        .value_kind:     hidden_group_size_x
      - .offset:         222
        .size:           2
        .value_kind:     hidden_group_size_y
      - .offset:         224
        .size:           2
        .value_kind:     hidden_group_size_z
      - .offset:         226
        .size:           2
        .value_kind:     hidden_remainder_x
      - .offset:         228
        .size:           2
        .value_kind:     hidden_remainder_y
      - .offset:         230
        .size:           2
        .value_kind:     hidden_remainder_z
      - .offset:         248
        .size:           8
        .value_kind:     hidden_global_offset_x
      - .offset:         256
        .size:           8
        .value_kind:     hidden_global_offset_y
      - .offset:         264
        .size:           8
        .value_kind:     hidden_global_offset_z
      - .offset:         272
        .size:           2
        .value_kind:     hidden_grid_dims
    .group_segment_fixed_size: 5376
    .kernarg_segment_align: 8
    .kernarg_segment_size: 464
    .language:       OpenCL C
    .language_version:
      - 2
      - 0
    .max_flat_workgroup_size: 64
    .name:           _ZL15flash_attn_tileILi64ELi64ELi1ELi4ELb0EEvPKcS1_S1_S1_S1_PKiPfP15HIP_vector_typeIfLj2EEffffjfiS5_IjLj3EEiiiiiiiiiiiliiliiiiil
    .private_segment_fixed_size: 0
    .sgpr_count:     45
    .sgpr_spill_count: 0
    .symbol:         _ZL15flash_attn_tileILi64ELi64ELi1ELi4ELb0EEvPKcS1_S1_S1_S1_PKiPfP15HIP_vector_typeIfLj2EEffffjfiS5_IjLj3EEiiiiiiiiiiiliiliiiiil.kd
    .uniform_work_group_size: 1
    .uses_dynamic_stack: false
    .vgpr_count:     124
    .vgpr_spill_count: 0
    .wavefront_size: 32
  - .args:
      - .address_space:  global
        .offset:         0
        .size:           8
        .value_kind:     global_buffer
      - .address_space:  global
        .offset:         8
        .size:           8
        .value_kind:     global_buffer
      - .offset:         16
        .size:           4
        .value_kind:     by_value
      - .offset:         20
        .size:           4
        .value_kind:     by_value
      - .offset:         24
        .size:           4
        .value_kind:     by_value
      - .offset:         28
        .size:           4
        .value_kind:     by_value
      - .offset:         32
        .size:           4
        .value_kind:     by_value
      - .offset:         36
        .size:           4
        .value_kind:     by_value
      - .offset:         40
        .size:           12
        .value_kind:     by_value
      - .offset:         52
        .size:           12
        .value_kind:     by_value
      - .offset:         64
        .size:           12
        .value_kind:     by_value
    .group_segment_fixed_size: 0
    .kernarg_segment_align: 8
    .kernarg_segment_size: 76
    .language:       OpenCL C
    .language_version:
      - 2
      - 0
    .max_flat_workgroup_size: 64
    .name:           _ZL33flash_attn_stream_k_fixup_uniformILi64ELi1ELi4EEvPfPK15HIP_vector_typeIfLj2EEiiiiiiS1_IjLj3EES5_S5_
    .private_segment_fixed_size: 0
    .sgpr_count:     23
    .sgpr_spill_count: 0
    .symbol:         _ZL33flash_attn_stream_k_fixup_uniformILi64ELi1ELi4EEvPfPK15HIP_vector_typeIfLj2EEiiiiiiS1_IjLj3EES5_S5_.kd
    .uniform_work_group_size: 1
    .uses_dynamic_stack: false
    .vgpr_count:     12
    .vgpr_spill_count: 0
    .wavefront_size: 32
  - .args:
      - .address_space:  global
        .offset:         0
        .size:           8
        .value_kind:     global_buffer
      - .address_space:  global
        .offset:         8
        .size:           8
        .value_kind:     global_buffer
      - .offset:         16
        .size:           4
        .value_kind:     by_value
      - .offset:         20
        .size:           4
        .value_kind:     by_value
      - .offset:         24
        .size:           4
        .value_kind:     by_value
      - .offset:         28
        .size:           4
        .value_kind:     by_value
      - .offset:         32
        .size:           12
        .value_kind:     by_value
      - .offset:         44
        .size:           12
        .value_kind:     by_value
      - .offset:         56
        .size:           12
        .value_kind:     by_value
      - .offset:         68
        .size:           12
        .value_kind:     by_value
      - .offset:         80
        .size:           4
        .value_kind:     hidden_block_count_x
      - .offset:         84
        .size:           4
        .value_kind:     hidden_block_count_y
      - .offset:         88
        .size:           4
        .value_kind:     hidden_block_count_z
      - .offset:         92
        .size:           2
        .value_kind:     hidden_group_size_x
      - .offset:         94
        .size:           2
        .value_kind:     hidden_group_size_y
      - .offset:         96
        .size:           2
        .value_kind:     hidden_group_size_z
      - .offset:         98
        .size:           2
        .value_kind:     hidden_remainder_x
      - .offset:         100
        .size:           2
        .value_kind:     hidden_remainder_y
      - .offset:         102
        .size:           2
        .value_kind:     hidden_remainder_z
      - .offset:         120
        .size:           8
        .value_kind:     hidden_global_offset_x
      - .offset:         128
        .size:           8
        .value_kind:     hidden_global_offset_y
      - .offset:         136
        .size:           8
        .value_kind:     hidden_global_offset_z
      - .offset:         144
        .size:           2
        .value_kind:     hidden_grid_dims
    .group_segment_fixed_size: 0
    .kernarg_segment_align: 8
    .kernarg_segment_size: 336
    .language:       OpenCL C
    .language_version:
      - 2
      - 0
    .max_flat_workgroup_size: 64
    .name:           _ZL33flash_attn_stream_k_fixup_generalILi64ELi1ELi4EEvPfPK15HIP_vector_typeIfLj2EEiiiiS1_IjLj3EES5_S5_S5_
    .private_segment_fixed_size: 0
    .sgpr_count:     48
    .sgpr_spill_count: 0
    .symbol:         _ZL33flash_attn_stream_k_fixup_generalILi64ELi1ELi4EEvPfPK15HIP_vector_typeIfLj2EEiiiiS1_IjLj3EES5_S5_S5_.kd
    .uniform_work_group_size: 1
    .uses_dynamic_stack: false
    .vgpr_count:     12
    .vgpr_spill_count: 0
    .wavefront_size: 32
  - .args:
      - .address_space:  global
        .offset:         0
        .size:           8
        .value_kind:     global_buffer
      - .address_space:  global
        .offset:         8
        .size:           8
        .value_kind:     global_buffer
      - .address_space:  global
        .offset:         16
        .size:           8
        .value_kind:     global_buffer
      - .address_space:  global
        .offset:         24
        .size:           8
        .value_kind:     global_buffer
      - .address_space:  global
        .offset:         32
        .size:           8
        .value_kind:     global_buffer
      - .address_space:  global
        .offset:         40
        .size:           8
        .value_kind:     global_buffer
      - .address_space:  global
        .offset:         48
        .size:           8
        .value_kind:     global_buffer
      - .address_space:  global
        .offset:         56
        .size:           8
        .value_kind:     global_buffer
      - .offset:         64
        .size:           4
        .value_kind:     by_value
      - .offset:         68
        .size:           4
        .value_kind:     by_value
      - .offset:         72
        .size:           4
        .value_kind:     by_value
      - .offset:         76
        .size:           4
        .value_kind:     by_value
      - .offset:         80
        .size:           4
        .value_kind:     by_value
      - .offset:         84
        .size:           4
        .value_kind:     by_value
      - .offset:         88
        .size:           4
        .value_kind:     by_value
      - .offset:         92
        .size:           12
        .value_kind:     by_value
      - .offset:         104
        .size:           4
        .value_kind:     by_value
      - .offset:         108
        .size:           4
        .value_kind:     by_value
      - .offset:         112
        .size:           4
        .value_kind:     by_value
      - .offset:         116
        .size:           4
        .value_kind:     by_value
      - .offset:         120
        .size:           4
        .value_kind:     by_value
      - .offset:         124
        .size:           4
        .value_kind:     by_value
      - .offset:         128
        .size:           4
        .value_kind:     by_value
      - .offset:         132
        .size:           4
        .value_kind:     by_value
      - .offset:         136
        .size:           4
        .value_kind:     by_value
      - .offset:         140
        .size:           4
        .value_kind:     by_value
      - .offset:         144
        .size:           4
        .value_kind:     by_value
      - .offset:         152
        .size:           8
        .value_kind:     by_value
      - .offset:         160
        .size:           4
        .value_kind:     by_value
      - .offset:         164
        .size:           4
        .value_kind:     by_value
      - .offset:         168
        .size:           8
        .value_kind:     by_value
      - .offset:         176
        .size:           4
        .value_kind:     by_value
      - .offset:         180
        .size:           4
        .value_kind:     by_value
      - .offset:         184
        .size:           4
        .value_kind:     by_value
      - .offset:         188
        .size:           4
        .value_kind:     by_value
      - .offset:         192
        .size:           4
        .value_kind:     by_value
      - .offset:         200
        .size:           8
        .value_kind:     by_value
      - .offset:         208
        .size:           4
        .value_kind:     hidden_block_count_x
      - .offset:         212
        .size:           4
        .value_kind:     hidden_block_count_y
      - .offset:         216
        .size:           4
        .value_kind:     hidden_block_count_z
      - .offset:         220
        .size:           2
        .value_kind:     hidden_group_size_x
      - .offset:         222
        .size:           2
        .value_kind:     hidden_group_size_y
      - .offset:         224
        .size:           2
        .value_kind:     hidden_group_size_z
      - .offset:         226
        .size:           2
        .value_kind:     hidden_remainder_x
      - .offset:         228
        .size:           2
        .value_kind:     hidden_remainder_y
      - .offset:         230
        .size:           2
        .value_kind:     hidden_remainder_z
      - .offset:         248
        .size:           8
        .value_kind:     hidden_global_offset_x
      - .offset:         256
        .size:           8
        .value_kind:     hidden_global_offset_y
      - .offset:         264
        .size:           8
        .value_kind:     hidden_global_offset_z
      - .offset:         272
        .size:           2
        .value_kind:     hidden_grid_dims
    .group_segment_fixed_size: 25600
    .kernarg_segment_align: 8
    .kernarg_segment_size: 464
    .language:       OpenCL C
    .language_version:
      - 2
      - 0
    .max_flat_workgroup_size: 128
    .name:           _ZL15flash_attn_tileILi64ELi64ELi32ELi2ELb0EEvPKcS1_S1_S1_S1_PKiPfP15HIP_vector_typeIfLj2EEffffjfiS5_IjLj3EEiiiiiiiiiiiliiliiiiil
    .private_segment_fixed_size: 152
    .sgpr_count:     49
    .sgpr_spill_count: 0
    .symbol:         _ZL15flash_attn_tileILi64ELi64ELi32ELi2ELb0EEvPKcS1_S1_S1_S1_PKiPfP15HIP_vector_typeIfLj2EEffffjfiS5_IjLj3EEiiiiiiiiiiiliiliiiiil.kd
    .uniform_work_group_size: 1
    .uses_dynamic_stack: false
    .vgpr_count:     192
    .vgpr_spill_count: 37
    .wavefront_size: 32
  - .args:
      - .actual_access:  read_only
        .address_space:  global
        .offset:         0
        .size:           8
        .value_kind:     global_buffer
      - .actual_access:  write_only
        .address_space:  global
        .offset:         8
        .size:           8
        .value_kind:     global_buffer
      - .offset:         16
        .size:           4
        .value_kind:     by_value
      - .offset:         20
        .size:           4
        .value_kind:     by_value
      - .offset:         24
        .size:           4
        .value_kind:     by_value
      - .offset:         32
        .size:           4
        .value_kind:     hidden_block_count_x
      - .offset:         36
        .size:           4
        .value_kind:     hidden_block_count_y
      - .offset:         40
        .size:           4
        .value_kind:     hidden_block_count_z
      - .offset:         44
        .size:           2
        .value_kind:     hidden_group_size_x
      - .offset:         46
        .size:           2
        .value_kind:     hidden_group_size_y
      - .offset:         48
        .size:           2
        .value_kind:     hidden_group_size_z
      - .offset:         50
        .size:           2
        .value_kind:     hidden_remainder_x
      - .offset:         52
        .size:           2
        .value_kind:     hidden_remainder_y
      - .offset:         54
        .size:           2
        .value_kind:     hidden_remainder_z
      - .offset:         72
        .size:           8
        .value_kind:     hidden_global_offset_x
      - .offset:         80
        .size:           8
        .value_kind:     hidden_global_offset_y
      - .offset:         88
        .size:           8
        .value_kind:     hidden_global_offset_z
      - .offset:         96
        .size:           2
        .value_kind:     hidden_grid_dims
    .group_segment_fixed_size: 128
    .kernarg_segment_align: 8
    .kernarg_segment_size: 288
    .language:       OpenCL C
    .language_version:
      - 2
      - 0
    .max_flat_workgroup_size: 128
    .name:           _ZL25flash_attn_mask_to_KV_maxILi32EEvPK7__half2Piiii
    .private_segment_fixed_size: 0
    .sgpr_count:     78
    .sgpr_spill_count: 0
    .symbol:         _ZL25flash_attn_mask_to_KV_maxILi32EEvPK7__half2Piiii.kd
    .uniform_work_group_size: 1
    .uses_dynamic_stack: false
    .vgpr_count:     6
    .vgpr_spill_count: 0
    .wavefront_size: 32
  - .args:
      - .address_space:  global
        .offset:         0
        .size:           8
        .value_kind:     global_buffer
      - .address_space:  global
        .offset:         8
        .size:           8
        .value_kind:     global_buffer
      - .offset:         16
        .size:           4
        .value_kind:     by_value
      - .offset:         20
        .size:           4
        .value_kind:     by_value
      - .offset:         24
        .size:           4
        .value_kind:     by_value
      - .offset:         28
        .size:           4
        .value_kind:     by_value
      - .offset:         32
        .size:           4
        .value_kind:     by_value
      - .offset:         36
        .size:           4
        .value_kind:     by_value
      - .offset:         40
        .size:           12
        .value_kind:     by_value
      - .offset:         52
        .size:           12
        .value_kind:     by_value
      - .offset:         64
        .size:           12
        .value_kind:     by_value
    .group_segment_fixed_size: 0
    .kernarg_segment_align: 8
    .kernarg_segment_size: 76
    .language:       OpenCL C
    .language_version:
      - 2
      - 0
    .max_flat_workgroup_size: 64
    .name:           _ZL33flash_attn_stream_k_fixup_uniformILi64ELi32ELi2EEvPfPK15HIP_vector_typeIfLj2EEiiiiiiS1_IjLj3EES5_S5_
    .private_segment_fixed_size: 0
    .sgpr_count:     23
    .sgpr_spill_count: 0
    .symbol:         _ZL33flash_attn_stream_k_fixup_uniformILi64ELi32ELi2EEvPfPK15HIP_vector_typeIfLj2EEiiiiiiS1_IjLj3EES5_S5_.kd
    .uniform_work_group_size: 1
    .uses_dynamic_stack: false
    .vgpr_count:     12
    .vgpr_spill_count: 0
    .wavefront_size: 32
  - .args:
      - .address_space:  global
        .offset:         0
        .size:           8
        .value_kind:     global_buffer
      - .address_space:  global
        .offset:         8
        .size:           8
        .value_kind:     global_buffer
      - .offset:         16
        .size:           4
        .value_kind:     by_value
      - .offset:         20
        .size:           4
        .value_kind:     by_value
      - .offset:         24
        .size:           4
        .value_kind:     by_value
      - .offset:         28
        .size:           4
        .value_kind:     by_value
      - .offset:         32
        .size:           12
        .value_kind:     by_value
      - .offset:         44
        .size:           12
        .value_kind:     by_value
      - .offset:         56
        .size:           12
        .value_kind:     by_value
      - .offset:         68
        .size:           12
        .value_kind:     by_value
      - .offset:         80
        .size:           4
        .value_kind:     hidden_block_count_x
      - .offset:         84
        .size:           4
        .value_kind:     hidden_block_count_y
      - .offset:         88
        .size:           4
        .value_kind:     hidden_block_count_z
      - .offset:         92
        .size:           2
        .value_kind:     hidden_group_size_x
      - .offset:         94
        .size:           2
        .value_kind:     hidden_group_size_y
      - .offset:         96
        .size:           2
        .value_kind:     hidden_group_size_z
      - .offset:         98
        .size:           2
        .value_kind:     hidden_remainder_x
      - .offset:         100
        .size:           2
        .value_kind:     hidden_remainder_y
      - .offset:         102
        .size:           2
        .value_kind:     hidden_remainder_z
      - .offset:         120
        .size:           8
        .value_kind:     hidden_global_offset_x
      - .offset:         128
        .size:           8
        .value_kind:     hidden_global_offset_y
      - .offset:         136
        .size:           8
        .value_kind:     hidden_global_offset_z
      - .offset:         144
        .size:           2
        .value_kind:     hidden_grid_dims
    .group_segment_fixed_size: 0
    .kernarg_segment_align: 8
    .kernarg_segment_size: 336
    .language:       OpenCL C
    .language_version:
      - 2
      - 0
    .max_flat_workgroup_size: 64
    .name:           _ZL33flash_attn_stream_k_fixup_generalILi64ELi32ELi2EEvPfPK15HIP_vector_typeIfLj2EEiiiiS1_IjLj3EES5_S5_S5_
    .private_segment_fixed_size: 0
    .sgpr_count:     48
    .sgpr_spill_count: 0
    .symbol:         _ZL33flash_attn_stream_k_fixup_generalILi64ELi32ELi2EEvPfPK15HIP_vector_typeIfLj2EEiiiiS1_IjLj3EES5_S5_S5_.kd
    .uniform_work_group_size: 1
    .uses_dynamic_stack: false
    .vgpr_count:     12
    .vgpr_spill_count: 0
    .wavefront_size: 32
  - .args:
      - .address_space:  global
        .offset:         0
        .size:           8
        .value_kind:     global_buffer
      - .address_space:  global
        .offset:         8
        .size:           8
        .value_kind:     global_buffer
      - .address_space:  global
        .offset:         16
        .size:           8
        .value_kind:     global_buffer
      - .address_space:  global
        .offset:         24
        .size:           8
        .value_kind:     global_buffer
      - .address_space:  global
        .offset:         32
        .size:           8
        .value_kind:     global_buffer
      - .address_space:  global
        .offset:         40
        .size:           8
        .value_kind:     global_buffer
      - .address_space:  global
        .offset:         48
        .size:           8
        .value_kind:     global_buffer
      - .address_space:  global
        .offset:         56
        .size:           8
        .value_kind:     global_buffer
      - .offset:         64
        .size:           4
        .value_kind:     by_value
      - .offset:         68
        .size:           4
        .value_kind:     by_value
      - .offset:         72
        .size:           4
        .value_kind:     by_value
      - .offset:         76
        .size:           4
        .value_kind:     by_value
      - .offset:         80
        .size:           4
        .value_kind:     by_value
      - .offset:         84
        .size:           4
        .value_kind:     by_value
      - .offset:         88
        .size:           4
        .value_kind:     by_value
      - .offset:         92
        .size:           12
        .value_kind:     by_value
      - .offset:         104
        .size:           4
        .value_kind:     by_value
      - .offset:         108
        .size:           4
        .value_kind:     by_value
      - .offset:         112
        .size:           4
        .value_kind:     by_value
      - .offset:         116
        .size:           4
        .value_kind:     by_value
      - .offset:         120
        .size:           4
        .value_kind:     by_value
      - .offset:         124
        .size:           4
        .value_kind:     by_value
      - .offset:         128
        .size:           4
        .value_kind:     by_value
      - .offset:         132
        .size:           4
        .value_kind:     by_value
      - .offset:         136
        .size:           4
        .value_kind:     by_value
      - .offset:         140
        .size:           4
        .value_kind:     by_value
      - .offset:         144
        .size:           4
        .value_kind:     by_value
      - .offset:         152
        .size:           8
        .value_kind:     by_value
      - .offset:         160
        .size:           4
        .value_kind:     by_value
      - .offset:         164
        .size:           4
        .value_kind:     by_value
      - .offset:         168
        .size:           8
        .value_kind:     by_value
      - .offset:         176
        .size:           4
        .value_kind:     by_value
      - .offset:         180
        .size:           4
        .value_kind:     by_value
      - .offset:         184
        .size:           4
        .value_kind:     by_value
      - .offset:         188
        .size:           4
        .value_kind:     by_value
      - .offset:         192
        .size:           4
        .value_kind:     by_value
      - .offset:         200
        .size:           8
        .value_kind:     by_value
      - .offset:         208
        .size:           4
        .value_kind:     hidden_block_count_x
      - .offset:         212
        .size:           4
        .value_kind:     hidden_block_count_y
      - .offset:         216
        .size:           4
        .value_kind:     hidden_block_count_z
      - .offset:         220
        .size:           2
        .value_kind:     hidden_group_size_x
      - .offset:         222
        .size:           2
        .value_kind:     hidden_group_size_y
      - .offset:         224
        .size:           2
        .value_kind:     hidden_group_size_z
      - .offset:         226
        .size:           2
        .value_kind:     hidden_remainder_x
      - .offset:         228
        .size:           2
        .value_kind:     hidden_remainder_y
      - .offset:         230
        .size:           2
        .value_kind:     hidden_remainder_z
      - .offset:         248
        .size:           8
        .value_kind:     hidden_global_offset_x
      - .offset:         256
        .size:           8
        .value_kind:     hidden_global_offset_y
      - .offset:         264
        .size:           8
        .value_kind:     hidden_global_offset_z
      - .offset:         272
        .size:           2
        .value_kind:     hidden_grid_dims
    .group_segment_fixed_size: 17408
    .kernarg_segment_align: 8
    .kernarg_segment_size: 464
    .language:       OpenCL C
    .language_version:
      - 2
      - 0
    .max_flat_workgroup_size: 128
    .name:           _ZL15flash_attn_tileILi64ELi64ELi16ELi2ELb0EEvPKcS1_S1_S1_S1_PKiPfP15HIP_vector_typeIfLj2EEffffjfiS5_IjLj3EEiiiiiiiiiiiliiliiiiil
    .private_segment_fixed_size: 0
    .sgpr_count:     49
    .sgpr_spill_count: 0
    .symbol:         _ZL15flash_attn_tileILi64ELi64ELi16ELi2ELb0EEvPKcS1_S1_S1_S1_PKiPfP15HIP_vector_typeIfLj2EEffffjfiS5_IjLj3EEiiiiiiiiiiiliiliiiiil.kd
    .uniform_work_group_size: 1
    .uses_dynamic_stack: false
    .vgpr_count:     168
    .vgpr_spill_count: 0
    .wavefront_size: 32
  - .args:
      - .address_space:  global
        .offset:         0
        .size:           8
        .value_kind:     global_buffer
      - .address_space:  global
        .offset:         8
        .size:           8
        .value_kind:     global_buffer
      - .offset:         16
        .size:           4
        .value_kind:     by_value
      - .offset:         20
        .size:           4
        .value_kind:     by_value
      - .offset:         24
        .size:           4
        .value_kind:     by_value
      - .offset:         28
        .size:           4
        .value_kind:     by_value
      - .offset:         32
        .size:           4
        .value_kind:     by_value
      - .offset:         36
        .size:           4
        .value_kind:     by_value
      - .offset:         40
        .size:           12
        .value_kind:     by_value
      - .offset:         52
        .size:           12
        .value_kind:     by_value
      - .offset:         64
        .size:           12
        .value_kind:     by_value
    .group_segment_fixed_size: 0
    .kernarg_segment_align: 8
    .kernarg_segment_size: 76
    .language:       OpenCL C
    .language_version:
      - 2
      - 0
    .max_flat_workgroup_size: 64
    .name:           _ZL33flash_attn_stream_k_fixup_uniformILi64ELi16ELi2EEvPfPK15HIP_vector_typeIfLj2EEiiiiiiS1_IjLj3EES5_S5_
    .private_segment_fixed_size: 0
    .sgpr_count:     23
    .sgpr_spill_count: 0
    .symbol:         _ZL33flash_attn_stream_k_fixup_uniformILi64ELi16ELi2EEvPfPK15HIP_vector_typeIfLj2EEiiiiiiS1_IjLj3EES5_S5_.kd
    .uniform_work_group_size: 1
    .uses_dynamic_stack: false
    .vgpr_count:     12
    .vgpr_spill_count: 0
    .wavefront_size: 32
  - .args:
      - .address_space:  global
        .offset:         0
        .size:           8
        .value_kind:     global_buffer
      - .address_space:  global
        .offset:         8
        .size:           8
        .value_kind:     global_buffer
      - .offset:         16
        .size:           4
        .value_kind:     by_value
      - .offset:         20
        .size:           4
        .value_kind:     by_value
      - .offset:         24
        .size:           4
        .value_kind:     by_value
      - .offset:         28
        .size:           4
        .value_kind:     by_value
      - .offset:         32
        .size:           12
        .value_kind:     by_value
      - .offset:         44
        .size:           12
        .value_kind:     by_value
      - .offset:         56
        .size:           12
        .value_kind:     by_value
      - .offset:         68
        .size:           12
        .value_kind:     by_value
      - .offset:         80
        .size:           4
        .value_kind:     hidden_block_count_x
      - .offset:         84
        .size:           4
        .value_kind:     hidden_block_count_y
      - .offset:         88
        .size:           4
        .value_kind:     hidden_block_count_z
      - .offset:         92
        .size:           2
        .value_kind:     hidden_group_size_x
      - .offset:         94
        .size:           2
        .value_kind:     hidden_group_size_y
      - .offset:         96
        .size:           2
        .value_kind:     hidden_group_size_z
      - .offset:         98
        .size:           2
        .value_kind:     hidden_remainder_x
      - .offset:         100
        .size:           2
        .value_kind:     hidden_remainder_y
      - .offset:         102
        .size:           2
        .value_kind:     hidden_remainder_z
      - .offset:         120
        .size:           8
        .value_kind:     hidden_global_offset_x
      - .offset:         128
        .size:           8
        .value_kind:     hidden_global_offset_y
      - .offset:         136
        .size:           8
        .value_kind:     hidden_global_offset_z
      - .offset:         144
        .size:           2
        .value_kind:     hidden_grid_dims
    .group_segment_fixed_size: 0
    .kernarg_segment_align: 8
    .kernarg_segment_size: 336
    .language:       OpenCL C
    .language_version:
      - 2
      - 0
    .max_flat_workgroup_size: 64
    .name:           _ZL33flash_attn_stream_k_fixup_generalILi64ELi16ELi2EEvPfPK15HIP_vector_typeIfLj2EEiiiiS1_IjLj3EES5_S5_S5_
    .private_segment_fixed_size: 0
    .sgpr_count:     48
    .sgpr_spill_count: 0
    .symbol:         _ZL33flash_attn_stream_k_fixup_generalILi64ELi16ELi2EEvPfPK15HIP_vector_typeIfLj2EEiiiiS1_IjLj3EES5_S5_S5_.kd
    .uniform_work_group_size: 1
    .uses_dynamic_stack: false
    .vgpr_count:     12
    .vgpr_spill_count: 0
    .wavefront_size: 32
  - .args:
      - .address_space:  global
        .offset:         0
        .size:           8
        .value_kind:     global_buffer
      - .address_space:  global
        .offset:         8
        .size:           8
        .value_kind:     global_buffer
      - .address_space:  global
        .offset:         16
        .size:           8
        .value_kind:     global_buffer
      - .address_space:  global
        .offset:         24
        .size:           8
        .value_kind:     global_buffer
      - .address_space:  global
        .offset:         32
        .size:           8
        .value_kind:     global_buffer
      - .address_space:  global
        .offset:         40
        .size:           8
        .value_kind:     global_buffer
      - .address_space:  global
        .offset:         48
        .size:           8
        .value_kind:     global_buffer
      - .address_space:  global
        .offset:         56
        .size:           8
        .value_kind:     global_buffer
      - .offset:         64
        .size:           4
        .value_kind:     by_value
      - .offset:         68
        .size:           4
        .value_kind:     by_value
      - .offset:         72
        .size:           4
        .value_kind:     by_value
      - .offset:         76
        .size:           4
        .value_kind:     by_value
      - .offset:         80
        .size:           4
        .value_kind:     by_value
      - .offset:         84
        .size:           4
        .value_kind:     by_value
      - .offset:         88
        .size:           4
        .value_kind:     by_value
      - .offset:         92
        .size:           12
        .value_kind:     by_value
      - .offset:         104
        .size:           4
        .value_kind:     by_value
      - .offset:         108
        .size:           4
        .value_kind:     by_value
      - .offset:         112
        .size:           4
        .value_kind:     by_value
      - .offset:         116
        .size:           4
        .value_kind:     by_value
      - .offset:         120
        .size:           4
        .value_kind:     by_value
      - .offset:         124
        .size:           4
        .value_kind:     by_value
      - .offset:         128
        .size:           4
        .value_kind:     by_value
      - .offset:         132
        .size:           4
        .value_kind:     by_value
      - .offset:         136
        .size:           4
        .value_kind:     by_value
      - .offset:         140
        .size:           4
        .value_kind:     by_value
      - .offset:         144
        .size:           4
        .value_kind:     by_value
      - .offset:         152
        .size:           8
        .value_kind:     by_value
      - .offset:         160
        .size:           4
        .value_kind:     by_value
      - .offset:         164
        .size:           4
        .value_kind:     by_value
      - .offset:         168
        .size:           8
        .value_kind:     by_value
      - .offset:         176
        .size:           4
        .value_kind:     by_value
      - .offset:         180
        .size:           4
        .value_kind:     by_value
      - .offset:         184
        .size:           4
        .value_kind:     by_value
      - .offset:         188
        .size:           4
        .value_kind:     by_value
      - .offset:         192
        .size:           4
        .value_kind:     by_value
      - .offset:         200
        .size:           8
        .value_kind:     by_value
      - .offset:         208
        .size:           4
        .value_kind:     hidden_block_count_x
      - .offset:         212
        .size:           4
        .value_kind:     hidden_block_count_y
      - .offset:         216
        .size:           4
        .value_kind:     hidden_block_count_z
      - .offset:         220
        .size:           2
        .value_kind:     hidden_group_size_x
      - .offset:         222
        .size:           2
        .value_kind:     hidden_group_size_y
      - .offset:         224
        .size:           2
        .value_kind:     hidden_group_size_z
      - .offset:         226
        .size:           2
        .value_kind:     hidden_remainder_x
      - .offset:         228
        .size:           2
        .value_kind:     hidden_remainder_y
      - .offset:         230
        .size:           2
        .value_kind:     hidden_remainder_z
      - .offset:         248
        .size:           8
        .value_kind:     hidden_global_offset_x
      - .offset:         256
        .size:           8
        .value_kind:     hidden_global_offset_y
      - .offset:         264
        .size:           8
        .value_kind:     hidden_global_offset_z
      - .offset:         272
        .size:           2
        .value_kind:     hidden_grid_dims
    .group_segment_fixed_size: 24576
    .kernarg_segment_align: 8
    .kernarg_segment_size: 464
    .language:       OpenCL C
    .language_version:
      - 2
      - 0
    .max_flat_workgroup_size: 128
    .name:           _ZL15flash_attn_tileILi64ELi64ELi8ELi2ELb0EEvPKcS1_S1_S1_S1_PKiPfP15HIP_vector_typeIfLj2EEffffjfiS5_IjLj3EEiiiiiiiiiiiliiliiiiil
    .private_segment_fixed_size: 0
    .sgpr_count:     48
    .sgpr_spill_count: 0
    .symbol:         _ZL15flash_attn_tileILi64ELi64ELi8ELi2ELb0EEvPKcS1_S1_S1_S1_PKiPfP15HIP_vector_typeIfLj2EEffffjfiS5_IjLj3EEiiiiiiiiiiiliiliiiiil.kd
    .uniform_work_group_size: 1
    .uses_dynamic_stack: false
    .vgpr_count:     152
    .vgpr_spill_count: 0
    .wavefront_size: 32
  - .args:
      - .address_space:  global
        .offset:         0
        .size:           8
        .value_kind:     global_buffer
      - .address_space:  global
        .offset:         8
        .size:           8
        .value_kind:     global_buffer
      - .offset:         16
        .size:           4
        .value_kind:     by_value
      - .offset:         20
        .size:           4
        .value_kind:     by_value
      - .offset:         24
        .size:           4
        .value_kind:     by_value
      - .offset:         28
        .size:           4
        .value_kind:     by_value
      - .offset:         32
        .size:           4
        .value_kind:     by_value
      - .offset:         36
        .size:           4
        .value_kind:     by_value
      - .offset:         40
        .size:           12
        .value_kind:     by_value
      - .offset:         52
        .size:           12
        .value_kind:     by_value
      - .offset:         64
        .size:           12
        .value_kind:     by_value
    .group_segment_fixed_size: 0
    .kernarg_segment_align: 8
    .kernarg_segment_size: 76
    .language:       OpenCL C
    .language_version:
      - 2
      - 0
    .max_flat_workgroup_size: 64
    .name:           _ZL33flash_attn_stream_k_fixup_uniformILi64ELi8ELi2EEvPfPK15HIP_vector_typeIfLj2EEiiiiiiS1_IjLj3EES5_S5_
    .private_segment_fixed_size: 0
    .sgpr_count:     23
    .sgpr_spill_count: 0
    .symbol:         _ZL33flash_attn_stream_k_fixup_uniformILi64ELi8ELi2EEvPfPK15HIP_vector_typeIfLj2EEiiiiiiS1_IjLj3EES5_S5_.kd
    .uniform_work_group_size: 1
    .uses_dynamic_stack: false
    .vgpr_count:     12
    .vgpr_spill_count: 0
    .wavefront_size: 32
  - .args:
      - .address_space:  global
        .offset:         0
        .size:           8
        .value_kind:     global_buffer
      - .address_space:  global
        .offset:         8
        .size:           8
        .value_kind:     global_buffer
      - .offset:         16
        .size:           4
        .value_kind:     by_value
      - .offset:         20
        .size:           4
        .value_kind:     by_value
      - .offset:         24
        .size:           4
        .value_kind:     by_value
      - .offset:         28
        .size:           4
        .value_kind:     by_value
      - .offset:         32
        .size:           12
        .value_kind:     by_value
      - .offset:         44
        .size:           12
        .value_kind:     by_value
      - .offset:         56
        .size:           12
        .value_kind:     by_value
      - .offset:         68
        .size:           12
        .value_kind:     by_value
      - .offset:         80
        .size:           4
        .value_kind:     hidden_block_count_x
      - .offset:         84
        .size:           4
        .value_kind:     hidden_block_count_y
      - .offset:         88
        .size:           4
        .value_kind:     hidden_block_count_z
      - .offset:         92
        .size:           2
        .value_kind:     hidden_group_size_x
      - .offset:         94
        .size:           2
        .value_kind:     hidden_group_size_y
      - .offset:         96
        .size:           2
        .value_kind:     hidden_group_size_z
      - .offset:         98
        .size:           2
        .value_kind:     hidden_remainder_x
      - .offset:         100
        .size:           2
        .value_kind:     hidden_remainder_y
      - .offset:         102
        .size:           2
        .value_kind:     hidden_remainder_z
      - .offset:         120
        .size:           8
        .value_kind:     hidden_global_offset_x
      - .offset:         128
        .size:           8
        .value_kind:     hidden_global_offset_y
      - .offset:         136
        .size:           8
        .value_kind:     hidden_global_offset_z
      - .offset:         144
        .size:           2
        .value_kind:     hidden_grid_dims
    .group_segment_fixed_size: 0
    .kernarg_segment_align: 8
    .kernarg_segment_size: 336
    .language:       OpenCL C
    .language_version:
      - 2
      - 0
    .max_flat_workgroup_size: 64
    .name:           _ZL33flash_attn_stream_k_fixup_generalILi64ELi8ELi2EEvPfPK15HIP_vector_typeIfLj2EEiiiiS1_IjLj3EES5_S5_S5_
    .private_segment_fixed_size: 0
    .sgpr_count:     48
    .sgpr_spill_count: 0
    .symbol:         _ZL33flash_attn_stream_k_fixup_generalILi64ELi8ELi2EEvPfPK15HIP_vector_typeIfLj2EEiiiiS1_IjLj3EES5_S5_S5_.kd
    .uniform_work_group_size: 1
    .uses_dynamic_stack: false
    .vgpr_count:     12
    .vgpr_spill_count: 0
    .wavefront_size: 32
  - .args:
      - .address_space:  global
        .offset:         0
        .size:           8
        .value_kind:     global_buffer
      - .address_space:  global
        .offset:         8
        .size:           8
        .value_kind:     global_buffer
      - .address_space:  global
        .offset:         16
        .size:           8
        .value_kind:     global_buffer
      - .address_space:  global
        .offset:         24
        .size:           8
        .value_kind:     global_buffer
      - .address_space:  global
        .offset:         32
        .size:           8
        .value_kind:     global_buffer
      - .address_space:  global
        .offset:         40
        .size:           8
        .value_kind:     global_buffer
      - .address_space:  global
        .offset:         48
        .size:           8
        .value_kind:     global_buffer
      - .address_space:  global
        .offset:         56
        .size:           8
        .value_kind:     global_buffer
      - .offset:         64
        .size:           4
        .value_kind:     by_value
      - .offset:         68
        .size:           4
        .value_kind:     by_value
      - .offset:         72
        .size:           4
        .value_kind:     by_value
      - .offset:         76
        .size:           4
        .value_kind:     by_value
      - .offset:         80
        .size:           4
        .value_kind:     by_value
      - .offset:         84
        .size:           4
        .value_kind:     by_value
      - .offset:         88
        .size:           4
        .value_kind:     by_value
      - .offset:         92
        .size:           12
        .value_kind:     by_value
      - .offset:         104
        .size:           4
        .value_kind:     by_value
      - .offset:         108
        .size:           4
        .value_kind:     by_value
      - .offset:         112
        .size:           4
        .value_kind:     by_value
      - .offset:         116
        .size:           4
        .value_kind:     by_value
      - .offset:         120
        .size:           4
        .value_kind:     by_value
      - .offset:         124
        .size:           4
        .value_kind:     by_value
      - .offset:         128
        .size:           4
        .value_kind:     by_value
      - .offset:         132
        .size:           4
        .value_kind:     by_value
      - .offset:         136
        .size:           4
        .value_kind:     by_value
      - .offset:         140
        .size:           4
        .value_kind:     by_value
      - .offset:         144
        .size:           4
        .value_kind:     by_value
      - .offset:         152
        .size:           8
        .value_kind:     by_value
      - .offset:         160
        .size:           4
        .value_kind:     by_value
      - .offset:         164
        .size:           4
        .value_kind:     by_value
      - .offset:         168
        .size:           8
        .value_kind:     by_value
      - .offset:         176
        .size:           4
        .value_kind:     by_value
      - .offset:         180
        .size:           4
        .value_kind:     by_value
      - .offset:         184
        .size:           4
        .value_kind:     by_value
      - .offset:         188
        .size:           4
        .value_kind:     by_value
      - .offset:         192
        .size:           4
        .value_kind:     by_value
      - .offset:         200
        .size:           8
        .value_kind:     by_value
      - .offset:         208
        .size:           4
        .value_kind:     hidden_block_count_x
      - .offset:         212
        .size:           4
        .value_kind:     hidden_block_count_y
      - .offset:         216
        .size:           4
        .value_kind:     hidden_block_count_z
      - .offset:         220
        .size:           2
        .value_kind:     hidden_group_size_x
      - .offset:         222
        .size:           2
        .value_kind:     hidden_group_size_y
      - .offset:         224
        .size:           2
        .value_kind:     hidden_group_size_z
      - .offset:         226
        .size:           2
        .value_kind:     hidden_remainder_x
      - .offset:         228
        .size:           2
        .value_kind:     hidden_remainder_y
      - .offset:         230
        .size:           2
        .value_kind:     hidden_remainder_z
      - .offset:         248
        .size:           8
        .value_kind:     hidden_global_offset_x
      - .offset:         256
        .size:           8
        .value_kind:     hidden_global_offset_y
      - .offset:         264
        .size:           8
        .value_kind:     hidden_global_offset_z
      - .offset:         272
        .size:           2
        .value_kind:     hidden_grid_dims
    .group_segment_fixed_size: 21504
    .kernarg_segment_align: 8
    .kernarg_segment_size: 464
    .language:       OpenCL C
    .language_version:
      - 2
      - 0
    .max_flat_workgroup_size: 128
    .name:           _ZL15flash_attn_tileILi64ELi64ELi4ELi2ELb0EEvPKcS1_S1_S1_S1_PKiPfP15HIP_vector_typeIfLj2EEffffjfiS5_IjLj3EEiiiiiiiiiiiliiliiiiil
    .private_segment_fixed_size: 0
    .sgpr_count:     45
    .sgpr_spill_count: 0
    .symbol:         _ZL15flash_attn_tileILi64ELi64ELi4ELi2ELb0EEvPKcS1_S1_S1_S1_PKiPfP15HIP_vector_typeIfLj2EEffffjfiS5_IjLj3EEiiiiiiiiiiiliiliiiiil.kd
    .uniform_work_group_size: 1
    .uses_dynamic_stack: false
    .vgpr_count:     122
    .vgpr_spill_count: 0
    .wavefront_size: 32
  - .args:
      - .address_space:  global
        .offset:         0
        .size:           8
        .value_kind:     global_buffer
      - .address_space:  global
        .offset:         8
        .size:           8
        .value_kind:     global_buffer
      - .offset:         16
        .size:           4
        .value_kind:     by_value
      - .offset:         20
        .size:           4
        .value_kind:     by_value
      - .offset:         24
        .size:           4
        .value_kind:     by_value
      - .offset:         28
        .size:           4
        .value_kind:     by_value
      - .offset:         32
        .size:           4
        .value_kind:     by_value
      - .offset:         36
        .size:           4
        .value_kind:     by_value
      - .offset:         40
        .size:           12
        .value_kind:     by_value
      - .offset:         52
        .size:           12
        .value_kind:     by_value
      - .offset:         64
        .size:           12
        .value_kind:     by_value
    .group_segment_fixed_size: 0
    .kernarg_segment_align: 8
    .kernarg_segment_size: 76
    .language:       OpenCL C
    .language_version:
      - 2
      - 0
    .max_flat_workgroup_size: 64
    .name:           _ZL33flash_attn_stream_k_fixup_uniformILi64ELi4ELi2EEvPfPK15HIP_vector_typeIfLj2EEiiiiiiS1_IjLj3EES5_S5_
    .private_segment_fixed_size: 0
    .sgpr_count:     23
    .sgpr_spill_count: 0
    .symbol:         _ZL33flash_attn_stream_k_fixup_uniformILi64ELi4ELi2EEvPfPK15HIP_vector_typeIfLj2EEiiiiiiS1_IjLj3EES5_S5_.kd
    .uniform_work_group_size: 1
    .uses_dynamic_stack: false
    .vgpr_count:     12
    .vgpr_spill_count: 0
    .wavefront_size: 32
  - .args:
      - .address_space:  global
        .offset:         0
        .size:           8
        .value_kind:     global_buffer
      - .address_space:  global
        .offset:         8
        .size:           8
        .value_kind:     global_buffer
      - .offset:         16
        .size:           4
        .value_kind:     by_value
      - .offset:         20
        .size:           4
        .value_kind:     by_value
      - .offset:         24
        .size:           4
        .value_kind:     by_value
      - .offset:         28
        .size:           4
        .value_kind:     by_value
      - .offset:         32
        .size:           12
        .value_kind:     by_value
      - .offset:         44
        .size:           12
        .value_kind:     by_value
      - .offset:         56
        .size:           12
        .value_kind:     by_value
      - .offset:         68
        .size:           12
        .value_kind:     by_value
      - .offset:         80
        .size:           4
        .value_kind:     hidden_block_count_x
      - .offset:         84
        .size:           4
        .value_kind:     hidden_block_count_y
      - .offset:         88
        .size:           4
        .value_kind:     hidden_block_count_z
      - .offset:         92
        .size:           2
        .value_kind:     hidden_group_size_x
      - .offset:         94
        .size:           2
        .value_kind:     hidden_group_size_y
      - .offset:         96
        .size:           2
        .value_kind:     hidden_group_size_z
      - .offset:         98
        .size:           2
        .value_kind:     hidden_remainder_x
      - .offset:         100
        .size:           2
        .value_kind:     hidden_remainder_y
      - .offset:         102
        .size:           2
        .value_kind:     hidden_remainder_z
      - .offset:         120
        .size:           8
        .value_kind:     hidden_global_offset_x
      - .offset:         128
        .size:           8
        .value_kind:     hidden_global_offset_y
      - .offset:         136
        .size:           8
        .value_kind:     hidden_global_offset_z
      - .offset:         144
        .size:           2
        .value_kind:     hidden_grid_dims
    .group_segment_fixed_size: 0
    .kernarg_segment_align: 8
    .kernarg_segment_size: 336
    .language:       OpenCL C
    .language_version:
      - 2
      - 0
    .max_flat_workgroup_size: 64
    .name:           _ZL33flash_attn_stream_k_fixup_generalILi64ELi4ELi2EEvPfPK15HIP_vector_typeIfLj2EEiiiiS1_IjLj3EES5_S5_S5_
    .private_segment_fixed_size: 0
    .sgpr_count:     48
    .sgpr_spill_count: 0
    .symbol:         _ZL33flash_attn_stream_k_fixup_generalILi64ELi4ELi2EEvPfPK15HIP_vector_typeIfLj2EEiiiiS1_IjLj3EES5_S5_S5_.kd
    .uniform_work_group_size: 1
    .uses_dynamic_stack: false
    .vgpr_count:     12
    .vgpr_spill_count: 0
    .wavefront_size: 32
  - .args:
      - .address_space:  global
        .offset:         0
        .size:           8
        .value_kind:     global_buffer
      - .address_space:  global
        .offset:         8
        .size:           8
        .value_kind:     global_buffer
      - .address_space:  global
        .offset:         16
        .size:           8
        .value_kind:     global_buffer
      - .address_space:  global
        .offset:         24
        .size:           8
        .value_kind:     global_buffer
      - .address_space:  global
        .offset:         32
        .size:           8
        .value_kind:     global_buffer
      - .address_space:  global
        .offset:         40
        .size:           8
        .value_kind:     global_buffer
      - .address_space:  global
        .offset:         48
        .size:           8
        .value_kind:     global_buffer
      - .address_space:  global
        .offset:         56
        .size:           8
        .value_kind:     global_buffer
      - .offset:         64
        .size:           4
        .value_kind:     by_value
      - .offset:         68
        .size:           4
        .value_kind:     by_value
      - .offset:         72
        .size:           4
        .value_kind:     by_value
      - .offset:         76
        .size:           4
        .value_kind:     by_value
      - .offset:         80
        .size:           4
        .value_kind:     by_value
      - .offset:         84
        .size:           4
        .value_kind:     by_value
      - .offset:         88
        .size:           4
        .value_kind:     by_value
      - .offset:         92
        .size:           12
        .value_kind:     by_value
      - .offset:         104
        .size:           4
        .value_kind:     by_value
      - .offset:         108
        .size:           4
        .value_kind:     by_value
      - .offset:         112
        .size:           4
        .value_kind:     by_value
      - .offset:         116
        .size:           4
        .value_kind:     by_value
      - .offset:         120
        .size:           4
        .value_kind:     by_value
      - .offset:         124
        .size:           4
        .value_kind:     by_value
      - .offset:         128
        .size:           4
        .value_kind:     by_value
      - .offset:         132
        .size:           4
        .value_kind:     by_value
      - .offset:         136
        .size:           4
        .value_kind:     by_value
      - .offset:         140
        .size:           4
        .value_kind:     by_value
      - .offset:         144
        .size:           4
        .value_kind:     by_value
      - .offset:         152
        .size:           8
        .value_kind:     by_value
      - .offset:         160
        .size:           4
        .value_kind:     by_value
      - .offset:         164
        .size:           4
        .value_kind:     by_value
      - .offset:         168
        .size:           8
        .value_kind:     by_value
      - .offset:         176
        .size:           4
        .value_kind:     by_value
      - .offset:         180
        .size:           4
        .value_kind:     by_value
      - .offset:         184
        .size:           4
        .value_kind:     by_value
      - .offset:         188
        .size:           4
        .value_kind:     by_value
      - .offset:         192
        .size:           4
        .value_kind:     by_value
      - .offset:         200
        .size:           8
        .value_kind:     by_value
      - .offset:         208
        .size:           4
        .value_kind:     hidden_block_count_x
      - .offset:         212
        .size:           4
        .value_kind:     hidden_block_count_y
      - .offset:         216
        .size:           4
        .value_kind:     hidden_block_count_z
      - .offset:         220
        .size:           2
        .value_kind:     hidden_group_size_x
      - .offset:         222
        .size:           2
        .value_kind:     hidden_group_size_y
      - .offset:         224
        .size:           2
        .value_kind:     hidden_group_size_z
      - .offset:         226
        .size:           2
        .value_kind:     hidden_remainder_x
      - .offset:         228
        .size:           2
        .value_kind:     hidden_remainder_y
      - .offset:         230
        .size:           2
        .value_kind:     hidden_remainder_z
      - .offset:         248
        .size:           8
        .value_kind:     hidden_global_offset_x
      - .offset:         256
        .size:           8
        .value_kind:     hidden_global_offset_y
      - .offset:         264
        .size:           8
        .value_kind:     hidden_global_offset_z
      - .offset:         272
        .size:           2
        .value_kind:     hidden_grid_dims
    .group_segment_fixed_size: 5376
    .kernarg_segment_align: 8
    .kernarg_segment_size: 464
    .language:       OpenCL C
    .language_version:
      - 2
      - 0
    .max_flat_workgroup_size: 64
    .name:           _ZL15flash_attn_tileILi64ELi64ELi2ELi2ELb0EEvPKcS1_S1_S1_S1_PKiPfP15HIP_vector_typeIfLj2EEffffjfiS5_IjLj3EEiiiiiiiiiiiliiliiiiil
    .private_segment_fixed_size: 0
    .sgpr_count:     45
    .sgpr_spill_count: 0
    .symbol:         _ZL15flash_attn_tileILi64ELi64ELi2ELi2ELb0EEvPKcS1_S1_S1_S1_PKiPfP15HIP_vector_typeIfLj2EEffffjfiS5_IjLj3EEiiiiiiiiiiiliiliiiiil.kd
    .uniform_work_group_size: 1
    .uses_dynamic_stack: false
    .vgpr_count:     124
    .vgpr_spill_count: 0
    .wavefront_size: 32
  - .args:
      - .address_space:  global
        .offset:         0
        .size:           8
        .value_kind:     global_buffer
      - .address_space:  global
        .offset:         8
        .size:           8
        .value_kind:     global_buffer
      - .offset:         16
        .size:           4
        .value_kind:     by_value
      - .offset:         20
        .size:           4
        .value_kind:     by_value
      - .offset:         24
        .size:           4
        .value_kind:     by_value
      - .offset:         28
        .size:           4
        .value_kind:     by_value
      - .offset:         32
        .size:           4
        .value_kind:     by_value
      - .offset:         36
        .size:           4
        .value_kind:     by_value
      - .offset:         40
        .size:           12
        .value_kind:     by_value
      - .offset:         52
        .size:           12
        .value_kind:     by_value
      - .offset:         64
        .size:           12
        .value_kind:     by_value
    .group_segment_fixed_size: 0
    .kernarg_segment_align: 8
    .kernarg_segment_size: 76
    .language:       OpenCL C
    .language_version:
      - 2
      - 0
    .max_flat_workgroup_size: 64
    .name:           _ZL33flash_attn_stream_k_fixup_uniformILi64ELi2ELi2EEvPfPK15HIP_vector_typeIfLj2EEiiiiiiS1_IjLj3EES5_S5_
    .private_segment_fixed_size: 0
    .sgpr_count:     23
    .sgpr_spill_count: 0
    .symbol:         _ZL33flash_attn_stream_k_fixup_uniformILi64ELi2ELi2EEvPfPK15HIP_vector_typeIfLj2EEiiiiiiS1_IjLj3EES5_S5_.kd
    .uniform_work_group_size: 1
    .uses_dynamic_stack: false
    .vgpr_count:     12
    .vgpr_spill_count: 0
    .wavefront_size: 32
  - .args:
      - .address_space:  global
        .offset:         0
        .size:           8
        .value_kind:     global_buffer
      - .address_space:  global
        .offset:         8
        .size:           8
        .value_kind:     global_buffer
      - .offset:         16
        .size:           4
        .value_kind:     by_value
      - .offset:         20
        .size:           4
        .value_kind:     by_value
      - .offset:         24
        .size:           4
        .value_kind:     by_value
      - .offset:         28
        .size:           4
        .value_kind:     by_value
      - .offset:         32
        .size:           12
        .value_kind:     by_value
      - .offset:         44
        .size:           12
        .value_kind:     by_value
      - .offset:         56
        .size:           12
        .value_kind:     by_value
      - .offset:         68
        .size:           12
        .value_kind:     by_value
      - .offset:         80
        .size:           4
        .value_kind:     hidden_block_count_x
      - .offset:         84
        .size:           4
        .value_kind:     hidden_block_count_y
      - .offset:         88
        .size:           4
        .value_kind:     hidden_block_count_z
      - .offset:         92
        .size:           2
        .value_kind:     hidden_group_size_x
      - .offset:         94
        .size:           2
        .value_kind:     hidden_group_size_y
      - .offset:         96
        .size:           2
        .value_kind:     hidden_group_size_z
      - .offset:         98
        .size:           2
        .value_kind:     hidden_remainder_x
      - .offset:         100
        .size:           2
        .value_kind:     hidden_remainder_y
      - .offset:         102
        .size:           2
        .value_kind:     hidden_remainder_z
      - .offset:         120
        .size:           8
        .value_kind:     hidden_global_offset_x
      - .offset:         128
        .size:           8
        .value_kind:     hidden_global_offset_y
      - .offset:         136
        .size:           8
        .value_kind:     hidden_global_offset_z
      - .offset:         144
        .size:           2
        .value_kind:     hidden_grid_dims
    .group_segment_fixed_size: 0
    .kernarg_segment_align: 8
    .kernarg_segment_size: 336
    .language:       OpenCL C
    .language_version:
      - 2
      - 0
    .max_flat_workgroup_size: 64
    .name:           _ZL33flash_attn_stream_k_fixup_generalILi64ELi2ELi2EEvPfPK15HIP_vector_typeIfLj2EEiiiiS1_IjLj3EES5_S5_S5_
    .private_segment_fixed_size: 0
    .sgpr_count:     48
    .sgpr_spill_count: 0
    .symbol:         _ZL33flash_attn_stream_k_fixup_generalILi64ELi2ELi2EEvPfPK15HIP_vector_typeIfLj2EEiiiiS1_IjLj3EES5_S5_S5_.kd
    .uniform_work_group_size: 1
    .uses_dynamic_stack: false
    .vgpr_count:     12
    .vgpr_spill_count: 0
    .wavefront_size: 32
  - .args:
      - .address_space:  global
        .offset:         0
        .size:           8
        .value_kind:     global_buffer
      - .address_space:  global
        .offset:         8
        .size:           8
        .value_kind:     global_buffer
      - .address_space:  global
        .offset:         16
        .size:           8
        .value_kind:     global_buffer
      - .address_space:  global
        .offset:         24
        .size:           8
        .value_kind:     global_buffer
      - .address_space:  global
        .offset:         32
        .size:           8
        .value_kind:     global_buffer
      - .address_space:  global
        .offset:         40
        .size:           8
        .value_kind:     global_buffer
      - .address_space:  global
        .offset:         48
        .size:           8
        .value_kind:     global_buffer
      - .address_space:  global
        .offset:         56
        .size:           8
        .value_kind:     global_buffer
      - .offset:         64
        .size:           4
        .value_kind:     by_value
      - .offset:         68
        .size:           4
        .value_kind:     by_value
      - .offset:         72
        .size:           4
        .value_kind:     by_value
      - .offset:         76
        .size:           4
        .value_kind:     by_value
      - .offset:         80
        .size:           4
        .value_kind:     by_value
      - .offset:         84
        .size:           4
        .value_kind:     by_value
      - .offset:         88
        .size:           4
        .value_kind:     by_value
      - .offset:         92
        .size:           12
        .value_kind:     by_value
      - .offset:         104
        .size:           4
        .value_kind:     by_value
      - .offset:         108
        .size:           4
        .value_kind:     by_value
      - .offset:         112
        .size:           4
        .value_kind:     by_value
      - .offset:         116
        .size:           4
        .value_kind:     by_value
      - .offset:         120
        .size:           4
        .value_kind:     by_value
      - .offset:         124
        .size:           4
        .value_kind:     by_value
      - .offset:         128
        .size:           4
        .value_kind:     by_value
      - .offset:         132
        .size:           4
        .value_kind:     by_value
      - .offset:         136
        .size:           4
        .value_kind:     by_value
      - .offset:         140
        .size:           4
        .value_kind:     by_value
      - .offset:         144
        .size:           4
        .value_kind:     by_value
      - .offset:         152
        .size:           8
        .value_kind:     by_value
      - .offset:         160
        .size:           4
        .value_kind:     by_value
      - .offset:         164
        .size:           4
        .value_kind:     by_value
      - .offset:         168
        .size:           8
        .value_kind:     by_value
      - .offset:         176
        .size:           4
        .value_kind:     by_value
      - .offset:         180
        .size:           4
        .value_kind:     by_value
      - .offset:         184
        .size:           4
        .value_kind:     by_value
      - .offset:         188
        .size:           4
        .value_kind:     by_value
      - .offset:         192
        .size:           4
        .value_kind:     by_value
      - .offset:         200
        .size:           8
        .value_kind:     by_value
      - .offset:         208
        .size:           4
        .value_kind:     hidden_block_count_x
      - .offset:         212
        .size:           4
        .value_kind:     hidden_block_count_y
      - .offset:         216
        .size:           4
        .value_kind:     hidden_block_count_z
      - .offset:         220
        .size:           2
        .value_kind:     hidden_group_size_x
      - .offset:         222
        .size:           2
        .value_kind:     hidden_group_size_y
      - .offset:         224
        .size:           2
        .value_kind:     hidden_group_size_z
      - .offset:         226
        .size:           2
        .value_kind:     hidden_remainder_x
      - .offset:         228
        .size:           2
        .value_kind:     hidden_remainder_y
      - .offset:         230
        .size:           2
        .value_kind:     hidden_remainder_z
      - .offset:         248
        .size:           8
        .value_kind:     hidden_global_offset_x
      - .offset:         256
        .size:           8
        .value_kind:     hidden_global_offset_y
      - .offset:         264
        .size:           8
        .value_kind:     hidden_global_offset_z
      - .offset:         272
        .size:           2
        .value_kind:     hidden_grid_dims
    .group_segment_fixed_size: 4992
    .kernarg_segment_align: 8
    .kernarg_segment_size: 464
    .language:       OpenCL C
    .language_version:
      - 2
      - 0
    .max_flat_workgroup_size: 64
    .name:           _ZL15flash_attn_tileILi64ELi64ELi1ELi2ELb0EEvPKcS1_S1_S1_S1_PKiPfP15HIP_vector_typeIfLj2EEffffjfiS5_IjLj3EEiiiiiiiiiiiliiliiiiil
    .private_segment_fixed_size: 0
    .sgpr_count:     45
    .sgpr_spill_count: 0
    .symbol:         _ZL15flash_attn_tileILi64ELi64ELi1ELi2ELb0EEvPKcS1_S1_S1_S1_PKiPfP15HIP_vector_typeIfLj2EEffffjfiS5_IjLj3EEiiiiiiiiiiiliiliiiiil.kd
    .uniform_work_group_size: 1
    .uses_dynamic_stack: false
    .vgpr_count:     72
    .vgpr_spill_count: 0
    .wavefront_size: 32
  - .args:
      - .address_space:  global
        .offset:         0
        .size:           8
        .value_kind:     global_buffer
      - .address_space:  global
        .offset:         8
        .size:           8
        .value_kind:     global_buffer
      - .offset:         16
        .size:           4
        .value_kind:     by_value
      - .offset:         20
        .size:           4
        .value_kind:     by_value
      - .offset:         24
        .size:           4
        .value_kind:     by_value
      - .offset:         28
        .size:           4
        .value_kind:     by_value
      - .offset:         32
        .size:           4
        .value_kind:     by_value
      - .offset:         36
        .size:           4
        .value_kind:     by_value
      - .offset:         40
        .size:           12
        .value_kind:     by_value
      - .offset:         52
        .size:           12
        .value_kind:     by_value
      - .offset:         64
        .size:           12
        .value_kind:     by_value
    .group_segment_fixed_size: 0
    .kernarg_segment_align: 8
    .kernarg_segment_size: 76
    .language:       OpenCL C
    .language_version:
      - 2
      - 0
    .max_flat_workgroup_size: 64
    .name:           _ZL33flash_attn_stream_k_fixup_uniformILi64ELi1ELi2EEvPfPK15HIP_vector_typeIfLj2EEiiiiiiS1_IjLj3EES5_S5_
    .private_segment_fixed_size: 0
    .sgpr_count:     23
    .sgpr_spill_count: 0
    .symbol:         _ZL33flash_attn_stream_k_fixup_uniformILi64ELi1ELi2EEvPfPK15HIP_vector_typeIfLj2EEiiiiiiS1_IjLj3EES5_S5_.kd
    .uniform_work_group_size: 1
    .uses_dynamic_stack: false
    .vgpr_count:     12
    .vgpr_spill_count: 0
    .wavefront_size: 32
  - .args:
      - .address_space:  global
        .offset:         0
        .size:           8
        .value_kind:     global_buffer
      - .address_space:  global
        .offset:         8
        .size:           8
        .value_kind:     global_buffer
      - .offset:         16
        .size:           4
        .value_kind:     by_value
      - .offset:         20
        .size:           4
        .value_kind:     by_value
      - .offset:         24
        .size:           4
        .value_kind:     by_value
      - .offset:         28
        .size:           4
        .value_kind:     by_value
      - .offset:         32
        .size:           12
        .value_kind:     by_value
      - .offset:         44
        .size:           12
        .value_kind:     by_value
      - .offset:         56
        .size:           12
        .value_kind:     by_value
      - .offset:         68
        .size:           12
        .value_kind:     by_value
      - .offset:         80
        .size:           4
        .value_kind:     hidden_block_count_x
      - .offset:         84
        .size:           4
        .value_kind:     hidden_block_count_y
      - .offset:         88
        .size:           4
        .value_kind:     hidden_block_count_z
      - .offset:         92
        .size:           2
        .value_kind:     hidden_group_size_x
      - .offset:         94
        .size:           2
        .value_kind:     hidden_group_size_y
      - .offset:         96
        .size:           2
        .value_kind:     hidden_group_size_z
      - .offset:         98
        .size:           2
        .value_kind:     hidden_remainder_x
      - .offset:         100
        .size:           2
        .value_kind:     hidden_remainder_y
      - .offset:         102
        .size:           2
        .value_kind:     hidden_remainder_z
      - .offset:         120
        .size:           8
        .value_kind:     hidden_global_offset_x
      - .offset:         128
        .size:           8
        .value_kind:     hidden_global_offset_y
      - .offset:         136
        .size:           8
        .value_kind:     hidden_global_offset_z
      - .offset:         144
        .size:           2
        .value_kind:     hidden_grid_dims
    .group_segment_fixed_size: 0
    .kernarg_segment_align: 8
    .kernarg_segment_size: 336
    .language:       OpenCL C
    .language_version:
      - 2
      - 0
    .max_flat_workgroup_size: 64
    .name:           _ZL33flash_attn_stream_k_fixup_generalILi64ELi1ELi2EEvPfPK15HIP_vector_typeIfLj2EEiiiiS1_IjLj3EES5_S5_S5_
    .private_segment_fixed_size: 0
    .sgpr_count:     48
    .sgpr_spill_count: 0
    .symbol:         _ZL33flash_attn_stream_k_fixup_generalILi64ELi1ELi2EEvPfPK15HIP_vector_typeIfLj2EEiiiiS1_IjLj3EES5_S5_S5_.kd
    .uniform_work_group_size: 1
    .uses_dynamic_stack: false
    .vgpr_count:     12
    .vgpr_spill_count: 0
    .wavefront_size: 32
  - .args:
      - .address_space:  global
        .offset:         0
        .size:           8
        .value_kind:     global_buffer
      - .address_space:  global
        .offset:         8
        .size:           8
        .value_kind:     global_buffer
      - .address_space:  global
        .offset:         16
        .size:           8
        .value_kind:     global_buffer
      - .address_space:  global
        .offset:         24
        .size:           8
        .value_kind:     global_buffer
      - .address_space:  global
        .offset:         32
        .size:           8
        .value_kind:     global_buffer
      - .address_space:  global
        .offset:         40
        .size:           8
        .value_kind:     global_buffer
      - .address_space:  global
        .offset:         48
        .size:           8
        .value_kind:     global_buffer
      - .address_space:  global
        .offset:         56
        .size:           8
        .value_kind:     global_buffer
      - .offset:         64
        .size:           4
        .value_kind:     by_value
      - .offset:         68
        .size:           4
        .value_kind:     by_value
      - .offset:         72
        .size:           4
        .value_kind:     by_value
      - .offset:         76
        .size:           4
        .value_kind:     by_value
      - .offset:         80
        .size:           4
        .value_kind:     by_value
      - .offset:         84
        .size:           4
        .value_kind:     by_value
      - .offset:         88
        .size:           4
        .value_kind:     by_value
      - .offset:         92
        .size:           12
        .value_kind:     by_value
      - .offset:         104
        .size:           4
        .value_kind:     by_value
      - .offset:         108
        .size:           4
        .value_kind:     by_value
      - .offset:         112
        .size:           4
        .value_kind:     by_value
      - .offset:         116
        .size:           4
        .value_kind:     by_value
      - .offset:         120
        .size:           4
        .value_kind:     by_value
      - .offset:         124
        .size:           4
        .value_kind:     by_value
      - .offset:         128
        .size:           4
        .value_kind:     by_value
      - .offset:         132
        .size:           4
        .value_kind:     by_value
      - .offset:         136
        .size:           4
        .value_kind:     by_value
      - .offset:         140
        .size:           4
        .value_kind:     by_value
      - .offset:         144
        .size:           4
        .value_kind:     by_value
      - .offset:         152
        .size:           8
        .value_kind:     by_value
      - .offset:         160
        .size:           4
        .value_kind:     by_value
      - .offset:         164
        .size:           4
        .value_kind:     by_value
      - .offset:         168
        .size:           8
        .value_kind:     by_value
      - .offset:         176
        .size:           4
        .value_kind:     by_value
      - .offset:         180
        .size:           4
        .value_kind:     by_value
      - .offset:         184
        .size:           4
        .value_kind:     by_value
      - .offset:         188
        .size:           4
        .value_kind:     by_value
      - .offset:         192
        .size:           4
        .value_kind:     by_value
      - .offset:         200
        .size:           8
        .value_kind:     by_value
      - .offset:         208
        .size:           4
        .value_kind:     hidden_block_count_x
      - .offset:         212
        .size:           4
        .value_kind:     hidden_block_count_y
      - .offset:         216
        .size:           4
        .value_kind:     hidden_block_count_z
      - .offset:         220
        .size:           2
        .value_kind:     hidden_group_size_x
      - .offset:         222
        .size:           2
        .value_kind:     hidden_group_size_y
      - .offset:         224
        .size:           2
        .value_kind:     hidden_group_size_z
      - .offset:         226
        .size:           2
        .value_kind:     hidden_remainder_x
      - .offset:         228
        .size:           2
        .value_kind:     hidden_remainder_y
      - .offset:         230
        .size:           2
        .value_kind:     hidden_remainder_z
      - .offset:         248
        .size:           8
        .value_kind:     hidden_global_offset_x
      - .offset:         256
        .size:           8
        .value_kind:     hidden_global_offset_y
      - .offset:         264
        .size:           8
        .value_kind:     hidden_global_offset_z
      - .offset:         272
        .size:           2
        .value_kind:     hidden_grid_dims
    .group_segment_fixed_size: 25600
    .kernarg_segment_align: 8
    .kernarg_segment_size: 464
    .language:       OpenCL C
    .language_version:
      - 2
      - 0
    .max_flat_workgroup_size: 128
    .name:           _ZL15flash_attn_tileILi64ELi64ELi64ELi1ELb0EEvPKcS1_S1_S1_S1_PKiPfP15HIP_vector_typeIfLj2EEffffjfiS5_IjLj3EEiiiiiiiiiiiliiliiiiil
    .private_segment_fixed_size: 272
    .sgpr_count:     48
    .sgpr_spill_count: 0
    .symbol:         _ZL15flash_attn_tileILi64ELi64ELi64ELi1ELb0EEvPKcS1_S1_S1_S1_PKiPfP15HIP_vector_typeIfLj2EEffffjfiS5_IjLj3EEiiiiiiiiiiiliiliiiiil.kd
    .uniform_work_group_size: 1
    .uses_dynamic_stack: false
    .vgpr_count:     192
    .vgpr_spill_count: 67
    .wavefront_size: 32
  - .args:
      - .actual_access:  read_only
        .address_space:  global
        .offset:         0
        .size:           8
        .value_kind:     global_buffer
      - .actual_access:  write_only
        .address_space:  global
        .offset:         8
        .size:           8
        .value_kind:     global_buffer
      - .offset:         16
        .size:           4
        .value_kind:     by_value
      - .offset:         20
        .size:           4
        .value_kind:     by_value
      - .offset:         24
        .size:           4
        .value_kind:     by_value
      - .offset:         32
        .size:           4
        .value_kind:     hidden_block_count_x
      - .offset:         36
        .size:           4
        .value_kind:     hidden_block_count_y
      - .offset:         40
        .size:           4
        .value_kind:     hidden_block_count_z
      - .offset:         44
        .size:           2
        .value_kind:     hidden_group_size_x
      - .offset:         46
        .size:           2
        .value_kind:     hidden_group_size_y
      - .offset:         48
        .size:           2
        .value_kind:     hidden_group_size_z
      - .offset:         50
        .size:           2
        .value_kind:     hidden_remainder_x
      - .offset:         52
        .size:           2
        .value_kind:     hidden_remainder_y
      - .offset:         54
        .size:           2
        .value_kind:     hidden_remainder_z
      - .offset:         72
        .size:           8
        .value_kind:     hidden_global_offset_x
      - .offset:         80
        .size:           8
        .value_kind:     hidden_global_offset_y
      - .offset:         88
        .size:           8
        .value_kind:     hidden_global_offset_z
      - .offset:         96
        .size:           2
        .value_kind:     hidden_grid_dims
    .group_segment_fixed_size: 128
    .kernarg_segment_align: 8
    .kernarg_segment_size: 288
    .language:       OpenCL C
    .language_version:
      - 2
      - 0
    .max_flat_workgroup_size: 128
    .name:           _ZL25flash_attn_mask_to_KV_maxILi64EEvPK7__half2Piiii
    .private_segment_fixed_size: 0
    .sgpr_count:     107
    .sgpr_spill_count: 33
    .symbol:         _ZL25flash_attn_mask_to_KV_maxILi64EEvPK7__half2Piiii.kd
    .uniform_work_group_size: 1
    .uses_dynamic_stack: false
    .vgpr_count:     8
    .vgpr_spill_count: 0
    .wavefront_size: 32
  - .args:
      - .address_space:  global
        .offset:         0
        .size:           8
        .value_kind:     global_buffer
      - .address_space:  global
        .offset:         8
        .size:           8
        .value_kind:     global_buffer
      - .offset:         16
        .size:           4
        .value_kind:     by_value
      - .offset:         20
        .size:           4
        .value_kind:     by_value
      - .offset:         24
        .size:           4
        .value_kind:     by_value
      - .offset:         28
        .size:           4
        .value_kind:     by_value
      - .offset:         32
        .size:           4
        .value_kind:     by_value
      - .offset:         36
        .size:           4
        .value_kind:     by_value
      - .offset:         40
        .size:           12
        .value_kind:     by_value
      - .offset:         52
        .size:           12
        .value_kind:     by_value
      - .offset:         64
        .size:           12
        .value_kind:     by_value
    .group_segment_fixed_size: 0
    .kernarg_segment_align: 8
    .kernarg_segment_size: 76
    .language:       OpenCL C
    .language_version:
      - 2
      - 0
    .max_flat_workgroup_size: 64
    .name:           _ZL33flash_attn_stream_k_fixup_uniformILi64ELi64ELi1EEvPfPK15HIP_vector_typeIfLj2EEiiiiiiS1_IjLj3EES5_S5_
    .private_segment_fixed_size: 0
    .sgpr_count:     23
    .sgpr_spill_count: 0
    .symbol:         _ZL33flash_attn_stream_k_fixup_uniformILi64ELi64ELi1EEvPfPK15HIP_vector_typeIfLj2EEiiiiiiS1_IjLj3EES5_S5_.kd
    .uniform_work_group_size: 1
    .uses_dynamic_stack: false
    .vgpr_count:     12
    .vgpr_spill_count: 0
    .wavefront_size: 32
  - .args:
      - .address_space:  global
        .offset:         0
        .size:           8
        .value_kind:     global_buffer
      - .address_space:  global
        .offset:         8
        .size:           8
        .value_kind:     global_buffer
      - .offset:         16
        .size:           4
        .value_kind:     by_value
      - .offset:         20
        .size:           4
        .value_kind:     by_value
      - .offset:         24
        .size:           4
        .value_kind:     by_value
      - .offset:         28
        .size:           4
        .value_kind:     by_value
      - .offset:         32
        .size:           12
        .value_kind:     by_value
      - .offset:         44
        .size:           12
        .value_kind:     by_value
      - .offset:         56
        .size:           12
        .value_kind:     by_value
      - .offset:         68
        .size:           12
        .value_kind:     by_value
      - .offset:         80
        .size:           4
        .value_kind:     hidden_block_count_x
      - .offset:         84
        .size:           4
        .value_kind:     hidden_block_count_y
      - .offset:         88
        .size:           4
        .value_kind:     hidden_block_count_z
      - .offset:         92
        .size:           2
        .value_kind:     hidden_group_size_x
      - .offset:         94
        .size:           2
        .value_kind:     hidden_group_size_y
      - .offset:         96
        .size:           2
        .value_kind:     hidden_group_size_z
      - .offset:         98
        .size:           2
        .value_kind:     hidden_remainder_x
      - .offset:         100
        .size:           2
        .value_kind:     hidden_remainder_y
      - .offset:         102
        .size:           2
        .value_kind:     hidden_remainder_z
      - .offset:         120
        .size:           8
        .value_kind:     hidden_global_offset_x
      - .offset:         128
        .size:           8
        .value_kind:     hidden_global_offset_y
      - .offset:         136
        .size:           8
        .value_kind:     hidden_global_offset_z
      - .offset:         144
        .size:           2
        .value_kind:     hidden_grid_dims
    .group_segment_fixed_size: 0
    .kernarg_segment_align: 8
    .kernarg_segment_size: 336
    .language:       OpenCL C
    .language_version:
      - 2
      - 0
    .max_flat_workgroup_size: 64
    .name:           _ZL33flash_attn_stream_k_fixup_generalILi64ELi64ELi1EEvPfPK15HIP_vector_typeIfLj2EEiiiiS1_IjLj3EES5_S5_S5_
    .private_segment_fixed_size: 0
    .sgpr_count:     48
    .sgpr_spill_count: 0
    .symbol:         _ZL33flash_attn_stream_k_fixup_generalILi64ELi64ELi1EEvPfPK15HIP_vector_typeIfLj2EEiiiiS1_IjLj3EES5_S5_S5_.kd
    .uniform_work_group_size: 1
    .uses_dynamic_stack: false
    .vgpr_count:     12
    .vgpr_spill_count: 0
    .wavefront_size: 32
  - .args:
      - .address_space:  global
        .offset:         0
        .size:           8
        .value_kind:     global_buffer
      - .address_space:  global
        .offset:         8
        .size:           8
        .value_kind:     global_buffer
      - .address_space:  global
        .offset:         16
        .size:           8
        .value_kind:     global_buffer
      - .address_space:  global
        .offset:         24
        .size:           8
        .value_kind:     global_buffer
      - .address_space:  global
        .offset:         32
        .size:           8
        .value_kind:     global_buffer
      - .address_space:  global
        .offset:         40
        .size:           8
        .value_kind:     global_buffer
      - .address_space:  global
        .offset:         48
        .size:           8
        .value_kind:     global_buffer
      - .address_space:  global
        .offset:         56
        .size:           8
        .value_kind:     global_buffer
      - .offset:         64
        .size:           4
        .value_kind:     by_value
      - .offset:         68
        .size:           4
        .value_kind:     by_value
      - .offset:         72
        .size:           4
        .value_kind:     by_value
      - .offset:         76
        .size:           4
        .value_kind:     by_value
      - .offset:         80
        .size:           4
        .value_kind:     by_value
      - .offset:         84
        .size:           4
        .value_kind:     by_value
      - .offset:         88
        .size:           4
        .value_kind:     by_value
      - .offset:         92
        .size:           12
        .value_kind:     by_value
      - .offset:         104
        .size:           4
        .value_kind:     by_value
      - .offset:         108
        .size:           4
        .value_kind:     by_value
      - .offset:         112
        .size:           4
        .value_kind:     by_value
      - .offset:         116
        .size:           4
        .value_kind:     by_value
      - .offset:         120
        .size:           4
        .value_kind:     by_value
      - .offset:         124
        .size:           4
        .value_kind:     by_value
      - .offset:         128
        .size:           4
        .value_kind:     by_value
      - .offset:         132
        .size:           4
        .value_kind:     by_value
      - .offset:         136
        .size:           4
        .value_kind:     by_value
      - .offset:         140
        .size:           4
        .value_kind:     by_value
      - .offset:         144
        .size:           4
        .value_kind:     by_value
      - .offset:         152
        .size:           8
        .value_kind:     by_value
      - .offset:         160
        .size:           4
        .value_kind:     by_value
      - .offset:         164
        .size:           4
        .value_kind:     by_value
      - .offset:         168
        .size:           8
        .value_kind:     by_value
      - .offset:         176
        .size:           4
        .value_kind:     by_value
      - .offset:         180
        .size:           4
        .value_kind:     by_value
      - .offset:         184
        .size:           4
        .value_kind:     by_value
      - .offset:         188
        .size:           4
        .value_kind:     by_value
      - .offset:         192
        .size:           4
        .value_kind:     by_value
      - .offset:         200
        .size:           8
        .value_kind:     by_value
      - .offset:         208
        .size:           4
        .value_kind:     hidden_block_count_x
      - .offset:         212
        .size:           4
        .value_kind:     hidden_block_count_y
      - .offset:         216
        .size:           4
        .value_kind:     hidden_block_count_z
      - .offset:         220
        .size:           2
        .value_kind:     hidden_group_size_x
      - .offset:         222
        .size:           2
        .value_kind:     hidden_group_size_y
      - .offset:         224
        .size:           2
        .value_kind:     hidden_group_size_z
      - .offset:         226
        .size:           2
        .value_kind:     hidden_remainder_x
      - .offset:         228
        .size:           2
        .value_kind:     hidden_remainder_y
      - .offset:         230
        .size:           2
        .value_kind:     hidden_remainder_z
      - .offset:         248
        .size:           8
        .value_kind:     hidden_global_offset_x
      - .offset:         256
        .size:           8
        .value_kind:     hidden_global_offset_y
      - .offset:         264
        .size:           8
        .value_kind:     hidden_global_offset_z
      - .offset:         272
        .size:           2
        .value_kind:     hidden_grid_dims
    .group_segment_fixed_size: 17408
    .kernarg_segment_align: 8
    .kernarg_segment_size: 464
    .language:       OpenCL C
    .language_version:
      - 2
      - 0
    .max_flat_workgroup_size: 128
    .name:           _ZL15flash_attn_tileILi64ELi64ELi32ELi1ELb0EEvPKcS1_S1_S1_S1_PKiPfP15HIP_vector_typeIfLj2EEffffjfiS5_IjLj3EEiiiiiiiiiiiliiliiiiil
    .private_segment_fixed_size: 32
    .sgpr_count:     49
    .sgpr_spill_count: 0
    .symbol:         _ZL15flash_attn_tileILi64ELi64ELi32ELi1ELb0EEvPKcS1_S1_S1_S1_PKiPfP15HIP_vector_typeIfLj2EEffffjfiS5_IjLj3EEiiiiiiiiiiiliiliiiiil.kd
    .uniform_work_group_size: 1
    .uses_dynamic_stack: false
    .vgpr_count:     156
    .vgpr_spill_count: 0
    .wavefront_size: 32
  - .args:
      - .address_space:  global
        .offset:         0
        .size:           8
        .value_kind:     global_buffer
      - .address_space:  global
        .offset:         8
        .size:           8
        .value_kind:     global_buffer
      - .offset:         16
        .size:           4
        .value_kind:     by_value
      - .offset:         20
        .size:           4
        .value_kind:     by_value
      - .offset:         24
        .size:           4
        .value_kind:     by_value
      - .offset:         28
        .size:           4
        .value_kind:     by_value
      - .offset:         32
        .size:           4
        .value_kind:     by_value
      - .offset:         36
        .size:           4
        .value_kind:     by_value
      - .offset:         40
        .size:           12
        .value_kind:     by_value
      - .offset:         52
        .size:           12
        .value_kind:     by_value
      - .offset:         64
        .size:           12
        .value_kind:     by_value
    .group_segment_fixed_size: 0
    .kernarg_segment_align: 8
    .kernarg_segment_size: 76
    .language:       OpenCL C
    .language_version:
      - 2
      - 0
    .max_flat_workgroup_size: 64
    .name:           _ZL33flash_attn_stream_k_fixup_uniformILi64ELi32ELi1EEvPfPK15HIP_vector_typeIfLj2EEiiiiiiS1_IjLj3EES5_S5_
    .private_segment_fixed_size: 0
    .sgpr_count:     23
    .sgpr_spill_count: 0
    .symbol:         _ZL33flash_attn_stream_k_fixup_uniformILi64ELi32ELi1EEvPfPK15HIP_vector_typeIfLj2EEiiiiiiS1_IjLj3EES5_S5_.kd
    .uniform_work_group_size: 1
    .uses_dynamic_stack: false
    .vgpr_count:     12
    .vgpr_spill_count: 0
    .wavefront_size: 32
  - .args:
      - .address_space:  global
        .offset:         0
        .size:           8
        .value_kind:     global_buffer
      - .address_space:  global
        .offset:         8
        .size:           8
        .value_kind:     global_buffer
      - .offset:         16
        .size:           4
        .value_kind:     by_value
      - .offset:         20
        .size:           4
        .value_kind:     by_value
      - .offset:         24
        .size:           4
        .value_kind:     by_value
      - .offset:         28
        .size:           4
        .value_kind:     by_value
      - .offset:         32
        .size:           12
        .value_kind:     by_value
      - .offset:         44
        .size:           12
        .value_kind:     by_value
      - .offset:         56
        .size:           12
        .value_kind:     by_value
      - .offset:         68
        .size:           12
        .value_kind:     by_value
      - .offset:         80
        .size:           4
        .value_kind:     hidden_block_count_x
      - .offset:         84
        .size:           4
        .value_kind:     hidden_block_count_y
      - .offset:         88
        .size:           4
        .value_kind:     hidden_block_count_z
      - .offset:         92
        .size:           2
        .value_kind:     hidden_group_size_x
      - .offset:         94
        .size:           2
        .value_kind:     hidden_group_size_y
      - .offset:         96
        .size:           2
        .value_kind:     hidden_group_size_z
      - .offset:         98
        .size:           2
        .value_kind:     hidden_remainder_x
      - .offset:         100
        .size:           2
        .value_kind:     hidden_remainder_y
      - .offset:         102
        .size:           2
        .value_kind:     hidden_remainder_z
      - .offset:         120
        .size:           8
        .value_kind:     hidden_global_offset_x
      - .offset:         128
        .size:           8
        .value_kind:     hidden_global_offset_y
      - .offset:         136
        .size:           8
        .value_kind:     hidden_global_offset_z
      - .offset:         144
        .size:           2
        .value_kind:     hidden_grid_dims
    .group_segment_fixed_size: 0
    .kernarg_segment_align: 8
    .kernarg_segment_size: 336
    .language:       OpenCL C
    .language_version:
      - 2
      - 0
    .max_flat_workgroup_size: 64
    .name:           _ZL33flash_attn_stream_k_fixup_generalILi64ELi32ELi1EEvPfPK15HIP_vector_typeIfLj2EEiiiiS1_IjLj3EES5_S5_S5_
    .private_segment_fixed_size: 0
    .sgpr_count:     48
    .sgpr_spill_count: 0
    .symbol:         _ZL33flash_attn_stream_k_fixup_generalILi64ELi32ELi1EEvPfPK15HIP_vector_typeIfLj2EEiiiiS1_IjLj3EES5_S5_S5_.kd
    .uniform_work_group_size: 1
    .uses_dynamic_stack: false
    .vgpr_count:     12
    .vgpr_spill_count: 0
    .wavefront_size: 32
  - .args:
      - .address_space:  global
        .offset:         0
        .size:           8
        .value_kind:     global_buffer
      - .address_space:  global
        .offset:         8
        .size:           8
        .value_kind:     global_buffer
      - .address_space:  global
        .offset:         16
        .size:           8
        .value_kind:     global_buffer
      - .address_space:  global
        .offset:         24
        .size:           8
        .value_kind:     global_buffer
      - .address_space:  global
        .offset:         32
        .size:           8
        .value_kind:     global_buffer
      - .address_space:  global
        .offset:         40
        .size:           8
        .value_kind:     global_buffer
      - .address_space:  global
        .offset:         48
        .size:           8
        .value_kind:     global_buffer
      - .address_space:  global
        .offset:         56
        .size:           8
        .value_kind:     global_buffer
      - .offset:         64
        .size:           4
        .value_kind:     by_value
      - .offset:         68
        .size:           4
        .value_kind:     by_value
      - .offset:         72
        .size:           4
        .value_kind:     by_value
      - .offset:         76
        .size:           4
        .value_kind:     by_value
      - .offset:         80
        .size:           4
        .value_kind:     by_value
      - .offset:         84
        .size:           4
        .value_kind:     by_value
      - .offset:         88
        .size:           4
        .value_kind:     by_value
      - .offset:         92
        .size:           12
        .value_kind:     by_value
      - .offset:         104
        .size:           4
        .value_kind:     by_value
      - .offset:         108
        .size:           4
        .value_kind:     by_value
      - .offset:         112
        .size:           4
        .value_kind:     by_value
      - .offset:         116
        .size:           4
        .value_kind:     by_value
      - .offset:         120
        .size:           4
        .value_kind:     by_value
      - .offset:         124
        .size:           4
        .value_kind:     by_value
      - .offset:         128
        .size:           4
        .value_kind:     by_value
      - .offset:         132
        .size:           4
        .value_kind:     by_value
      - .offset:         136
        .size:           4
        .value_kind:     by_value
      - .offset:         140
        .size:           4
        .value_kind:     by_value
      - .offset:         144
        .size:           4
        .value_kind:     by_value
      - .offset:         152
        .size:           8
        .value_kind:     by_value
      - .offset:         160
        .size:           4
        .value_kind:     by_value
      - .offset:         164
        .size:           4
        .value_kind:     by_value
      - .offset:         168
        .size:           8
        .value_kind:     by_value
      - .offset:         176
        .size:           4
        .value_kind:     by_value
      - .offset:         180
        .size:           4
        .value_kind:     by_value
      - .offset:         184
        .size:           4
        .value_kind:     by_value
      - .offset:         188
        .size:           4
        .value_kind:     by_value
      - .offset:         192
        .size:           4
        .value_kind:     by_value
      - .offset:         200
        .size:           8
        .value_kind:     by_value
      - .offset:         208
        .size:           4
        .value_kind:     hidden_block_count_x
      - .offset:         212
        .size:           4
        .value_kind:     hidden_block_count_y
      - .offset:         216
        .size:           4
        .value_kind:     hidden_block_count_z
      - .offset:         220
        .size:           2
        .value_kind:     hidden_group_size_x
      - .offset:         222
        .size:           2
        .value_kind:     hidden_group_size_y
      - .offset:         224
        .size:           2
        .value_kind:     hidden_group_size_z
      - .offset:         226
        .size:           2
        .value_kind:     hidden_remainder_x
      - .offset:         228
        .size:           2
        .value_kind:     hidden_remainder_y
      - .offset:         230
        .size:           2
        .value_kind:     hidden_remainder_z
      - .offset:         248
        .size:           8
        .value_kind:     hidden_global_offset_x
      - .offset:         256
        .size:           8
        .value_kind:     hidden_global_offset_y
      - .offset:         264
        .size:           8
        .value_kind:     hidden_global_offset_z
      - .offset:         272
        .size:           2
        .value_kind:     hidden_grid_dims
    .group_segment_fixed_size: 24576
    .kernarg_segment_align: 8
    .kernarg_segment_size: 464
    .language:       OpenCL C
    .language_version:
      - 2
      - 0
    .max_flat_workgroup_size: 128
    .name:           _ZL15flash_attn_tileILi64ELi64ELi16ELi1ELb0EEvPKcS1_S1_S1_S1_PKiPfP15HIP_vector_typeIfLj2EEffffjfiS5_IjLj3EEiiiiiiiiiiiliiliiiiil
    .private_segment_fixed_size: 32
    .sgpr_count:     49
    .sgpr_spill_count: 0
    .symbol:         _ZL15flash_attn_tileILi64ELi64ELi16ELi1ELb0EEvPKcS1_S1_S1_S1_PKiPfP15HIP_vector_typeIfLj2EEffffjfiS5_IjLj3EEiiiiiiiiiiiliiliiiiil.kd
    .uniform_work_group_size: 1
    .uses_dynamic_stack: false
    .vgpr_count:     128
    .vgpr_spill_count: 0
    .wavefront_size: 32
  - .args:
      - .address_space:  global
        .offset:         0
        .size:           8
        .value_kind:     global_buffer
      - .address_space:  global
        .offset:         8
        .size:           8
        .value_kind:     global_buffer
      - .offset:         16
        .size:           4
        .value_kind:     by_value
      - .offset:         20
        .size:           4
        .value_kind:     by_value
      - .offset:         24
        .size:           4
        .value_kind:     by_value
      - .offset:         28
        .size:           4
        .value_kind:     by_value
      - .offset:         32
        .size:           4
        .value_kind:     by_value
      - .offset:         36
        .size:           4
        .value_kind:     by_value
      - .offset:         40
        .size:           12
        .value_kind:     by_value
      - .offset:         52
        .size:           12
        .value_kind:     by_value
      - .offset:         64
        .size:           12
        .value_kind:     by_value
    .group_segment_fixed_size: 0
    .kernarg_segment_align: 8
    .kernarg_segment_size: 76
    .language:       OpenCL C
    .language_version:
      - 2
      - 0
    .max_flat_workgroup_size: 64
    .name:           _ZL33flash_attn_stream_k_fixup_uniformILi64ELi16ELi1EEvPfPK15HIP_vector_typeIfLj2EEiiiiiiS1_IjLj3EES5_S5_
    .private_segment_fixed_size: 0
    .sgpr_count:     23
    .sgpr_spill_count: 0
    .symbol:         _ZL33flash_attn_stream_k_fixup_uniformILi64ELi16ELi1EEvPfPK15HIP_vector_typeIfLj2EEiiiiiiS1_IjLj3EES5_S5_.kd
    .uniform_work_group_size: 1
    .uses_dynamic_stack: false
    .vgpr_count:     12
    .vgpr_spill_count: 0
    .wavefront_size: 32
  - .args:
      - .address_space:  global
        .offset:         0
        .size:           8
        .value_kind:     global_buffer
      - .address_space:  global
        .offset:         8
        .size:           8
        .value_kind:     global_buffer
      - .offset:         16
        .size:           4
        .value_kind:     by_value
      - .offset:         20
        .size:           4
        .value_kind:     by_value
      - .offset:         24
        .size:           4
        .value_kind:     by_value
      - .offset:         28
        .size:           4
        .value_kind:     by_value
      - .offset:         32
        .size:           12
        .value_kind:     by_value
      - .offset:         44
        .size:           12
        .value_kind:     by_value
      - .offset:         56
        .size:           12
        .value_kind:     by_value
      - .offset:         68
        .size:           12
        .value_kind:     by_value
      - .offset:         80
        .size:           4
        .value_kind:     hidden_block_count_x
      - .offset:         84
        .size:           4
        .value_kind:     hidden_block_count_y
      - .offset:         88
        .size:           4
        .value_kind:     hidden_block_count_z
      - .offset:         92
        .size:           2
        .value_kind:     hidden_group_size_x
      - .offset:         94
        .size:           2
        .value_kind:     hidden_group_size_y
      - .offset:         96
        .size:           2
        .value_kind:     hidden_group_size_z
      - .offset:         98
        .size:           2
        .value_kind:     hidden_remainder_x
      - .offset:         100
        .size:           2
        .value_kind:     hidden_remainder_y
      - .offset:         102
        .size:           2
        .value_kind:     hidden_remainder_z
      - .offset:         120
        .size:           8
        .value_kind:     hidden_global_offset_x
      - .offset:         128
        .size:           8
        .value_kind:     hidden_global_offset_y
      - .offset:         136
        .size:           8
        .value_kind:     hidden_global_offset_z
      - .offset:         144
        .size:           2
        .value_kind:     hidden_grid_dims
    .group_segment_fixed_size: 0
    .kernarg_segment_align: 8
    .kernarg_segment_size: 336
    .language:       OpenCL C
    .language_version:
      - 2
      - 0
    .max_flat_workgroup_size: 64
    .name:           _ZL33flash_attn_stream_k_fixup_generalILi64ELi16ELi1EEvPfPK15HIP_vector_typeIfLj2EEiiiiS1_IjLj3EES5_S5_S5_
    .private_segment_fixed_size: 0
    .sgpr_count:     48
    .sgpr_spill_count: 0
    .symbol:         _ZL33flash_attn_stream_k_fixup_generalILi64ELi16ELi1EEvPfPK15HIP_vector_typeIfLj2EEiiiiS1_IjLj3EES5_S5_S5_.kd
    .uniform_work_group_size: 1
    .uses_dynamic_stack: false
    .vgpr_count:     12
    .vgpr_spill_count: 0
    .wavefront_size: 32
  - .args:
      - .address_space:  global
        .offset:         0
        .size:           8
        .value_kind:     global_buffer
      - .address_space:  global
        .offset:         8
        .size:           8
        .value_kind:     global_buffer
      - .address_space:  global
        .offset:         16
        .size:           8
        .value_kind:     global_buffer
      - .address_space:  global
        .offset:         24
        .size:           8
        .value_kind:     global_buffer
      - .address_space:  global
        .offset:         32
        .size:           8
        .value_kind:     global_buffer
      - .address_space:  global
        .offset:         40
        .size:           8
        .value_kind:     global_buffer
      - .address_space:  global
        .offset:         48
        .size:           8
        .value_kind:     global_buffer
      - .address_space:  global
        .offset:         56
        .size:           8
        .value_kind:     global_buffer
      - .offset:         64
        .size:           4
        .value_kind:     by_value
      - .offset:         68
        .size:           4
        .value_kind:     by_value
      - .offset:         72
        .size:           4
        .value_kind:     by_value
      - .offset:         76
        .size:           4
        .value_kind:     by_value
      - .offset:         80
        .size:           4
        .value_kind:     by_value
      - .offset:         84
        .size:           4
        .value_kind:     by_value
      - .offset:         88
        .size:           4
        .value_kind:     by_value
      - .offset:         92
        .size:           12
        .value_kind:     by_value
      - .offset:         104
        .size:           4
        .value_kind:     by_value
      - .offset:         108
        .size:           4
        .value_kind:     by_value
      - .offset:         112
        .size:           4
        .value_kind:     by_value
      - .offset:         116
        .size:           4
        .value_kind:     by_value
      - .offset:         120
        .size:           4
        .value_kind:     by_value
      - .offset:         124
        .size:           4
        .value_kind:     by_value
      - .offset:         128
        .size:           4
        .value_kind:     by_value
      - .offset:         132
        .size:           4
        .value_kind:     by_value
      - .offset:         136
        .size:           4
        .value_kind:     by_value
      - .offset:         140
        .size:           4
        .value_kind:     by_value
      - .offset:         144
        .size:           4
        .value_kind:     by_value
      - .offset:         152
        .size:           8
        .value_kind:     by_value
      - .offset:         160
        .size:           4
        .value_kind:     by_value
      - .offset:         164
        .size:           4
        .value_kind:     by_value
      - .offset:         168
        .size:           8
        .value_kind:     by_value
      - .offset:         176
        .size:           4
        .value_kind:     by_value
      - .offset:         180
        .size:           4
        .value_kind:     by_value
      - .offset:         184
        .size:           4
        .value_kind:     by_value
      - .offset:         188
        .size:           4
        .value_kind:     by_value
      - .offset:         192
        .size:           4
        .value_kind:     by_value
      - .offset:         200
        .size:           8
        .value_kind:     by_value
      - .offset:         208
        .size:           4
        .value_kind:     hidden_block_count_x
      - .offset:         212
        .size:           4
        .value_kind:     hidden_block_count_y
      - .offset:         216
        .size:           4
        .value_kind:     hidden_block_count_z
      - .offset:         220
        .size:           2
        .value_kind:     hidden_group_size_x
      - .offset:         222
        .size:           2
        .value_kind:     hidden_group_size_y
      - .offset:         224
        .size:           2
        .value_kind:     hidden_group_size_z
      - .offset:         226
        .size:           2
        .value_kind:     hidden_remainder_x
      - .offset:         228
        .size:           2
        .value_kind:     hidden_remainder_y
      - .offset:         230
        .size:           2
        .value_kind:     hidden_remainder_z
      - .offset:         248
        .size:           8
        .value_kind:     hidden_global_offset_x
      - .offset:         256
        .size:           8
        .value_kind:     hidden_global_offset_y
      - .offset:         264
        .size:           8
        .value_kind:     hidden_global_offset_z
      - .offset:         272
        .size:           2
        .value_kind:     hidden_grid_dims
    .group_segment_fixed_size: 21504
    .kernarg_segment_align: 8
    .kernarg_segment_size: 464
    .language:       OpenCL C
    .language_version:
      - 2
      - 0
    .max_flat_workgroup_size: 128
    .name:           _ZL15flash_attn_tileILi64ELi64ELi8ELi1ELb0EEvPKcS1_S1_S1_S1_PKiPfP15HIP_vector_typeIfLj2EEffffjfiS5_IjLj3EEiiiiiiiiiiiliiliiiiil
    .private_segment_fixed_size: 32
    .sgpr_count:     49
    .sgpr_spill_count: 0
    .symbol:         _ZL15flash_attn_tileILi64ELi64ELi8ELi1ELb0EEvPKcS1_S1_S1_S1_PKiPfP15HIP_vector_typeIfLj2EEffffjfiS5_IjLj3EEiiiiiiiiiiiliiliiiiil.kd
    .uniform_work_group_size: 1
    .uses_dynamic_stack: false
    .vgpr_count:     180
    .vgpr_spill_count: 0
    .wavefront_size: 32
  - .args:
      - .address_space:  global
        .offset:         0
        .size:           8
        .value_kind:     global_buffer
      - .address_space:  global
        .offset:         8
        .size:           8
        .value_kind:     global_buffer
      - .offset:         16
        .size:           4
        .value_kind:     by_value
      - .offset:         20
        .size:           4
        .value_kind:     by_value
      - .offset:         24
        .size:           4
        .value_kind:     by_value
      - .offset:         28
        .size:           4
        .value_kind:     by_value
      - .offset:         32
        .size:           4
        .value_kind:     by_value
      - .offset:         36
        .size:           4
        .value_kind:     by_value
      - .offset:         40
        .size:           12
        .value_kind:     by_value
      - .offset:         52
        .size:           12
        .value_kind:     by_value
      - .offset:         64
        .size:           12
        .value_kind:     by_value
    .group_segment_fixed_size: 0
    .kernarg_segment_align: 8
    .kernarg_segment_size: 76
    .language:       OpenCL C
    .language_version:
      - 2
      - 0
    .max_flat_workgroup_size: 64
    .name:           _ZL33flash_attn_stream_k_fixup_uniformILi64ELi8ELi1EEvPfPK15HIP_vector_typeIfLj2EEiiiiiiS1_IjLj3EES5_S5_
    .private_segment_fixed_size: 0
    .sgpr_count:     23
    .sgpr_spill_count: 0
    .symbol:         _ZL33flash_attn_stream_k_fixup_uniformILi64ELi8ELi1EEvPfPK15HIP_vector_typeIfLj2EEiiiiiiS1_IjLj3EES5_S5_.kd
    .uniform_work_group_size: 1
    .uses_dynamic_stack: false
    .vgpr_count:     12
    .vgpr_spill_count: 0
    .wavefront_size: 32
  - .args:
      - .address_space:  global
        .offset:         0
        .size:           8
        .value_kind:     global_buffer
      - .address_space:  global
        .offset:         8
        .size:           8
        .value_kind:     global_buffer
      - .offset:         16
        .size:           4
        .value_kind:     by_value
      - .offset:         20
        .size:           4
        .value_kind:     by_value
      - .offset:         24
        .size:           4
        .value_kind:     by_value
      - .offset:         28
        .size:           4
        .value_kind:     by_value
      - .offset:         32
        .size:           12
        .value_kind:     by_value
      - .offset:         44
        .size:           12
        .value_kind:     by_value
      - .offset:         56
        .size:           12
        .value_kind:     by_value
      - .offset:         68
        .size:           12
        .value_kind:     by_value
      - .offset:         80
        .size:           4
        .value_kind:     hidden_block_count_x
      - .offset:         84
        .size:           4
        .value_kind:     hidden_block_count_y
      - .offset:         88
        .size:           4
        .value_kind:     hidden_block_count_z
      - .offset:         92
        .size:           2
        .value_kind:     hidden_group_size_x
      - .offset:         94
        .size:           2
        .value_kind:     hidden_group_size_y
      - .offset:         96
        .size:           2
        .value_kind:     hidden_group_size_z
      - .offset:         98
        .size:           2
        .value_kind:     hidden_remainder_x
      - .offset:         100
        .size:           2
        .value_kind:     hidden_remainder_y
      - .offset:         102
        .size:           2
        .value_kind:     hidden_remainder_z
      - .offset:         120
        .size:           8
        .value_kind:     hidden_global_offset_x
      - .offset:         128
        .size:           8
        .value_kind:     hidden_global_offset_y
      - .offset:         136
        .size:           8
        .value_kind:     hidden_global_offset_z
      - .offset:         144
        .size:           2
        .value_kind:     hidden_grid_dims
    .group_segment_fixed_size: 0
    .kernarg_segment_align: 8
    .kernarg_segment_size: 336
    .language:       OpenCL C
    .language_version:
      - 2
      - 0
    .max_flat_workgroup_size: 64
    .name:           _ZL33flash_attn_stream_k_fixup_generalILi64ELi8ELi1EEvPfPK15HIP_vector_typeIfLj2EEiiiiS1_IjLj3EES5_S5_S5_
    .private_segment_fixed_size: 0
    .sgpr_count:     48
    .sgpr_spill_count: 0
    .symbol:         _ZL33flash_attn_stream_k_fixup_generalILi64ELi8ELi1EEvPfPK15HIP_vector_typeIfLj2EEiiiiS1_IjLj3EES5_S5_S5_.kd
    .uniform_work_group_size: 1
    .uses_dynamic_stack: false
    .vgpr_count:     12
    .vgpr_spill_count: 0
    .wavefront_size: 32
  - .args:
      - .address_space:  global
        .offset:         0
        .size:           8
        .value_kind:     global_buffer
      - .address_space:  global
        .offset:         8
        .size:           8
        .value_kind:     global_buffer
      - .address_space:  global
        .offset:         16
        .size:           8
        .value_kind:     global_buffer
      - .address_space:  global
        .offset:         24
        .size:           8
        .value_kind:     global_buffer
      - .address_space:  global
        .offset:         32
        .size:           8
        .value_kind:     global_buffer
      - .address_space:  global
        .offset:         40
        .size:           8
        .value_kind:     global_buffer
      - .address_space:  global
        .offset:         48
        .size:           8
        .value_kind:     global_buffer
      - .address_space:  global
        .offset:         56
        .size:           8
        .value_kind:     global_buffer
      - .offset:         64
        .size:           4
        .value_kind:     by_value
      - .offset:         68
        .size:           4
        .value_kind:     by_value
      - .offset:         72
        .size:           4
        .value_kind:     by_value
      - .offset:         76
        .size:           4
        .value_kind:     by_value
      - .offset:         80
        .size:           4
        .value_kind:     by_value
      - .offset:         84
        .size:           4
        .value_kind:     by_value
      - .offset:         88
        .size:           4
        .value_kind:     by_value
      - .offset:         92
        .size:           12
        .value_kind:     by_value
      - .offset:         104
        .size:           4
        .value_kind:     by_value
      - .offset:         108
        .size:           4
        .value_kind:     by_value
      - .offset:         112
        .size:           4
        .value_kind:     by_value
      - .offset:         116
        .size:           4
        .value_kind:     by_value
      - .offset:         120
        .size:           4
        .value_kind:     by_value
      - .offset:         124
        .size:           4
        .value_kind:     by_value
      - .offset:         128
        .size:           4
        .value_kind:     by_value
      - .offset:         132
        .size:           4
        .value_kind:     by_value
      - .offset:         136
        .size:           4
        .value_kind:     by_value
      - .offset:         140
        .size:           4
        .value_kind:     by_value
      - .offset:         144
        .size:           4
        .value_kind:     by_value
      - .offset:         152
        .size:           8
        .value_kind:     by_value
      - .offset:         160
        .size:           4
        .value_kind:     by_value
      - .offset:         164
        .size:           4
        .value_kind:     by_value
      - .offset:         168
        .size:           8
        .value_kind:     by_value
      - .offset:         176
        .size:           4
        .value_kind:     by_value
      - .offset:         180
        .size:           4
        .value_kind:     by_value
      - .offset:         184
        .size:           4
        .value_kind:     by_value
      - .offset:         188
        .size:           4
        .value_kind:     by_value
      - .offset:         192
        .size:           4
        .value_kind:     by_value
      - .offset:         200
        .size:           8
        .value_kind:     by_value
      - .offset:         208
        .size:           4
        .value_kind:     hidden_block_count_x
      - .offset:         212
        .size:           4
        .value_kind:     hidden_block_count_y
      - .offset:         216
        .size:           4
        .value_kind:     hidden_block_count_z
      - .offset:         220
        .size:           2
        .value_kind:     hidden_group_size_x
      - .offset:         222
        .size:           2
        .value_kind:     hidden_group_size_y
      - .offset:         224
        .size:           2
        .value_kind:     hidden_group_size_z
      - .offset:         226
        .size:           2
        .value_kind:     hidden_remainder_x
      - .offset:         228
        .size:           2
        .value_kind:     hidden_remainder_y
      - .offset:         230
        .size:           2
        .value_kind:     hidden_remainder_z
      - .offset:         248
        .size:           8
        .value_kind:     hidden_global_offset_x
      - .offset:         256
        .size:           8
        .value_kind:     hidden_global_offset_y
      - .offset:         264
        .size:           8
        .value_kind:     hidden_global_offset_z
      - .offset:         272
        .size:           2
        .value_kind:     hidden_grid_dims
    .group_segment_fixed_size: 5376
    .kernarg_segment_align: 8
    .kernarg_segment_size: 464
    .language:       OpenCL C
    .language_version:
      - 2
      - 0
    .max_flat_workgroup_size: 64
    .name:           _ZL15flash_attn_tileILi64ELi64ELi4ELi1ELb0EEvPKcS1_S1_S1_S1_PKiPfP15HIP_vector_typeIfLj2EEffffjfiS5_IjLj3EEiiiiiiiiiiiliiliiiiil
    .private_segment_fixed_size: 32
    .sgpr_count:     50
    .sgpr_spill_count: 0
    .symbol:         _ZL15flash_attn_tileILi64ELi64ELi4ELi1ELb0EEvPKcS1_S1_S1_S1_PKiPfP15HIP_vector_typeIfLj2EEffffjfiS5_IjLj3EEiiiiiiiiiiiliiliiiiil.kd
    .uniform_work_group_size: 1
    .uses_dynamic_stack: false
    .vgpr_count:     116
    .vgpr_spill_count: 0
    .wavefront_size: 32
  - .args:
      - .address_space:  global
        .offset:         0
        .size:           8
        .value_kind:     global_buffer
      - .address_space:  global
        .offset:         8
        .size:           8
        .value_kind:     global_buffer
      - .offset:         16
        .size:           4
        .value_kind:     by_value
      - .offset:         20
        .size:           4
        .value_kind:     by_value
      - .offset:         24
        .size:           4
        .value_kind:     by_value
      - .offset:         28
        .size:           4
        .value_kind:     by_value
      - .offset:         32
        .size:           4
        .value_kind:     by_value
      - .offset:         36
        .size:           4
        .value_kind:     by_value
      - .offset:         40
        .size:           12
        .value_kind:     by_value
      - .offset:         52
        .size:           12
        .value_kind:     by_value
      - .offset:         64
        .size:           12
        .value_kind:     by_value
    .group_segment_fixed_size: 0
    .kernarg_segment_align: 8
    .kernarg_segment_size: 76
    .language:       OpenCL C
    .language_version:
      - 2
      - 0
    .max_flat_workgroup_size: 64
    .name:           _ZL33flash_attn_stream_k_fixup_uniformILi64ELi4ELi1EEvPfPK15HIP_vector_typeIfLj2EEiiiiiiS1_IjLj3EES5_S5_
    .private_segment_fixed_size: 0
    .sgpr_count:     23
    .sgpr_spill_count: 0
    .symbol:         _ZL33flash_attn_stream_k_fixup_uniformILi64ELi4ELi1EEvPfPK15HIP_vector_typeIfLj2EEiiiiiiS1_IjLj3EES5_S5_.kd
    .uniform_work_group_size: 1
    .uses_dynamic_stack: false
    .vgpr_count:     12
    .vgpr_spill_count: 0
    .wavefront_size: 32
  - .args:
      - .address_space:  global
        .offset:         0
        .size:           8
        .value_kind:     global_buffer
      - .address_space:  global
        .offset:         8
        .size:           8
        .value_kind:     global_buffer
      - .offset:         16
        .size:           4
        .value_kind:     by_value
      - .offset:         20
        .size:           4
        .value_kind:     by_value
      - .offset:         24
        .size:           4
        .value_kind:     by_value
      - .offset:         28
        .size:           4
        .value_kind:     by_value
      - .offset:         32
        .size:           12
        .value_kind:     by_value
      - .offset:         44
        .size:           12
        .value_kind:     by_value
      - .offset:         56
        .size:           12
        .value_kind:     by_value
      - .offset:         68
        .size:           12
        .value_kind:     by_value
      - .offset:         80
        .size:           4
        .value_kind:     hidden_block_count_x
      - .offset:         84
        .size:           4
        .value_kind:     hidden_block_count_y
      - .offset:         88
        .size:           4
        .value_kind:     hidden_block_count_z
      - .offset:         92
        .size:           2
        .value_kind:     hidden_group_size_x
      - .offset:         94
        .size:           2
        .value_kind:     hidden_group_size_y
      - .offset:         96
        .size:           2
        .value_kind:     hidden_group_size_z
      - .offset:         98
        .size:           2
        .value_kind:     hidden_remainder_x
      - .offset:         100
        .size:           2
        .value_kind:     hidden_remainder_y
      - .offset:         102
        .size:           2
        .value_kind:     hidden_remainder_z
      - .offset:         120
        .size:           8
        .value_kind:     hidden_global_offset_x
      - .offset:         128
        .size:           8
        .value_kind:     hidden_global_offset_y
      - .offset:         136
        .size:           8
        .value_kind:     hidden_global_offset_z
      - .offset:         144
        .size:           2
        .value_kind:     hidden_grid_dims
    .group_segment_fixed_size: 0
    .kernarg_segment_align: 8
    .kernarg_segment_size: 336
    .language:       OpenCL C
    .language_version:
      - 2
      - 0
    .max_flat_workgroup_size: 64
    .name:           _ZL33flash_attn_stream_k_fixup_generalILi64ELi4ELi1EEvPfPK15HIP_vector_typeIfLj2EEiiiiS1_IjLj3EES5_S5_S5_
    .private_segment_fixed_size: 0
    .sgpr_count:     48
    .sgpr_spill_count: 0
    .symbol:         _ZL33flash_attn_stream_k_fixup_generalILi64ELi4ELi1EEvPfPK15HIP_vector_typeIfLj2EEiiiiS1_IjLj3EES5_S5_S5_.kd
    .uniform_work_group_size: 1
    .uses_dynamic_stack: false
    .vgpr_count:     12
    .vgpr_spill_count: 0
    .wavefront_size: 32
  - .args:
      - .address_space:  global
        .offset:         0
        .size:           8
        .value_kind:     global_buffer
      - .address_space:  global
        .offset:         8
        .size:           8
        .value_kind:     global_buffer
      - .address_space:  global
        .offset:         16
        .size:           8
        .value_kind:     global_buffer
      - .address_space:  global
        .offset:         24
        .size:           8
        .value_kind:     global_buffer
      - .address_space:  global
        .offset:         32
        .size:           8
        .value_kind:     global_buffer
      - .address_space:  global
        .offset:         40
        .size:           8
        .value_kind:     global_buffer
      - .address_space:  global
        .offset:         48
        .size:           8
        .value_kind:     global_buffer
      - .address_space:  global
        .offset:         56
        .size:           8
        .value_kind:     global_buffer
      - .offset:         64
        .size:           4
        .value_kind:     by_value
      - .offset:         68
        .size:           4
        .value_kind:     by_value
      - .offset:         72
        .size:           4
        .value_kind:     by_value
      - .offset:         76
        .size:           4
        .value_kind:     by_value
      - .offset:         80
        .size:           4
        .value_kind:     by_value
      - .offset:         84
        .size:           4
        .value_kind:     by_value
      - .offset:         88
        .size:           4
        .value_kind:     by_value
      - .offset:         92
        .size:           12
        .value_kind:     by_value
      - .offset:         104
        .size:           4
        .value_kind:     by_value
      - .offset:         108
        .size:           4
        .value_kind:     by_value
      - .offset:         112
        .size:           4
        .value_kind:     by_value
      - .offset:         116
        .size:           4
        .value_kind:     by_value
      - .offset:         120
        .size:           4
        .value_kind:     by_value
      - .offset:         124
        .size:           4
        .value_kind:     by_value
      - .offset:         128
        .size:           4
        .value_kind:     by_value
      - .offset:         132
        .size:           4
        .value_kind:     by_value
      - .offset:         136
        .size:           4
        .value_kind:     by_value
      - .offset:         140
        .size:           4
        .value_kind:     by_value
      - .offset:         144
        .size:           4
        .value_kind:     by_value
      - .offset:         152
        .size:           8
        .value_kind:     by_value
      - .offset:         160
        .size:           4
        .value_kind:     by_value
      - .offset:         164
        .size:           4
        .value_kind:     by_value
      - .offset:         168
        .size:           8
        .value_kind:     by_value
      - .offset:         176
        .size:           4
        .value_kind:     by_value
      - .offset:         180
        .size:           4
        .value_kind:     by_value
      - .offset:         184
        .size:           4
        .value_kind:     by_value
      - .offset:         188
        .size:           4
        .value_kind:     by_value
      - .offset:         192
        .size:           4
        .value_kind:     by_value
      - .offset:         200
        .size:           8
        .value_kind:     by_value
      - .offset:         208
        .size:           4
        .value_kind:     hidden_block_count_x
      - .offset:         212
        .size:           4
        .value_kind:     hidden_block_count_y
      - .offset:         216
        .size:           4
        .value_kind:     hidden_block_count_z
      - .offset:         220
        .size:           2
        .value_kind:     hidden_group_size_x
      - .offset:         222
        .size:           2
        .value_kind:     hidden_group_size_y
      - .offset:         224
        .size:           2
        .value_kind:     hidden_group_size_z
      - .offset:         226
        .size:           2
        .value_kind:     hidden_remainder_x
      - .offset:         228
        .size:           2
        .value_kind:     hidden_remainder_y
      - .offset:         230
        .size:           2
        .value_kind:     hidden_remainder_z
      - .offset:         248
        .size:           8
        .value_kind:     hidden_global_offset_x
      - .offset:         256
        .size:           8
        .value_kind:     hidden_global_offset_y
      - .offset:         264
        .size:           8
        .value_kind:     hidden_global_offset_z
      - .offset:         272
        .size:           2
        .value_kind:     hidden_grid_dims
    .group_segment_fixed_size: 4992
    .kernarg_segment_align: 8
    .kernarg_segment_size: 464
    .language:       OpenCL C
    .language_version:
      - 2
      - 0
    .max_flat_workgroup_size: 64
    .name:           _ZL15flash_attn_tileILi64ELi64ELi2ELi1ELb0EEvPKcS1_S1_S1_S1_PKiPfP15HIP_vector_typeIfLj2EEffffjfiS5_IjLj3EEiiiiiiiiiiiliiliiiiil
    .private_segment_fixed_size: 32
    .sgpr_count:     49
    .sgpr_spill_count: 0
    .symbol:         _ZL15flash_attn_tileILi64ELi64ELi2ELi1ELb0EEvPKcS1_S1_S1_S1_PKiPfP15HIP_vector_typeIfLj2EEffffjfiS5_IjLj3EEiiiiiiiiiiiliiliiiiil.kd
    .uniform_work_group_size: 1
    .uses_dynamic_stack: false
    .vgpr_count:     66
    .vgpr_spill_count: 0
    .wavefront_size: 32
  - .args:
      - .address_space:  global
        .offset:         0
        .size:           8
        .value_kind:     global_buffer
      - .address_space:  global
        .offset:         8
        .size:           8
        .value_kind:     global_buffer
      - .offset:         16
        .size:           4
        .value_kind:     by_value
      - .offset:         20
        .size:           4
        .value_kind:     by_value
      - .offset:         24
        .size:           4
        .value_kind:     by_value
      - .offset:         28
        .size:           4
        .value_kind:     by_value
      - .offset:         32
        .size:           4
        .value_kind:     by_value
      - .offset:         36
        .size:           4
        .value_kind:     by_value
      - .offset:         40
        .size:           12
        .value_kind:     by_value
      - .offset:         52
        .size:           12
        .value_kind:     by_value
      - .offset:         64
        .size:           12
        .value_kind:     by_value
    .group_segment_fixed_size: 0
    .kernarg_segment_align: 8
    .kernarg_segment_size: 76
    .language:       OpenCL C
    .language_version:
      - 2
      - 0
    .max_flat_workgroup_size: 64
    .name:           _ZL33flash_attn_stream_k_fixup_uniformILi64ELi2ELi1EEvPfPK15HIP_vector_typeIfLj2EEiiiiiiS1_IjLj3EES5_S5_
    .private_segment_fixed_size: 0
    .sgpr_count:     23
    .sgpr_spill_count: 0
    .symbol:         _ZL33flash_attn_stream_k_fixup_uniformILi64ELi2ELi1EEvPfPK15HIP_vector_typeIfLj2EEiiiiiiS1_IjLj3EES5_S5_.kd
    .uniform_work_group_size: 1
    .uses_dynamic_stack: false
    .vgpr_count:     12
    .vgpr_spill_count: 0
    .wavefront_size: 32
  - .args:
      - .address_space:  global
        .offset:         0
        .size:           8
        .value_kind:     global_buffer
      - .address_space:  global
        .offset:         8
        .size:           8
        .value_kind:     global_buffer
      - .offset:         16
        .size:           4
        .value_kind:     by_value
      - .offset:         20
        .size:           4
        .value_kind:     by_value
      - .offset:         24
        .size:           4
        .value_kind:     by_value
      - .offset:         28
        .size:           4
        .value_kind:     by_value
      - .offset:         32
        .size:           12
        .value_kind:     by_value
      - .offset:         44
        .size:           12
        .value_kind:     by_value
      - .offset:         56
        .size:           12
        .value_kind:     by_value
      - .offset:         68
        .size:           12
        .value_kind:     by_value
      - .offset:         80
        .size:           4
        .value_kind:     hidden_block_count_x
      - .offset:         84
        .size:           4
        .value_kind:     hidden_block_count_y
      - .offset:         88
        .size:           4
        .value_kind:     hidden_block_count_z
      - .offset:         92
        .size:           2
        .value_kind:     hidden_group_size_x
      - .offset:         94
        .size:           2
        .value_kind:     hidden_group_size_y
      - .offset:         96
        .size:           2
        .value_kind:     hidden_group_size_z
      - .offset:         98
        .size:           2
        .value_kind:     hidden_remainder_x
      - .offset:         100
        .size:           2
        .value_kind:     hidden_remainder_y
      - .offset:         102
        .size:           2
        .value_kind:     hidden_remainder_z
      - .offset:         120
        .size:           8
        .value_kind:     hidden_global_offset_x
      - .offset:         128
        .size:           8
        .value_kind:     hidden_global_offset_y
      - .offset:         136
        .size:           8
        .value_kind:     hidden_global_offset_z
      - .offset:         144
        .size:           2
        .value_kind:     hidden_grid_dims
    .group_segment_fixed_size: 0
    .kernarg_segment_align: 8
    .kernarg_segment_size: 336
    .language:       OpenCL C
    .language_version:
      - 2
      - 0
    .max_flat_workgroup_size: 64
    .name:           _ZL33flash_attn_stream_k_fixup_generalILi64ELi2ELi1EEvPfPK15HIP_vector_typeIfLj2EEiiiiS1_IjLj3EES5_S5_S5_
    .private_segment_fixed_size: 0
    .sgpr_count:     48
    .sgpr_spill_count: 0
    .symbol:         _ZL33flash_attn_stream_k_fixup_generalILi64ELi2ELi1EEvPfPK15HIP_vector_typeIfLj2EEiiiiS1_IjLj3EES5_S5_S5_.kd
    .uniform_work_group_size: 1
    .uses_dynamic_stack: false
    .vgpr_count:     12
    .vgpr_spill_count: 0
    .wavefront_size: 32
  - .args:
      - .address_space:  global
        .offset:         0
        .size:           8
        .value_kind:     global_buffer
      - .address_space:  global
        .offset:         8
        .size:           8
        .value_kind:     global_buffer
      - .address_space:  global
        .offset:         16
        .size:           8
        .value_kind:     global_buffer
      - .address_space:  global
        .offset:         24
        .size:           8
        .value_kind:     global_buffer
      - .address_space:  global
        .offset:         32
        .size:           8
        .value_kind:     global_buffer
      - .address_space:  global
        .offset:         40
        .size:           8
        .value_kind:     global_buffer
      - .address_space:  global
        .offset:         48
        .size:           8
        .value_kind:     global_buffer
      - .address_space:  global
        .offset:         56
        .size:           8
        .value_kind:     global_buffer
      - .offset:         64
        .size:           4
        .value_kind:     by_value
      - .offset:         68
        .size:           4
        .value_kind:     by_value
      - .offset:         72
        .size:           4
        .value_kind:     by_value
      - .offset:         76
        .size:           4
        .value_kind:     by_value
      - .offset:         80
        .size:           4
        .value_kind:     by_value
      - .offset:         84
        .size:           4
        .value_kind:     by_value
      - .offset:         88
        .size:           4
        .value_kind:     by_value
      - .offset:         92
        .size:           12
        .value_kind:     by_value
      - .offset:         104
        .size:           4
        .value_kind:     by_value
      - .offset:         108
        .size:           4
        .value_kind:     by_value
      - .offset:         112
        .size:           4
        .value_kind:     by_value
      - .offset:         116
        .size:           4
        .value_kind:     by_value
      - .offset:         120
        .size:           4
        .value_kind:     by_value
      - .offset:         124
        .size:           4
        .value_kind:     by_value
      - .offset:         128
        .size:           4
        .value_kind:     by_value
      - .offset:         132
        .size:           4
        .value_kind:     by_value
      - .offset:         136
        .size:           4
        .value_kind:     by_value
      - .offset:         140
        .size:           4
        .value_kind:     by_value
      - .offset:         144
        .size:           4
        .value_kind:     by_value
      - .offset:         152
        .size:           8
        .value_kind:     by_value
      - .offset:         160
        .size:           4
        .value_kind:     by_value
      - .offset:         164
        .size:           4
        .value_kind:     by_value
      - .offset:         168
        .size:           8
        .value_kind:     by_value
      - .offset:         176
        .size:           4
        .value_kind:     by_value
      - .offset:         180
        .size:           4
        .value_kind:     by_value
      - .offset:         184
        .size:           4
        .value_kind:     by_value
      - .offset:         188
        .size:           4
        .value_kind:     by_value
      - .offset:         192
        .size:           4
        .value_kind:     by_value
      - .offset:         200
        .size:           8
        .value_kind:     by_value
      - .offset:         208
        .size:           4
        .value_kind:     hidden_block_count_x
      - .offset:         212
        .size:           4
        .value_kind:     hidden_block_count_y
      - .offset:         216
        .size:           4
        .value_kind:     hidden_block_count_z
      - .offset:         220
        .size:           2
        .value_kind:     hidden_group_size_x
      - .offset:         222
        .size:           2
        .value_kind:     hidden_group_size_y
      - .offset:         224
        .size:           2
        .value_kind:     hidden_group_size_z
      - .offset:         226
        .size:           2
        .value_kind:     hidden_remainder_x
      - .offset:         228
        .size:           2
        .value_kind:     hidden_remainder_y
      - .offset:         230
        .size:           2
        .value_kind:     hidden_remainder_z
      - .offset:         248
        .size:           8
        .value_kind:     hidden_global_offset_x
      - .offset:         256
        .size:           8
        .value_kind:     hidden_global_offset_y
      - .offset:         264
        .size:           8
        .value_kind:     hidden_global_offset_z
      - .offset:         272
        .size:           2
        .value_kind:     hidden_grid_dims
      - .offset:         288
        .size:           8
        .value_kind:     hidden_hostcall_buffer
    .group_segment_fixed_size: 0
    .kernarg_segment_align: 8
    .kernarg_segment_size: 464
    .language:       OpenCL C
    .language_version:
      - 2
      - 0
    .max_flat_workgroup_size: 128
    .name:           _ZL15flash_attn_tileILi64ELi64ELi8ELi8ELb1EEvPKcS1_S1_S1_S1_PKiPfP15HIP_vector_typeIfLj2EEffffjfiS5_IjLj3EEiiiiiiiiiiiliiliiiiil
    .private_segment_fixed_size: 16
    .sgpr_count:     36
    .sgpr_spill_count: 0
    .symbol:         _ZL15flash_attn_tileILi64ELi64ELi8ELi8ELb1EEvPKcS1_S1_S1_S1_PKiPfP15HIP_vector_typeIfLj2EEffffjfiS5_IjLj3EEiiiiiiiiiiiliiliiiiil.kd
    .uniform_work_group_size: 1
    .uses_dynamic_stack: false
    .vgpr_count:     50
    .vgpr_spill_count: 0
    .wavefront_size: 32
  - .args:
      - .address_space:  global
        .offset:         0
        .size:           8
        .value_kind:     global_buffer
      - .address_space:  global
        .offset:         8
        .size:           8
        .value_kind:     global_buffer
      - .address_space:  global
        .offset:         16
        .size:           8
        .value_kind:     global_buffer
      - .address_space:  global
        .offset:         24
        .size:           8
        .value_kind:     global_buffer
      - .address_space:  global
        .offset:         32
        .size:           8
        .value_kind:     global_buffer
      - .address_space:  global
        .offset:         40
        .size:           8
        .value_kind:     global_buffer
      - .address_space:  global
        .offset:         48
        .size:           8
        .value_kind:     global_buffer
      - .address_space:  global
        .offset:         56
        .size:           8
        .value_kind:     global_buffer
      - .offset:         64
        .size:           4
        .value_kind:     by_value
      - .offset:         68
        .size:           4
        .value_kind:     by_value
      - .offset:         72
        .size:           4
        .value_kind:     by_value
      - .offset:         76
        .size:           4
        .value_kind:     by_value
      - .offset:         80
        .size:           4
        .value_kind:     by_value
      - .offset:         84
        .size:           4
        .value_kind:     by_value
      - .offset:         88
        .size:           4
        .value_kind:     by_value
      - .offset:         92
        .size:           12
        .value_kind:     by_value
      - .offset:         104
        .size:           4
        .value_kind:     by_value
      - .offset:         108
        .size:           4
        .value_kind:     by_value
      - .offset:         112
        .size:           4
        .value_kind:     by_value
      - .offset:         116
        .size:           4
        .value_kind:     by_value
      - .offset:         120
        .size:           4
        .value_kind:     by_value
      - .offset:         124
        .size:           4
        .value_kind:     by_value
      - .offset:         128
        .size:           4
        .value_kind:     by_value
      - .offset:         132
        .size:           4
        .value_kind:     by_value
      - .offset:         136
        .size:           4
        .value_kind:     by_value
      - .offset:         140
        .size:           4
        .value_kind:     by_value
      - .offset:         144
        .size:           4
        .value_kind:     by_value
      - .offset:         152
        .size:           8
        .value_kind:     by_value
      - .offset:         160
        .size:           4
        .value_kind:     by_value
      - .offset:         164
        .size:           4
        .value_kind:     by_value
      - .offset:         168
        .size:           8
        .value_kind:     by_value
      - .offset:         176
        .size:           4
        .value_kind:     by_value
      - .offset:         180
        .size:           4
        .value_kind:     by_value
      - .offset:         184
        .size:           4
        .value_kind:     by_value
      - .offset:         188
        .size:           4
        .value_kind:     by_value
      - .offset:         192
        .size:           4
        .value_kind:     by_value
      - .offset:         200
        .size:           8
        .value_kind:     by_value
      - .offset:         208
        .size:           4
        .value_kind:     hidden_block_count_x
      - .offset:         212
        .size:           4
        .value_kind:     hidden_block_count_y
      - .offset:         216
        .size:           4
        .value_kind:     hidden_block_count_z
      - .offset:         220
        .size:           2
        .value_kind:     hidden_group_size_x
      - .offset:         222
        .size:           2
        .value_kind:     hidden_group_size_y
      - .offset:         224
        .size:           2
        .value_kind:     hidden_group_size_z
      - .offset:         226
        .size:           2
        .value_kind:     hidden_remainder_x
      - .offset:         228
        .size:           2
        .value_kind:     hidden_remainder_y
      - .offset:         230
        .size:           2
        .value_kind:     hidden_remainder_z
      - .offset:         248
        .size:           8
        .value_kind:     hidden_global_offset_x
      - .offset:         256
        .size:           8
        .value_kind:     hidden_global_offset_y
      - .offset:         264
        .size:           8
        .value_kind:     hidden_global_offset_z
      - .offset:         272
        .size:           2
        .value_kind:     hidden_grid_dims
      - .offset:         288
        .size:           8
        .value_kind:     hidden_hostcall_buffer
    .group_segment_fixed_size: 0
    .kernarg_segment_align: 8
    .kernarg_segment_size: 464
    .language:       OpenCL C
    .language_version:
      - 2
      - 0
    .max_flat_workgroup_size: 128
    .name:           _ZL15flash_attn_tileILi64ELi64ELi4ELi8ELb1EEvPKcS1_S1_S1_S1_PKiPfP15HIP_vector_typeIfLj2EEffffjfiS5_IjLj3EEiiiiiiiiiiiliiliiiiil
    .private_segment_fixed_size: 16
    .sgpr_count:     36
    .sgpr_spill_count: 0
    .symbol:         _ZL15flash_attn_tileILi64ELi64ELi4ELi8ELb1EEvPKcS1_S1_S1_S1_PKiPfP15HIP_vector_typeIfLj2EEffffjfiS5_IjLj3EEiiiiiiiiiiiliiliiiiil.kd
    .uniform_work_group_size: 1
    .uses_dynamic_stack: false
    .vgpr_count:     50
    .vgpr_spill_count: 0
    .wavefront_size: 32
  - .args:
      - .address_space:  global
        .offset:         0
        .size:           8
        .value_kind:     global_buffer
      - .address_space:  global
        .offset:         8
        .size:           8
        .value_kind:     global_buffer
      - .address_space:  global
        .offset:         16
        .size:           8
        .value_kind:     global_buffer
      - .address_space:  global
        .offset:         24
        .size:           8
        .value_kind:     global_buffer
      - .address_space:  global
        .offset:         32
        .size:           8
        .value_kind:     global_buffer
      - .address_space:  global
        .offset:         40
        .size:           8
        .value_kind:     global_buffer
      - .address_space:  global
        .offset:         48
        .size:           8
        .value_kind:     global_buffer
      - .address_space:  global
        .offset:         56
        .size:           8
        .value_kind:     global_buffer
      - .offset:         64
        .size:           4
        .value_kind:     by_value
      - .offset:         68
        .size:           4
        .value_kind:     by_value
      - .offset:         72
        .size:           4
        .value_kind:     by_value
      - .offset:         76
        .size:           4
        .value_kind:     by_value
      - .offset:         80
        .size:           4
        .value_kind:     by_value
      - .offset:         84
        .size:           4
        .value_kind:     by_value
      - .offset:         88
        .size:           4
        .value_kind:     by_value
      - .offset:         92
        .size:           12
        .value_kind:     by_value
      - .offset:         104
        .size:           4
        .value_kind:     by_value
      - .offset:         108
        .size:           4
        .value_kind:     by_value
      - .offset:         112
        .size:           4
        .value_kind:     by_value
      - .offset:         116
        .size:           4
        .value_kind:     by_value
      - .offset:         120
        .size:           4
        .value_kind:     by_value
      - .offset:         124
        .size:           4
        .value_kind:     by_value
      - .offset:         128
        .size:           4
        .value_kind:     by_value
      - .offset:         132
        .size:           4
        .value_kind:     by_value
      - .offset:         136
        .size:           4
        .value_kind:     by_value
      - .offset:         140
        .size:           4
        .value_kind:     by_value
      - .offset:         144
        .size:           4
        .value_kind:     by_value
      - .offset:         152
        .size:           8
        .value_kind:     by_value
      - .offset:         160
        .size:           4
        .value_kind:     by_value
      - .offset:         164
        .size:           4
        .value_kind:     by_value
      - .offset:         168
        .size:           8
        .value_kind:     by_value
      - .offset:         176
        .size:           4
        .value_kind:     by_value
      - .offset:         180
        .size:           4
        .value_kind:     by_value
      - .offset:         184
        .size:           4
        .value_kind:     by_value
      - .offset:         188
        .size:           4
        .value_kind:     by_value
      - .offset:         192
        .size:           4
        .value_kind:     by_value
      - .offset:         200
        .size:           8
        .value_kind:     by_value
      - .offset:         208
        .size:           4
        .value_kind:     hidden_block_count_x
      - .offset:         212
        .size:           4
        .value_kind:     hidden_block_count_y
      - .offset:         216
        .size:           4
        .value_kind:     hidden_block_count_z
      - .offset:         220
        .size:           2
        .value_kind:     hidden_group_size_x
      - .offset:         222
        .size:           2
        .value_kind:     hidden_group_size_y
      - .offset:         224
        .size:           2
        .value_kind:     hidden_group_size_z
      - .offset:         226
        .size:           2
        .value_kind:     hidden_remainder_x
      - .offset:         228
        .size:           2
        .value_kind:     hidden_remainder_y
      - .offset:         230
        .size:           2
        .value_kind:     hidden_remainder_z
      - .offset:         248
        .size:           8
        .value_kind:     hidden_global_offset_x
      - .offset:         256
        .size:           8
        .value_kind:     hidden_global_offset_y
      - .offset:         264
        .size:           8
        .value_kind:     hidden_global_offset_z
      - .offset:         272
        .size:           2
        .value_kind:     hidden_grid_dims
      - .offset:         288
        .size:           8
        .value_kind:     hidden_hostcall_buffer
    .group_segment_fixed_size: 0
    .kernarg_segment_align: 8
    .kernarg_segment_size: 464
    .language:       OpenCL C
    .language_version:
      - 2
      - 0
    .max_flat_workgroup_size: 128
    .name:           _ZL15flash_attn_tileILi64ELi64ELi2ELi8ELb1EEvPKcS1_S1_S1_S1_PKiPfP15HIP_vector_typeIfLj2EEffffjfiS5_IjLj3EEiiiiiiiiiiiliiliiiiil
    .private_segment_fixed_size: 16
    .sgpr_count:     36
    .sgpr_spill_count: 0
    .symbol:         _ZL15flash_attn_tileILi64ELi64ELi2ELi8ELb1EEvPKcS1_S1_S1_S1_PKiPfP15HIP_vector_typeIfLj2EEffffjfiS5_IjLj3EEiiiiiiiiiiiliiliiiiil.kd
    .uniform_work_group_size: 1
    .uses_dynamic_stack: false
    .vgpr_count:     50
    .vgpr_spill_count: 0
    .wavefront_size: 32
  - .args:
      - .address_space:  global
        .offset:         0
        .size:           8
        .value_kind:     global_buffer
      - .address_space:  global
        .offset:         8
        .size:           8
        .value_kind:     global_buffer
      - .address_space:  global
        .offset:         16
        .size:           8
        .value_kind:     global_buffer
      - .address_space:  global
        .offset:         24
        .size:           8
        .value_kind:     global_buffer
      - .address_space:  global
        .offset:         32
        .size:           8
        .value_kind:     global_buffer
      - .address_space:  global
        .offset:         40
        .size:           8
        .value_kind:     global_buffer
      - .address_space:  global
        .offset:         48
        .size:           8
        .value_kind:     global_buffer
      - .address_space:  global
        .offset:         56
        .size:           8
        .value_kind:     global_buffer
      - .offset:         64
        .size:           4
        .value_kind:     by_value
      - .offset:         68
        .size:           4
        .value_kind:     by_value
      - .offset:         72
        .size:           4
        .value_kind:     by_value
      - .offset:         76
        .size:           4
        .value_kind:     by_value
      - .offset:         80
        .size:           4
        .value_kind:     by_value
      - .offset:         84
        .size:           4
        .value_kind:     by_value
      - .offset:         88
        .size:           4
        .value_kind:     by_value
      - .offset:         92
        .size:           12
        .value_kind:     by_value
      - .offset:         104
        .size:           4
        .value_kind:     by_value
      - .offset:         108
        .size:           4
        .value_kind:     by_value
      - .offset:         112
        .size:           4
        .value_kind:     by_value
      - .offset:         116
        .size:           4
        .value_kind:     by_value
      - .offset:         120
        .size:           4
        .value_kind:     by_value
      - .offset:         124
        .size:           4
        .value_kind:     by_value
      - .offset:         128
        .size:           4
        .value_kind:     by_value
      - .offset:         132
        .size:           4
        .value_kind:     by_value
      - .offset:         136
        .size:           4
        .value_kind:     by_value
      - .offset:         140
        .size:           4
        .value_kind:     by_value
      - .offset:         144
        .size:           4
        .value_kind:     by_value
      - .offset:         152
        .size:           8
        .value_kind:     by_value
      - .offset:         160
        .size:           4
        .value_kind:     by_value
      - .offset:         164
        .size:           4
        .value_kind:     by_value
      - .offset:         168
        .size:           8
        .value_kind:     by_value
      - .offset:         176
        .size:           4
        .value_kind:     by_value
      - .offset:         180
        .size:           4
        .value_kind:     by_value
      - .offset:         184
        .size:           4
        .value_kind:     by_value
      - .offset:         188
        .size:           4
        .value_kind:     by_value
      - .offset:         192
        .size:           4
        .value_kind:     by_value
      - .offset:         200
        .size:           8
        .value_kind:     by_value
      - .offset:         208
        .size:           4
        .value_kind:     hidden_block_count_x
      - .offset:         212
        .size:           4
        .value_kind:     hidden_block_count_y
      - .offset:         216
        .size:           4
        .value_kind:     hidden_block_count_z
      - .offset:         220
        .size:           2
        .value_kind:     hidden_group_size_x
      - .offset:         222
        .size:           2
        .value_kind:     hidden_group_size_y
      - .offset:         224
        .size:           2
        .value_kind:     hidden_group_size_z
      - .offset:         226
        .size:           2
        .value_kind:     hidden_remainder_x
      - .offset:         228
        .size:           2
        .value_kind:     hidden_remainder_y
      - .offset:         230
        .size:           2
        .value_kind:     hidden_remainder_z
      - .offset:         248
        .size:           8
        .value_kind:     hidden_global_offset_x
      - .offset:         256
        .size:           8
        .value_kind:     hidden_global_offset_y
      - .offset:         264
        .size:           8
        .value_kind:     hidden_global_offset_z
      - .offset:         272
        .size:           2
        .value_kind:     hidden_grid_dims
      - .offset:         288
        .size:           8
        .value_kind:     hidden_hostcall_buffer
    .group_segment_fixed_size: 0
    .kernarg_segment_align: 8
    .kernarg_segment_size: 464
    .language:       OpenCL C
    .language_version:
      - 2
      - 0
    .max_flat_workgroup_size: 128
    .name:           _ZL15flash_attn_tileILi64ELi64ELi1ELi8ELb1EEvPKcS1_S1_S1_S1_PKiPfP15HIP_vector_typeIfLj2EEffffjfiS5_IjLj3EEiiiiiiiiiiiliiliiiiil
    .private_segment_fixed_size: 16
    .sgpr_count:     36
    .sgpr_spill_count: 0
    .symbol:         _ZL15flash_attn_tileILi64ELi64ELi1ELi8ELb1EEvPKcS1_S1_S1_S1_PKiPfP15HIP_vector_typeIfLj2EEffffjfiS5_IjLj3EEiiiiiiiiiiiliiliiiiil.kd
    .uniform_work_group_size: 1
    .uses_dynamic_stack: false
    .vgpr_count:     50
    .vgpr_spill_count: 0
    .wavefront_size: 32
  - .args:
      - .address_space:  global
        .offset:         0
        .size:           8
        .value_kind:     global_buffer
      - .address_space:  global
        .offset:         8
        .size:           8
        .value_kind:     global_buffer
      - .address_space:  global
        .offset:         16
        .size:           8
        .value_kind:     global_buffer
      - .address_space:  global
        .offset:         24
        .size:           8
        .value_kind:     global_buffer
      - .address_space:  global
        .offset:         32
        .size:           8
        .value_kind:     global_buffer
      - .address_space:  global
        .offset:         40
        .size:           8
        .value_kind:     global_buffer
      - .address_space:  global
        .offset:         48
        .size:           8
        .value_kind:     global_buffer
      - .address_space:  global
        .offset:         56
        .size:           8
        .value_kind:     global_buffer
      - .offset:         64
        .size:           4
        .value_kind:     by_value
      - .offset:         68
        .size:           4
        .value_kind:     by_value
      - .offset:         72
        .size:           4
        .value_kind:     by_value
      - .offset:         76
        .size:           4
        .value_kind:     by_value
      - .offset:         80
        .size:           4
        .value_kind:     by_value
      - .offset:         84
        .size:           4
        .value_kind:     by_value
      - .offset:         88
        .size:           4
        .value_kind:     by_value
      - .offset:         92
        .size:           12
        .value_kind:     by_value
      - .offset:         104
        .size:           4
        .value_kind:     by_value
      - .offset:         108
        .size:           4
        .value_kind:     by_value
      - .offset:         112
        .size:           4
        .value_kind:     by_value
      - .offset:         116
        .size:           4
        .value_kind:     by_value
      - .offset:         120
        .size:           4
        .value_kind:     by_value
      - .offset:         124
        .size:           4
        .value_kind:     by_value
      - .offset:         128
        .size:           4
        .value_kind:     by_value
      - .offset:         132
        .size:           4
        .value_kind:     by_value
      - .offset:         136
        .size:           4
        .value_kind:     by_value
      - .offset:         140
        .size:           4
        .value_kind:     by_value
      - .offset:         144
        .size:           4
        .value_kind:     by_value
      - .offset:         152
        .size:           8
        .value_kind:     by_value
      - .offset:         160
        .size:           4
        .value_kind:     by_value
      - .offset:         164
        .size:           4
        .value_kind:     by_value
      - .offset:         168
        .size:           8
        .value_kind:     by_value
      - .offset:         176
        .size:           4
        .value_kind:     by_value
      - .offset:         180
        .size:           4
        .value_kind:     by_value
      - .offset:         184
        .size:           4
        .value_kind:     by_value
      - .offset:         188
        .size:           4
        .value_kind:     by_value
      - .offset:         192
        .size:           4
        .value_kind:     by_value
      - .offset:         200
        .size:           8
        .value_kind:     by_value
      - .offset:         208
        .size:           4
        .value_kind:     hidden_block_count_x
      - .offset:         212
        .size:           4
        .value_kind:     hidden_block_count_y
      - .offset:         216
        .size:           4
        .value_kind:     hidden_block_count_z
      - .offset:         220
        .size:           2
        .value_kind:     hidden_group_size_x
      - .offset:         222
        .size:           2
        .value_kind:     hidden_group_size_y
      - .offset:         224
        .size:           2
        .value_kind:     hidden_group_size_z
      - .offset:         226
        .size:           2
        .value_kind:     hidden_remainder_x
      - .offset:         228
        .size:           2
        .value_kind:     hidden_remainder_y
      - .offset:         230
        .size:           2
        .value_kind:     hidden_remainder_z
      - .offset:         248
        .size:           8
        .value_kind:     hidden_global_offset_x
      - .offset:         256
        .size:           8
        .value_kind:     hidden_global_offset_y
      - .offset:         264
        .size:           8
        .value_kind:     hidden_global_offset_z
      - .offset:         272
        .size:           2
        .value_kind:     hidden_grid_dims
      - .offset:         288
        .size:           8
        .value_kind:     hidden_hostcall_buffer
    .group_segment_fixed_size: 0
    .kernarg_segment_align: 8
    .kernarg_segment_size: 464
    .language:       OpenCL C
    .language_version:
      - 2
      - 0
    .max_flat_workgroup_size: 128
    .name:           _ZL15flash_attn_tileILi64ELi64ELi16ELi4ELb1EEvPKcS1_S1_S1_S1_PKiPfP15HIP_vector_typeIfLj2EEffffjfiS5_IjLj3EEiiiiiiiiiiiliiliiiiil
    .private_segment_fixed_size: 16
    .sgpr_count:     36
    .sgpr_spill_count: 0
    .symbol:         _ZL15flash_attn_tileILi64ELi64ELi16ELi4ELb1EEvPKcS1_S1_S1_S1_PKiPfP15HIP_vector_typeIfLj2EEffffjfiS5_IjLj3EEiiiiiiiiiiiliiliiiiil.kd
    .uniform_work_group_size: 1
    .uses_dynamic_stack: false
    .vgpr_count:     50
    .vgpr_spill_count: 0
    .wavefront_size: 32
  - .args:
      - .address_space:  global
        .offset:         0
        .size:           8
        .value_kind:     global_buffer
      - .address_space:  global
        .offset:         8
        .size:           8
        .value_kind:     global_buffer
      - .address_space:  global
        .offset:         16
        .size:           8
        .value_kind:     global_buffer
      - .address_space:  global
        .offset:         24
        .size:           8
        .value_kind:     global_buffer
      - .address_space:  global
        .offset:         32
        .size:           8
        .value_kind:     global_buffer
      - .address_space:  global
        .offset:         40
        .size:           8
        .value_kind:     global_buffer
      - .address_space:  global
        .offset:         48
        .size:           8
        .value_kind:     global_buffer
      - .address_space:  global
        .offset:         56
        .size:           8
        .value_kind:     global_buffer
      - .offset:         64
        .size:           4
        .value_kind:     by_value
      - .offset:         68
        .size:           4
        .value_kind:     by_value
      - .offset:         72
        .size:           4
        .value_kind:     by_value
      - .offset:         76
        .size:           4
        .value_kind:     by_value
      - .offset:         80
        .size:           4
        .value_kind:     by_value
      - .offset:         84
        .size:           4
        .value_kind:     by_value
      - .offset:         88
        .size:           4
        .value_kind:     by_value
      - .offset:         92
        .size:           12
        .value_kind:     by_value
      - .offset:         104
        .size:           4
        .value_kind:     by_value
      - .offset:         108
        .size:           4
        .value_kind:     by_value
      - .offset:         112
        .size:           4
        .value_kind:     by_value
      - .offset:         116
        .size:           4
        .value_kind:     by_value
      - .offset:         120
        .size:           4
        .value_kind:     by_value
      - .offset:         124
        .size:           4
        .value_kind:     by_value
      - .offset:         128
        .size:           4
        .value_kind:     by_value
      - .offset:         132
        .size:           4
        .value_kind:     by_value
      - .offset:         136
        .size:           4
        .value_kind:     by_value
      - .offset:         140
        .size:           4
        .value_kind:     by_value
      - .offset:         144
        .size:           4
        .value_kind:     by_value
      - .offset:         152
        .size:           8
        .value_kind:     by_value
      - .offset:         160
        .size:           4
        .value_kind:     by_value
      - .offset:         164
        .size:           4
        .value_kind:     by_value
      - .offset:         168
        .size:           8
        .value_kind:     by_value
      - .offset:         176
        .size:           4
        .value_kind:     by_value
      - .offset:         180
        .size:           4
        .value_kind:     by_value
      - .offset:         184
        .size:           4
        .value_kind:     by_value
      - .offset:         188
        .size:           4
        .value_kind:     by_value
      - .offset:         192
        .size:           4
        .value_kind:     by_value
      - .offset:         200
        .size:           8
        .value_kind:     by_value
      - .offset:         208
        .size:           4
        .value_kind:     hidden_block_count_x
      - .offset:         212
        .size:           4
        .value_kind:     hidden_block_count_y
      - .offset:         216
        .size:           4
        .value_kind:     hidden_block_count_z
      - .offset:         220
        .size:           2
        .value_kind:     hidden_group_size_x
      - .offset:         222
        .size:           2
        .value_kind:     hidden_group_size_y
      - .offset:         224
        .size:           2
        .value_kind:     hidden_group_size_z
      - .offset:         226
        .size:           2
        .value_kind:     hidden_remainder_x
      - .offset:         228
        .size:           2
        .value_kind:     hidden_remainder_y
      - .offset:         230
        .size:           2
        .value_kind:     hidden_remainder_z
      - .offset:         248
        .size:           8
        .value_kind:     hidden_global_offset_x
      - .offset:         256
        .size:           8
        .value_kind:     hidden_global_offset_y
      - .offset:         264
        .size:           8
        .value_kind:     hidden_global_offset_z
      - .offset:         272
        .size:           2
        .value_kind:     hidden_grid_dims
      - .offset:         288
        .size:           8
        .value_kind:     hidden_hostcall_buffer
    .group_segment_fixed_size: 0
    .kernarg_segment_align: 8
    .kernarg_segment_size: 464
    .language:       OpenCL C
    .language_version:
      - 2
      - 0
    .max_flat_workgroup_size: 128
    .name:           _ZL15flash_attn_tileILi64ELi64ELi8ELi4ELb1EEvPKcS1_S1_S1_S1_PKiPfP15HIP_vector_typeIfLj2EEffffjfiS5_IjLj3EEiiiiiiiiiiiliiliiiiil
    .private_segment_fixed_size: 16
    .sgpr_count:     36
    .sgpr_spill_count: 0
    .symbol:         _ZL15flash_attn_tileILi64ELi64ELi8ELi4ELb1EEvPKcS1_S1_S1_S1_PKiPfP15HIP_vector_typeIfLj2EEffffjfiS5_IjLj3EEiiiiiiiiiiiliiliiiiil.kd
    .uniform_work_group_size: 1
    .uses_dynamic_stack: false
    .vgpr_count:     50
    .vgpr_spill_count: 0
    .wavefront_size: 32
  - .args:
      - .address_space:  global
        .offset:         0
        .size:           8
        .value_kind:     global_buffer
      - .address_space:  global
        .offset:         8
        .size:           8
        .value_kind:     global_buffer
      - .address_space:  global
        .offset:         16
        .size:           8
        .value_kind:     global_buffer
      - .address_space:  global
        .offset:         24
        .size:           8
        .value_kind:     global_buffer
      - .address_space:  global
        .offset:         32
        .size:           8
        .value_kind:     global_buffer
      - .address_space:  global
        .offset:         40
        .size:           8
        .value_kind:     global_buffer
      - .address_space:  global
        .offset:         48
        .size:           8
        .value_kind:     global_buffer
      - .address_space:  global
        .offset:         56
        .size:           8
        .value_kind:     global_buffer
      - .offset:         64
        .size:           4
        .value_kind:     by_value
      - .offset:         68
        .size:           4
        .value_kind:     by_value
      - .offset:         72
        .size:           4
        .value_kind:     by_value
      - .offset:         76
        .size:           4
        .value_kind:     by_value
      - .offset:         80
        .size:           4
        .value_kind:     by_value
      - .offset:         84
        .size:           4
        .value_kind:     by_value
      - .offset:         88
        .size:           4
        .value_kind:     by_value
      - .offset:         92
        .size:           12
        .value_kind:     by_value
      - .offset:         104
        .size:           4
        .value_kind:     by_value
      - .offset:         108
        .size:           4
        .value_kind:     by_value
      - .offset:         112
        .size:           4
        .value_kind:     by_value
      - .offset:         116
        .size:           4
        .value_kind:     by_value
      - .offset:         120
        .size:           4
        .value_kind:     by_value
      - .offset:         124
        .size:           4
        .value_kind:     by_value
      - .offset:         128
        .size:           4
        .value_kind:     by_value
      - .offset:         132
        .size:           4
        .value_kind:     by_value
      - .offset:         136
        .size:           4
        .value_kind:     by_value
      - .offset:         140
        .size:           4
        .value_kind:     by_value
      - .offset:         144
        .size:           4
        .value_kind:     by_value
      - .offset:         152
        .size:           8
        .value_kind:     by_value
      - .offset:         160
        .size:           4
        .value_kind:     by_value
      - .offset:         164
        .size:           4
        .value_kind:     by_value
      - .offset:         168
        .size:           8
        .value_kind:     by_value
      - .offset:         176
        .size:           4
        .value_kind:     by_value
      - .offset:         180
        .size:           4
        .value_kind:     by_value
      - .offset:         184
        .size:           4
        .value_kind:     by_value
      - .offset:         188
        .size:           4
        .value_kind:     by_value
      - .offset:         192
        .size:           4
        .value_kind:     by_value
      - .offset:         200
        .size:           8
        .value_kind:     by_value
      - .offset:         208
        .size:           4
        .value_kind:     hidden_block_count_x
      - .offset:         212
        .size:           4
        .value_kind:     hidden_block_count_y
      - .offset:         216
        .size:           4
        .value_kind:     hidden_block_count_z
      - .offset:         220
        .size:           2
        .value_kind:     hidden_group_size_x
      - .offset:         222
        .size:           2
        .value_kind:     hidden_group_size_y
      - .offset:         224
        .size:           2
        .value_kind:     hidden_group_size_z
      - .offset:         226
        .size:           2
        .value_kind:     hidden_remainder_x
      - .offset:         228
        .size:           2
        .value_kind:     hidden_remainder_y
      - .offset:         230
        .size:           2
        .value_kind:     hidden_remainder_z
      - .offset:         248
        .size:           8
        .value_kind:     hidden_global_offset_x
      - .offset:         256
        .size:           8
        .value_kind:     hidden_global_offset_y
      - .offset:         264
        .size:           8
        .value_kind:     hidden_global_offset_z
      - .offset:         272
        .size:           2
        .value_kind:     hidden_grid_dims
      - .offset:         288
        .size:           8
        .value_kind:     hidden_hostcall_buffer
    .group_segment_fixed_size: 0
    .kernarg_segment_align: 8
    .kernarg_segment_size: 464
    .language:       OpenCL C
    .language_version:
      - 2
      - 0
    .max_flat_workgroup_size: 128
    .name:           _ZL15flash_attn_tileILi64ELi64ELi4ELi4ELb1EEvPKcS1_S1_S1_S1_PKiPfP15HIP_vector_typeIfLj2EEffffjfiS5_IjLj3EEiiiiiiiiiiiliiliiiiil
    .private_segment_fixed_size: 16
    .sgpr_count:     36
    .sgpr_spill_count: 0
    .symbol:         _ZL15flash_attn_tileILi64ELi64ELi4ELi4ELb1EEvPKcS1_S1_S1_S1_PKiPfP15HIP_vector_typeIfLj2EEffffjfiS5_IjLj3EEiiiiiiiiiiiliiliiiiil.kd
    .uniform_work_group_size: 1
    .uses_dynamic_stack: false
    .vgpr_count:     50
    .vgpr_spill_count: 0
    .wavefront_size: 32
  - .args:
      - .address_space:  global
        .offset:         0
        .size:           8
        .value_kind:     global_buffer
      - .address_space:  global
        .offset:         8
        .size:           8
        .value_kind:     global_buffer
      - .address_space:  global
        .offset:         16
        .size:           8
        .value_kind:     global_buffer
      - .address_space:  global
        .offset:         24
        .size:           8
        .value_kind:     global_buffer
      - .address_space:  global
        .offset:         32
        .size:           8
        .value_kind:     global_buffer
      - .address_space:  global
        .offset:         40
        .size:           8
        .value_kind:     global_buffer
      - .address_space:  global
        .offset:         48
        .size:           8
        .value_kind:     global_buffer
      - .address_space:  global
        .offset:         56
        .size:           8
        .value_kind:     global_buffer
      - .offset:         64
        .size:           4
        .value_kind:     by_value
      - .offset:         68
        .size:           4
        .value_kind:     by_value
      - .offset:         72
        .size:           4
        .value_kind:     by_value
      - .offset:         76
        .size:           4
        .value_kind:     by_value
      - .offset:         80
        .size:           4
        .value_kind:     by_value
      - .offset:         84
        .size:           4
        .value_kind:     by_value
      - .offset:         88
        .size:           4
        .value_kind:     by_value
      - .offset:         92
        .size:           12
        .value_kind:     by_value
      - .offset:         104
        .size:           4
        .value_kind:     by_value
      - .offset:         108
        .size:           4
        .value_kind:     by_value
      - .offset:         112
        .size:           4
        .value_kind:     by_value
      - .offset:         116
        .size:           4
        .value_kind:     by_value
      - .offset:         120
        .size:           4
        .value_kind:     by_value
      - .offset:         124
        .size:           4
        .value_kind:     by_value
      - .offset:         128
        .size:           4
        .value_kind:     by_value
      - .offset:         132
        .size:           4
        .value_kind:     by_value
      - .offset:         136
        .size:           4
        .value_kind:     by_value
      - .offset:         140
        .size:           4
        .value_kind:     by_value
      - .offset:         144
        .size:           4
        .value_kind:     by_value
      - .offset:         152
        .size:           8
        .value_kind:     by_value
      - .offset:         160
        .size:           4
        .value_kind:     by_value
      - .offset:         164
        .size:           4
        .value_kind:     by_value
      - .offset:         168
        .size:           8
        .value_kind:     by_value
      - .offset:         176
        .size:           4
        .value_kind:     by_value
      - .offset:         180
        .size:           4
        .value_kind:     by_value
      - .offset:         184
        .size:           4
        .value_kind:     by_value
      - .offset:         188
        .size:           4
        .value_kind:     by_value
      - .offset:         192
        .size:           4
        .value_kind:     by_value
      - .offset:         200
        .size:           8
        .value_kind:     by_value
      - .offset:         208
        .size:           4
        .value_kind:     hidden_block_count_x
      - .offset:         212
        .size:           4
        .value_kind:     hidden_block_count_y
      - .offset:         216
        .size:           4
        .value_kind:     hidden_block_count_z
      - .offset:         220
        .size:           2
        .value_kind:     hidden_group_size_x
      - .offset:         222
        .size:           2
        .value_kind:     hidden_group_size_y
      - .offset:         224
        .size:           2
        .value_kind:     hidden_group_size_z
      - .offset:         226
        .size:           2
        .value_kind:     hidden_remainder_x
      - .offset:         228
        .size:           2
        .value_kind:     hidden_remainder_y
      - .offset:         230
        .size:           2
        .value_kind:     hidden_remainder_z
      - .offset:         248
        .size:           8
        .value_kind:     hidden_global_offset_x
      - .offset:         256
        .size:           8
        .value_kind:     hidden_global_offset_y
      - .offset:         264
        .size:           8
        .value_kind:     hidden_global_offset_z
      - .offset:         272
        .size:           2
        .value_kind:     hidden_grid_dims
      - .offset:         288
        .size:           8
        .value_kind:     hidden_hostcall_buffer
    .group_segment_fixed_size: 0
    .kernarg_segment_align: 8
    .kernarg_segment_size: 464
    .language:       OpenCL C
    .language_version:
      - 2
      - 0
    .max_flat_workgroup_size: 128
    .name:           _ZL15flash_attn_tileILi64ELi64ELi2ELi4ELb1EEvPKcS1_S1_S1_S1_PKiPfP15HIP_vector_typeIfLj2EEffffjfiS5_IjLj3EEiiiiiiiiiiiliiliiiiil
    .private_segment_fixed_size: 16
    .sgpr_count:     36
    .sgpr_spill_count: 0
    .symbol:         _ZL15flash_attn_tileILi64ELi64ELi2ELi4ELb1EEvPKcS1_S1_S1_S1_PKiPfP15HIP_vector_typeIfLj2EEffffjfiS5_IjLj3EEiiiiiiiiiiiliiliiiiil.kd
    .uniform_work_group_size: 1
    .uses_dynamic_stack: false
    .vgpr_count:     50
    .vgpr_spill_count: 0
    .wavefront_size: 32
  - .args:
      - .address_space:  global
        .offset:         0
        .size:           8
        .value_kind:     global_buffer
      - .address_space:  global
        .offset:         8
        .size:           8
        .value_kind:     global_buffer
      - .address_space:  global
        .offset:         16
        .size:           8
        .value_kind:     global_buffer
      - .address_space:  global
        .offset:         24
        .size:           8
        .value_kind:     global_buffer
      - .address_space:  global
        .offset:         32
        .size:           8
        .value_kind:     global_buffer
      - .address_space:  global
        .offset:         40
        .size:           8
        .value_kind:     global_buffer
      - .address_space:  global
        .offset:         48
        .size:           8
        .value_kind:     global_buffer
      - .address_space:  global
        .offset:         56
        .size:           8
        .value_kind:     global_buffer
      - .offset:         64
        .size:           4
        .value_kind:     by_value
      - .offset:         68
        .size:           4
        .value_kind:     by_value
      - .offset:         72
        .size:           4
        .value_kind:     by_value
      - .offset:         76
        .size:           4
        .value_kind:     by_value
      - .offset:         80
        .size:           4
        .value_kind:     by_value
      - .offset:         84
        .size:           4
        .value_kind:     by_value
      - .offset:         88
        .size:           4
        .value_kind:     by_value
      - .offset:         92
        .size:           12
        .value_kind:     by_value
      - .offset:         104
        .size:           4
        .value_kind:     by_value
      - .offset:         108
        .size:           4
        .value_kind:     by_value
      - .offset:         112
        .size:           4
        .value_kind:     by_value
      - .offset:         116
        .size:           4
        .value_kind:     by_value
      - .offset:         120
        .size:           4
        .value_kind:     by_value
      - .offset:         124
        .size:           4
        .value_kind:     by_value
      - .offset:         128
        .size:           4
        .value_kind:     by_value
      - .offset:         132
        .size:           4
        .value_kind:     by_value
      - .offset:         136
        .size:           4
        .value_kind:     by_value
      - .offset:         140
        .size:           4
        .value_kind:     by_value
      - .offset:         144
        .size:           4
        .value_kind:     by_value
      - .offset:         152
        .size:           8
        .value_kind:     by_value
      - .offset:         160
        .size:           4
        .value_kind:     by_value
      - .offset:         164
        .size:           4
        .value_kind:     by_value
      - .offset:         168
        .size:           8
        .value_kind:     by_value
      - .offset:         176
        .size:           4
        .value_kind:     by_value
      - .offset:         180
        .size:           4
        .value_kind:     by_value
      - .offset:         184
        .size:           4
        .value_kind:     by_value
      - .offset:         188
        .size:           4
        .value_kind:     by_value
      - .offset:         192
        .size:           4
        .value_kind:     by_value
      - .offset:         200
        .size:           8
        .value_kind:     by_value
      - .offset:         208
        .size:           4
        .value_kind:     hidden_block_count_x
      - .offset:         212
        .size:           4
        .value_kind:     hidden_block_count_y
      - .offset:         216
        .size:           4
        .value_kind:     hidden_block_count_z
      - .offset:         220
        .size:           2
        .value_kind:     hidden_group_size_x
      - .offset:         222
        .size:           2
        .value_kind:     hidden_group_size_y
      - .offset:         224
        .size:           2
        .value_kind:     hidden_group_size_z
      - .offset:         226
        .size:           2
        .value_kind:     hidden_remainder_x
      - .offset:         228
        .size:           2
        .value_kind:     hidden_remainder_y
      - .offset:         230
        .size:           2
        .value_kind:     hidden_remainder_z
      - .offset:         248
        .size:           8
        .value_kind:     hidden_global_offset_x
      - .offset:         256
        .size:           8
        .value_kind:     hidden_global_offset_y
      - .offset:         264
        .size:           8
        .value_kind:     hidden_global_offset_z
      - .offset:         272
        .size:           2
        .value_kind:     hidden_grid_dims
      - .offset:         288
        .size:           8
        .value_kind:     hidden_hostcall_buffer
    .group_segment_fixed_size: 0
    .kernarg_segment_align: 8
    .kernarg_segment_size: 464
    .language:       OpenCL C
    .language_version:
      - 2
      - 0
    .max_flat_workgroup_size: 64
    .name:           _ZL15flash_attn_tileILi64ELi64ELi1ELi4ELb1EEvPKcS1_S1_S1_S1_PKiPfP15HIP_vector_typeIfLj2EEffffjfiS5_IjLj3EEiiiiiiiiiiiliiliiiiil
    .private_segment_fixed_size: 16
    .sgpr_count:     36
    .sgpr_spill_count: 0
    .symbol:         _ZL15flash_attn_tileILi64ELi64ELi1ELi4ELb1EEvPKcS1_S1_S1_S1_PKiPfP15HIP_vector_typeIfLj2EEffffjfiS5_IjLj3EEiiiiiiiiiiiliiliiiiil.kd
    .uniform_work_group_size: 1
    .uses_dynamic_stack: false
    .vgpr_count:     50
    .vgpr_spill_count: 0
    .wavefront_size: 32
  - .args:
      - .address_space:  global
        .offset:         0
        .size:           8
        .value_kind:     global_buffer
      - .address_space:  global
        .offset:         8
        .size:           8
        .value_kind:     global_buffer
      - .address_space:  global
        .offset:         16
        .size:           8
        .value_kind:     global_buffer
      - .address_space:  global
        .offset:         24
        .size:           8
        .value_kind:     global_buffer
      - .address_space:  global
        .offset:         32
        .size:           8
        .value_kind:     global_buffer
      - .address_space:  global
        .offset:         40
        .size:           8
        .value_kind:     global_buffer
      - .address_space:  global
        .offset:         48
        .size:           8
        .value_kind:     global_buffer
      - .address_space:  global
        .offset:         56
        .size:           8
        .value_kind:     global_buffer
      - .offset:         64
        .size:           4
        .value_kind:     by_value
      - .offset:         68
        .size:           4
        .value_kind:     by_value
      - .offset:         72
        .size:           4
        .value_kind:     by_value
      - .offset:         76
        .size:           4
        .value_kind:     by_value
      - .offset:         80
        .size:           4
        .value_kind:     by_value
      - .offset:         84
        .size:           4
        .value_kind:     by_value
      - .offset:         88
        .size:           4
        .value_kind:     by_value
      - .offset:         92
        .size:           12
        .value_kind:     by_value
      - .offset:         104
        .size:           4
        .value_kind:     by_value
      - .offset:         108
        .size:           4
        .value_kind:     by_value
      - .offset:         112
        .size:           4
        .value_kind:     by_value
      - .offset:         116
        .size:           4
        .value_kind:     by_value
      - .offset:         120
        .size:           4
        .value_kind:     by_value
      - .offset:         124
        .size:           4
        .value_kind:     by_value
      - .offset:         128
        .size:           4
        .value_kind:     by_value
      - .offset:         132
        .size:           4
        .value_kind:     by_value
      - .offset:         136
        .size:           4
        .value_kind:     by_value
      - .offset:         140
        .size:           4
        .value_kind:     by_value
      - .offset:         144
        .size:           4
        .value_kind:     by_value
      - .offset:         152
        .size:           8
        .value_kind:     by_value
      - .offset:         160
        .size:           4
        .value_kind:     by_value
      - .offset:         164
        .size:           4
        .value_kind:     by_value
      - .offset:         168
        .size:           8
        .value_kind:     by_value
      - .offset:         176
        .size:           4
        .value_kind:     by_value
      - .offset:         180
        .size:           4
        .value_kind:     by_value
      - .offset:         184
        .size:           4
        .value_kind:     by_value
      - .offset:         188
        .size:           4
        .value_kind:     by_value
      - .offset:         192
        .size:           4
        .value_kind:     by_value
      - .offset:         200
        .size:           8
        .value_kind:     by_value
      - .offset:         208
        .size:           4
        .value_kind:     hidden_block_count_x
      - .offset:         212
        .size:           4
        .value_kind:     hidden_block_count_y
      - .offset:         216
        .size:           4
        .value_kind:     hidden_block_count_z
      - .offset:         220
        .size:           2
        .value_kind:     hidden_group_size_x
      - .offset:         222
        .size:           2
        .value_kind:     hidden_group_size_y
      - .offset:         224
        .size:           2
        .value_kind:     hidden_group_size_z
      - .offset:         226
        .size:           2
        .value_kind:     hidden_remainder_x
      - .offset:         228
        .size:           2
        .value_kind:     hidden_remainder_y
      - .offset:         230
        .size:           2
        .value_kind:     hidden_remainder_z
      - .offset:         248
        .size:           8
        .value_kind:     hidden_global_offset_x
      - .offset:         256
        .size:           8
        .value_kind:     hidden_global_offset_y
      - .offset:         264
        .size:           8
        .value_kind:     hidden_global_offset_z
      - .offset:         272
        .size:           2
        .value_kind:     hidden_grid_dims
      - .offset:         288
        .size:           8
        .value_kind:     hidden_hostcall_buffer
    .group_segment_fixed_size: 0
    .kernarg_segment_align: 8
    .kernarg_segment_size: 464
    .language:       OpenCL C
    .language_version:
      - 2
      - 0
    .max_flat_workgroup_size: 128
    .name:           _ZL15flash_attn_tileILi64ELi64ELi32ELi2ELb1EEvPKcS1_S1_S1_S1_PKiPfP15HIP_vector_typeIfLj2EEffffjfiS5_IjLj3EEiiiiiiiiiiiliiliiiiil
    .private_segment_fixed_size: 16
    .sgpr_count:     36
    .sgpr_spill_count: 0
    .symbol:         _ZL15flash_attn_tileILi64ELi64ELi32ELi2ELb1EEvPKcS1_S1_S1_S1_PKiPfP15HIP_vector_typeIfLj2EEffffjfiS5_IjLj3EEiiiiiiiiiiiliiliiiiil.kd
    .uniform_work_group_size: 1
    .uses_dynamic_stack: false
    .vgpr_count:     50
    .vgpr_spill_count: 0
    .wavefront_size: 32
  - .args:
      - .address_space:  global
        .offset:         0
        .size:           8
        .value_kind:     global_buffer
      - .address_space:  global
        .offset:         8
        .size:           8
        .value_kind:     global_buffer
      - .address_space:  global
        .offset:         16
        .size:           8
        .value_kind:     global_buffer
      - .address_space:  global
        .offset:         24
        .size:           8
        .value_kind:     global_buffer
      - .address_space:  global
        .offset:         32
        .size:           8
        .value_kind:     global_buffer
      - .address_space:  global
        .offset:         40
        .size:           8
        .value_kind:     global_buffer
      - .address_space:  global
        .offset:         48
        .size:           8
        .value_kind:     global_buffer
      - .address_space:  global
        .offset:         56
        .size:           8
        .value_kind:     global_buffer
      - .offset:         64
        .size:           4
        .value_kind:     by_value
      - .offset:         68
        .size:           4
        .value_kind:     by_value
      - .offset:         72
        .size:           4
        .value_kind:     by_value
      - .offset:         76
        .size:           4
        .value_kind:     by_value
      - .offset:         80
        .size:           4
        .value_kind:     by_value
      - .offset:         84
        .size:           4
        .value_kind:     by_value
      - .offset:         88
        .size:           4
        .value_kind:     by_value
      - .offset:         92
        .size:           12
        .value_kind:     by_value
      - .offset:         104
        .size:           4
        .value_kind:     by_value
      - .offset:         108
        .size:           4
        .value_kind:     by_value
      - .offset:         112
        .size:           4
        .value_kind:     by_value
      - .offset:         116
        .size:           4
        .value_kind:     by_value
      - .offset:         120
        .size:           4
        .value_kind:     by_value
      - .offset:         124
        .size:           4
        .value_kind:     by_value
      - .offset:         128
        .size:           4
        .value_kind:     by_value
      - .offset:         132
        .size:           4
        .value_kind:     by_value
      - .offset:         136
        .size:           4
        .value_kind:     by_value
      - .offset:         140
        .size:           4
        .value_kind:     by_value
      - .offset:         144
        .size:           4
        .value_kind:     by_value
      - .offset:         152
        .size:           8
        .value_kind:     by_value
      - .offset:         160
        .size:           4
        .value_kind:     by_value
      - .offset:         164
        .size:           4
        .value_kind:     by_value
      - .offset:         168
        .size:           8
        .value_kind:     by_value
      - .offset:         176
        .size:           4
        .value_kind:     by_value
      - .offset:         180
        .size:           4
        .value_kind:     by_value
      - .offset:         184
        .size:           4
        .value_kind:     by_value
      - .offset:         188
        .size:           4
        .value_kind:     by_value
      - .offset:         192
        .size:           4
        .value_kind:     by_value
      - .offset:         200
        .size:           8
        .value_kind:     by_value
      - .offset:         208
        .size:           4
        .value_kind:     hidden_block_count_x
      - .offset:         212
        .size:           4
        .value_kind:     hidden_block_count_y
      - .offset:         216
        .size:           4
        .value_kind:     hidden_block_count_z
      - .offset:         220
        .size:           2
        .value_kind:     hidden_group_size_x
      - .offset:         222
        .size:           2
        .value_kind:     hidden_group_size_y
      - .offset:         224
        .size:           2
        .value_kind:     hidden_group_size_z
      - .offset:         226
        .size:           2
        .value_kind:     hidden_remainder_x
      - .offset:         228
        .size:           2
        .value_kind:     hidden_remainder_y
      - .offset:         230
        .size:           2
        .value_kind:     hidden_remainder_z
      - .offset:         248
        .size:           8
        .value_kind:     hidden_global_offset_x
      - .offset:         256
        .size:           8
        .value_kind:     hidden_global_offset_y
      - .offset:         264
        .size:           8
        .value_kind:     hidden_global_offset_z
      - .offset:         272
        .size:           2
        .value_kind:     hidden_grid_dims
      - .offset:         288
        .size:           8
        .value_kind:     hidden_hostcall_buffer
    .group_segment_fixed_size: 0
    .kernarg_segment_align: 8
    .kernarg_segment_size: 464
    .language:       OpenCL C
    .language_version:
      - 2
      - 0
    .max_flat_workgroup_size: 128
    .name:           _ZL15flash_attn_tileILi64ELi64ELi16ELi2ELb1EEvPKcS1_S1_S1_S1_PKiPfP15HIP_vector_typeIfLj2EEffffjfiS5_IjLj3EEiiiiiiiiiiiliiliiiiil
    .private_segment_fixed_size: 16
    .sgpr_count:     36
    .sgpr_spill_count: 0
    .symbol:         _ZL15flash_attn_tileILi64ELi64ELi16ELi2ELb1EEvPKcS1_S1_S1_S1_PKiPfP15HIP_vector_typeIfLj2EEffffjfiS5_IjLj3EEiiiiiiiiiiiliiliiiiil.kd
    .uniform_work_group_size: 1
    .uses_dynamic_stack: false
    .vgpr_count:     50
    .vgpr_spill_count: 0
    .wavefront_size: 32
  - .args:
      - .address_space:  global
        .offset:         0
        .size:           8
        .value_kind:     global_buffer
      - .address_space:  global
        .offset:         8
        .size:           8
        .value_kind:     global_buffer
      - .address_space:  global
        .offset:         16
        .size:           8
        .value_kind:     global_buffer
      - .address_space:  global
        .offset:         24
        .size:           8
        .value_kind:     global_buffer
      - .address_space:  global
        .offset:         32
        .size:           8
        .value_kind:     global_buffer
      - .address_space:  global
        .offset:         40
        .size:           8
        .value_kind:     global_buffer
      - .address_space:  global
        .offset:         48
        .size:           8
        .value_kind:     global_buffer
      - .address_space:  global
        .offset:         56
        .size:           8
        .value_kind:     global_buffer
      - .offset:         64
        .size:           4
        .value_kind:     by_value
      - .offset:         68
        .size:           4
        .value_kind:     by_value
      - .offset:         72
        .size:           4
        .value_kind:     by_value
      - .offset:         76
        .size:           4
        .value_kind:     by_value
      - .offset:         80
        .size:           4
        .value_kind:     by_value
      - .offset:         84
        .size:           4
        .value_kind:     by_value
      - .offset:         88
        .size:           4
        .value_kind:     by_value
      - .offset:         92
        .size:           12
        .value_kind:     by_value
      - .offset:         104
        .size:           4
        .value_kind:     by_value
      - .offset:         108
        .size:           4
        .value_kind:     by_value
      - .offset:         112
        .size:           4
        .value_kind:     by_value
      - .offset:         116
        .size:           4
        .value_kind:     by_value
      - .offset:         120
        .size:           4
        .value_kind:     by_value
      - .offset:         124
        .size:           4
        .value_kind:     by_value
      - .offset:         128
        .size:           4
        .value_kind:     by_value
      - .offset:         132
        .size:           4
        .value_kind:     by_value
      - .offset:         136
        .size:           4
        .value_kind:     by_value
      - .offset:         140
        .size:           4
        .value_kind:     by_value
      - .offset:         144
        .size:           4
        .value_kind:     by_value
      - .offset:         152
        .size:           8
        .value_kind:     by_value
      - .offset:         160
        .size:           4
        .value_kind:     by_value
      - .offset:         164
        .size:           4
        .value_kind:     by_value
      - .offset:         168
        .size:           8
        .value_kind:     by_value
      - .offset:         176
        .size:           4
        .value_kind:     by_value
      - .offset:         180
        .size:           4
        .value_kind:     by_value
      - .offset:         184
        .size:           4
        .value_kind:     by_value
      - .offset:         188
        .size:           4
        .value_kind:     by_value
      - .offset:         192
        .size:           4
        .value_kind:     by_value
      - .offset:         200
        .size:           8
        .value_kind:     by_value
      - .offset:         208
        .size:           4
        .value_kind:     hidden_block_count_x
      - .offset:         212
        .size:           4
        .value_kind:     hidden_block_count_y
      - .offset:         216
        .size:           4
        .value_kind:     hidden_block_count_z
      - .offset:         220
        .size:           2
        .value_kind:     hidden_group_size_x
      - .offset:         222
        .size:           2
        .value_kind:     hidden_group_size_y
      - .offset:         224
        .size:           2
        .value_kind:     hidden_group_size_z
      - .offset:         226
        .size:           2
        .value_kind:     hidden_remainder_x
      - .offset:         228
        .size:           2
        .value_kind:     hidden_remainder_y
      - .offset:         230
        .size:           2
        .value_kind:     hidden_remainder_z
      - .offset:         248
        .size:           8
        .value_kind:     hidden_global_offset_x
      - .offset:         256
        .size:           8
        .value_kind:     hidden_global_offset_y
      - .offset:         264
        .size:           8
        .value_kind:     hidden_global_offset_z
      - .offset:         272
        .size:           2
        .value_kind:     hidden_grid_dims
      - .offset:         288
        .size:           8
        .value_kind:     hidden_hostcall_buffer
    .group_segment_fixed_size: 0
    .kernarg_segment_align: 8
    .kernarg_segment_size: 464
    .language:       OpenCL C
    .language_version:
      - 2
      - 0
    .max_flat_workgroup_size: 128
    .name:           _ZL15flash_attn_tileILi64ELi64ELi8ELi2ELb1EEvPKcS1_S1_S1_S1_PKiPfP15HIP_vector_typeIfLj2EEffffjfiS5_IjLj3EEiiiiiiiiiiiliiliiiiil
    .private_segment_fixed_size: 16
    .sgpr_count:     36
    .sgpr_spill_count: 0
    .symbol:         _ZL15flash_attn_tileILi64ELi64ELi8ELi2ELb1EEvPKcS1_S1_S1_S1_PKiPfP15HIP_vector_typeIfLj2EEffffjfiS5_IjLj3EEiiiiiiiiiiiliiliiiiil.kd
    .uniform_work_group_size: 1
    .uses_dynamic_stack: false
    .vgpr_count:     50
    .vgpr_spill_count: 0
    .wavefront_size: 32
  - .args:
      - .address_space:  global
        .offset:         0
        .size:           8
        .value_kind:     global_buffer
      - .address_space:  global
        .offset:         8
        .size:           8
        .value_kind:     global_buffer
      - .address_space:  global
        .offset:         16
        .size:           8
        .value_kind:     global_buffer
      - .address_space:  global
        .offset:         24
        .size:           8
        .value_kind:     global_buffer
      - .address_space:  global
        .offset:         32
        .size:           8
        .value_kind:     global_buffer
      - .address_space:  global
        .offset:         40
        .size:           8
        .value_kind:     global_buffer
      - .address_space:  global
        .offset:         48
        .size:           8
        .value_kind:     global_buffer
      - .address_space:  global
        .offset:         56
        .size:           8
        .value_kind:     global_buffer
      - .offset:         64
        .size:           4
        .value_kind:     by_value
      - .offset:         68
        .size:           4
        .value_kind:     by_value
      - .offset:         72
        .size:           4
        .value_kind:     by_value
      - .offset:         76
        .size:           4
        .value_kind:     by_value
      - .offset:         80
        .size:           4
        .value_kind:     by_value
      - .offset:         84
        .size:           4
        .value_kind:     by_value
      - .offset:         88
        .size:           4
        .value_kind:     by_value
      - .offset:         92
        .size:           12
        .value_kind:     by_value
      - .offset:         104
        .size:           4
        .value_kind:     by_value
      - .offset:         108
        .size:           4
        .value_kind:     by_value
      - .offset:         112
        .size:           4
        .value_kind:     by_value
      - .offset:         116
        .size:           4
        .value_kind:     by_value
      - .offset:         120
        .size:           4
        .value_kind:     by_value
      - .offset:         124
        .size:           4
        .value_kind:     by_value
      - .offset:         128
        .size:           4
        .value_kind:     by_value
      - .offset:         132
        .size:           4
        .value_kind:     by_value
      - .offset:         136
        .size:           4
        .value_kind:     by_value
      - .offset:         140
        .size:           4
        .value_kind:     by_value
      - .offset:         144
        .size:           4
        .value_kind:     by_value
      - .offset:         152
        .size:           8
        .value_kind:     by_value
      - .offset:         160
        .size:           4
        .value_kind:     by_value
      - .offset:         164
        .size:           4
        .value_kind:     by_value
      - .offset:         168
        .size:           8
        .value_kind:     by_value
      - .offset:         176
        .size:           4
        .value_kind:     by_value
      - .offset:         180
        .size:           4
        .value_kind:     by_value
      - .offset:         184
        .size:           4
        .value_kind:     by_value
      - .offset:         188
        .size:           4
        .value_kind:     by_value
      - .offset:         192
        .size:           4
        .value_kind:     by_value
      - .offset:         200
        .size:           8
        .value_kind:     by_value
      - .offset:         208
        .size:           4
        .value_kind:     hidden_block_count_x
      - .offset:         212
        .size:           4
        .value_kind:     hidden_block_count_y
      - .offset:         216
        .size:           4
        .value_kind:     hidden_block_count_z
      - .offset:         220
        .size:           2
        .value_kind:     hidden_group_size_x
      - .offset:         222
        .size:           2
        .value_kind:     hidden_group_size_y
      - .offset:         224
        .size:           2
        .value_kind:     hidden_group_size_z
      - .offset:         226
        .size:           2
        .value_kind:     hidden_remainder_x
      - .offset:         228
        .size:           2
        .value_kind:     hidden_remainder_y
      - .offset:         230
        .size:           2
        .value_kind:     hidden_remainder_z
      - .offset:         248
        .size:           8
        .value_kind:     hidden_global_offset_x
      - .offset:         256
        .size:           8
        .value_kind:     hidden_global_offset_y
      - .offset:         264
        .size:           8
        .value_kind:     hidden_global_offset_z
      - .offset:         272
        .size:           2
        .value_kind:     hidden_grid_dims
      - .offset:         288
        .size:           8
        .value_kind:     hidden_hostcall_buffer
    .group_segment_fixed_size: 0
    .kernarg_segment_align: 8
    .kernarg_segment_size: 464
    .language:       OpenCL C
    .language_version:
      - 2
      - 0
    .max_flat_workgroup_size: 128
    .name:           _ZL15flash_attn_tileILi64ELi64ELi4ELi2ELb1EEvPKcS1_S1_S1_S1_PKiPfP15HIP_vector_typeIfLj2EEffffjfiS5_IjLj3EEiiiiiiiiiiiliiliiiiil
    .private_segment_fixed_size: 16
    .sgpr_count:     36
    .sgpr_spill_count: 0
    .symbol:         _ZL15flash_attn_tileILi64ELi64ELi4ELi2ELb1EEvPKcS1_S1_S1_S1_PKiPfP15HIP_vector_typeIfLj2EEffffjfiS5_IjLj3EEiiiiiiiiiiiliiliiiiil.kd
    .uniform_work_group_size: 1
    .uses_dynamic_stack: false
    .vgpr_count:     50
    .vgpr_spill_count: 0
    .wavefront_size: 32
  - .args:
      - .address_space:  global
        .offset:         0
        .size:           8
        .value_kind:     global_buffer
      - .address_space:  global
        .offset:         8
        .size:           8
        .value_kind:     global_buffer
      - .address_space:  global
        .offset:         16
        .size:           8
        .value_kind:     global_buffer
      - .address_space:  global
        .offset:         24
        .size:           8
        .value_kind:     global_buffer
      - .address_space:  global
        .offset:         32
        .size:           8
        .value_kind:     global_buffer
      - .address_space:  global
        .offset:         40
        .size:           8
        .value_kind:     global_buffer
      - .address_space:  global
        .offset:         48
        .size:           8
        .value_kind:     global_buffer
      - .address_space:  global
        .offset:         56
        .size:           8
        .value_kind:     global_buffer
      - .offset:         64
        .size:           4
        .value_kind:     by_value
      - .offset:         68
        .size:           4
        .value_kind:     by_value
      - .offset:         72
        .size:           4
        .value_kind:     by_value
      - .offset:         76
        .size:           4
        .value_kind:     by_value
      - .offset:         80
        .size:           4
        .value_kind:     by_value
      - .offset:         84
        .size:           4
        .value_kind:     by_value
      - .offset:         88
        .size:           4
        .value_kind:     by_value
      - .offset:         92
        .size:           12
        .value_kind:     by_value
      - .offset:         104
        .size:           4
        .value_kind:     by_value
      - .offset:         108
        .size:           4
        .value_kind:     by_value
      - .offset:         112
        .size:           4
        .value_kind:     by_value
      - .offset:         116
        .size:           4
        .value_kind:     by_value
      - .offset:         120
        .size:           4
        .value_kind:     by_value
      - .offset:         124
        .size:           4
        .value_kind:     by_value
      - .offset:         128
        .size:           4
        .value_kind:     by_value
      - .offset:         132
        .size:           4
        .value_kind:     by_value
      - .offset:         136
        .size:           4
        .value_kind:     by_value
      - .offset:         140
        .size:           4
        .value_kind:     by_value
      - .offset:         144
        .size:           4
        .value_kind:     by_value
      - .offset:         152
        .size:           8
        .value_kind:     by_value
      - .offset:         160
        .size:           4
        .value_kind:     by_value
      - .offset:         164
        .size:           4
        .value_kind:     by_value
      - .offset:         168
        .size:           8
        .value_kind:     by_value
      - .offset:         176
        .size:           4
        .value_kind:     by_value
      - .offset:         180
        .size:           4
        .value_kind:     by_value
      - .offset:         184
        .size:           4
        .value_kind:     by_value
      - .offset:         188
        .size:           4
        .value_kind:     by_value
      - .offset:         192
        .size:           4
        .value_kind:     by_value
      - .offset:         200
        .size:           8
        .value_kind:     by_value
      - .offset:         208
        .size:           4
        .value_kind:     hidden_block_count_x
      - .offset:         212
        .size:           4
        .value_kind:     hidden_block_count_y
      - .offset:         216
        .size:           4
        .value_kind:     hidden_block_count_z
      - .offset:         220
        .size:           2
        .value_kind:     hidden_group_size_x
      - .offset:         222
        .size:           2
        .value_kind:     hidden_group_size_y
      - .offset:         224
        .size:           2
        .value_kind:     hidden_group_size_z
      - .offset:         226
        .size:           2
        .value_kind:     hidden_remainder_x
      - .offset:         228
        .size:           2
        .value_kind:     hidden_remainder_y
      - .offset:         230
        .size:           2
        .value_kind:     hidden_remainder_z
      - .offset:         248
        .size:           8
        .value_kind:     hidden_global_offset_x
      - .offset:         256
        .size:           8
        .value_kind:     hidden_global_offset_y
      - .offset:         264
        .size:           8
        .value_kind:     hidden_global_offset_z
      - .offset:         272
        .size:           2
        .value_kind:     hidden_grid_dims
      - .offset:         288
        .size:           8
        .value_kind:     hidden_hostcall_buffer
    .group_segment_fixed_size: 0
    .kernarg_segment_align: 8
    .kernarg_segment_size: 464
    .language:       OpenCL C
    .language_version:
      - 2
      - 0
    .max_flat_workgroup_size: 64
    .name:           _ZL15flash_attn_tileILi64ELi64ELi2ELi2ELb1EEvPKcS1_S1_S1_S1_PKiPfP15HIP_vector_typeIfLj2EEffffjfiS5_IjLj3EEiiiiiiiiiiiliiliiiiil
    .private_segment_fixed_size: 16
    .sgpr_count:     36
    .sgpr_spill_count: 0
    .symbol:         _ZL15flash_attn_tileILi64ELi64ELi2ELi2ELb1EEvPKcS1_S1_S1_S1_PKiPfP15HIP_vector_typeIfLj2EEffffjfiS5_IjLj3EEiiiiiiiiiiiliiliiiiil.kd
    .uniform_work_group_size: 1
    .uses_dynamic_stack: false
    .vgpr_count:     50
    .vgpr_spill_count: 0
    .wavefront_size: 32
  - .args:
      - .address_space:  global
        .offset:         0
        .size:           8
        .value_kind:     global_buffer
      - .address_space:  global
        .offset:         8
        .size:           8
        .value_kind:     global_buffer
      - .address_space:  global
        .offset:         16
        .size:           8
        .value_kind:     global_buffer
      - .address_space:  global
        .offset:         24
        .size:           8
        .value_kind:     global_buffer
      - .address_space:  global
        .offset:         32
        .size:           8
        .value_kind:     global_buffer
      - .address_space:  global
        .offset:         40
        .size:           8
        .value_kind:     global_buffer
      - .address_space:  global
        .offset:         48
        .size:           8
        .value_kind:     global_buffer
      - .address_space:  global
        .offset:         56
        .size:           8
        .value_kind:     global_buffer
      - .offset:         64
        .size:           4
        .value_kind:     by_value
      - .offset:         68
        .size:           4
        .value_kind:     by_value
      - .offset:         72
        .size:           4
        .value_kind:     by_value
      - .offset:         76
        .size:           4
        .value_kind:     by_value
      - .offset:         80
        .size:           4
        .value_kind:     by_value
      - .offset:         84
        .size:           4
        .value_kind:     by_value
      - .offset:         88
        .size:           4
        .value_kind:     by_value
      - .offset:         92
        .size:           12
        .value_kind:     by_value
      - .offset:         104
        .size:           4
        .value_kind:     by_value
      - .offset:         108
        .size:           4
        .value_kind:     by_value
      - .offset:         112
        .size:           4
        .value_kind:     by_value
      - .offset:         116
        .size:           4
        .value_kind:     by_value
      - .offset:         120
        .size:           4
        .value_kind:     by_value
      - .offset:         124
        .size:           4
        .value_kind:     by_value
      - .offset:         128
        .size:           4
        .value_kind:     by_value
      - .offset:         132
        .size:           4
        .value_kind:     by_value
      - .offset:         136
        .size:           4
        .value_kind:     by_value
      - .offset:         140
        .size:           4
        .value_kind:     by_value
      - .offset:         144
        .size:           4
        .value_kind:     by_value
      - .offset:         152
        .size:           8
        .value_kind:     by_value
      - .offset:         160
        .size:           4
        .value_kind:     by_value
      - .offset:         164
        .size:           4
        .value_kind:     by_value
      - .offset:         168
        .size:           8
        .value_kind:     by_value
      - .offset:         176
        .size:           4
        .value_kind:     by_value
      - .offset:         180
        .size:           4
        .value_kind:     by_value
      - .offset:         184
        .size:           4
        .value_kind:     by_value
      - .offset:         188
        .size:           4
        .value_kind:     by_value
      - .offset:         192
        .size:           4
        .value_kind:     by_value
      - .offset:         200
        .size:           8
        .value_kind:     by_value
      - .offset:         208
        .size:           4
        .value_kind:     hidden_block_count_x
      - .offset:         212
        .size:           4
        .value_kind:     hidden_block_count_y
      - .offset:         216
        .size:           4
        .value_kind:     hidden_block_count_z
      - .offset:         220
        .size:           2
        .value_kind:     hidden_group_size_x
      - .offset:         222
        .size:           2
        .value_kind:     hidden_group_size_y
      - .offset:         224
        .size:           2
        .value_kind:     hidden_group_size_z
      - .offset:         226
        .size:           2
        .value_kind:     hidden_remainder_x
      - .offset:         228
        .size:           2
        .value_kind:     hidden_remainder_y
      - .offset:         230
        .size:           2
        .value_kind:     hidden_remainder_z
      - .offset:         248
        .size:           8
        .value_kind:     hidden_global_offset_x
      - .offset:         256
        .size:           8
        .value_kind:     hidden_global_offset_y
      - .offset:         264
        .size:           8
        .value_kind:     hidden_global_offset_z
      - .offset:         272
        .size:           2
        .value_kind:     hidden_grid_dims
      - .offset:         288
        .size:           8
        .value_kind:     hidden_hostcall_buffer
    .group_segment_fixed_size: 0
    .kernarg_segment_align: 8
    .kernarg_segment_size: 464
    .language:       OpenCL C
    .language_version:
      - 2
      - 0
    .max_flat_workgroup_size: 64
    .name:           _ZL15flash_attn_tileILi64ELi64ELi1ELi2ELb1EEvPKcS1_S1_S1_S1_PKiPfP15HIP_vector_typeIfLj2EEffffjfiS5_IjLj3EEiiiiiiiiiiiliiliiiiil
    .private_segment_fixed_size: 16
    .sgpr_count:     36
    .sgpr_spill_count: 0
    .symbol:         _ZL15flash_attn_tileILi64ELi64ELi1ELi2ELb1EEvPKcS1_S1_S1_S1_PKiPfP15HIP_vector_typeIfLj2EEffffjfiS5_IjLj3EEiiiiiiiiiiiliiliiiiil.kd
    .uniform_work_group_size: 1
    .uses_dynamic_stack: false
    .vgpr_count:     50
    .vgpr_spill_count: 0
    .wavefront_size: 32
  - .args:
      - .address_space:  global
        .offset:         0
        .size:           8
        .value_kind:     global_buffer
      - .address_space:  global
        .offset:         8
        .size:           8
        .value_kind:     global_buffer
      - .address_space:  global
        .offset:         16
        .size:           8
        .value_kind:     global_buffer
      - .address_space:  global
        .offset:         24
        .size:           8
        .value_kind:     global_buffer
      - .address_space:  global
        .offset:         32
        .size:           8
        .value_kind:     global_buffer
      - .address_space:  global
        .offset:         40
        .size:           8
        .value_kind:     global_buffer
      - .address_space:  global
        .offset:         48
        .size:           8
        .value_kind:     global_buffer
      - .address_space:  global
        .offset:         56
        .size:           8
        .value_kind:     global_buffer
      - .offset:         64
        .size:           4
        .value_kind:     by_value
      - .offset:         68
        .size:           4
        .value_kind:     by_value
      - .offset:         72
        .size:           4
        .value_kind:     by_value
      - .offset:         76
        .size:           4
        .value_kind:     by_value
      - .offset:         80
        .size:           4
        .value_kind:     by_value
      - .offset:         84
        .size:           4
        .value_kind:     by_value
      - .offset:         88
        .size:           4
        .value_kind:     by_value
      - .offset:         92
        .size:           12
        .value_kind:     by_value
      - .offset:         104
        .size:           4
        .value_kind:     by_value
      - .offset:         108
        .size:           4
        .value_kind:     by_value
      - .offset:         112
        .size:           4
        .value_kind:     by_value
      - .offset:         116
        .size:           4
        .value_kind:     by_value
      - .offset:         120
        .size:           4
        .value_kind:     by_value
      - .offset:         124
        .size:           4
        .value_kind:     by_value
      - .offset:         128
        .size:           4
        .value_kind:     by_value
      - .offset:         132
        .size:           4
        .value_kind:     by_value
      - .offset:         136
        .size:           4
        .value_kind:     by_value
      - .offset:         140
        .size:           4
        .value_kind:     by_value
      - .offset:         144
        .size:           4
        .value_kind:     by_value
      - .offset:         152
        .size:           8
        .value_kind:     by_value
      - .offset:         160
        .size:           4
        .value_kind:     by_value
      - .offset:         164
        .size:           4
        .value_kind:     by_value
      - .offset:         168
        .size:           8
        .value_kind:     by_value
      - .offset:         176
        .size:           4
        .value_kind:     by_value
      - .offset:         180
        .size:           4
        .value_kind:     by_value
      - .offset:         184
        .size:           4
        .value_kind:     by_value
      - .offset:         188
        .size:           4
        .value_kind:     by_value
      - .offset:         192
        .size:           4
        .value_kind:     by_value
      - .offset:         200
        .size:           8
        .value_kind:     by_value
      - .offset:         208
        .size:           4
        .value_kind:     hidden_block_count_x
      - .offset:         212
        .size:           4
        .value_kind:     hidden_block_count_y
      - .offset:         216
        .size:           4
        .value_kind:     hidden_block_count_z
      - .offset:         220
        .size:           2
        .value_kind:     hidden_group_size_x
      - .offset:         222
        .size:           2
        .value_kind:     hidden_group_size_y
      - .offset:         224
        .size:           2
        .value_kind:     hidden_group_size_z
      - .offset:         226
        .size:           2
        .value_kind:     hidden_remainder_x
      - .offset:         228
        .size:           2
        .value_kind:     hidden_remainder_y
      - .offset:         230
        .size:           2
        .value_kind:     hidden_remainder_z
      - .offset:         248
        .size:           8
        .value_kind:     hidden_global_offset_x
      - .offset:         256
        .size:           8
        .value_kind:     hidden_global_offset_y
      - .offset:         264
        .size:           8
        .value_kind:     hidden_global_offset_z
      - .offset:         272
        .size:           2
        .value_kind:     hidden_grid_dims
      - .offset:         288
        .size:           8
        .value_kind:     hidden_hostcall_buffer
    .group_segment_fixed_size: 0
    .kernarg_segment_align: 8
    .kernarg_segment_size: 464
    .language:       OpenCL C
    .language_version:
      - 2
      - 0
    .max_flat_workgroup_size: 128
    .name:           _ZL15flash_attn_tileILi64ELi64ELi64ELi1ELb1EEvPKcS1_S1_S1_S1_PKiPfP15HIP_vector_typeIfLj2EEffffjfiS5_IjLj3EEiiiiiiiiiiiliiliiiiil
    .private_segment_fixed_size: 16
    .sgpr_count:     36
    .sgpr_spill_count: 0
    .symbol:         _ZL15flash_attn_tileILi64ELi64ELi64ELi1ELb1EEvPKcS1_S1_S1_S1_PKiPfP15HIP_vector_typeIfLj2EEffffjfiS5_IjLj3EEiiiiiiiiiiiliiliiiiil.kd
    .uniform_work_group_size: 1
    .uses_dynamic_stack: false
    .vgpr_count:     50
    .vgpr_spill_count: 0
    .wavefront_size: 32
  - .args:
      - .address_space:  global
        .offset:         0
        .size:           8
        .value_kind:     global_buffer
      - .address_space:  global
        .offset:         8
        .size:           8
        .value_kind:     global_buffer
      - .address_space:  global
        .offset:         16
        .size:           8
        .value_kind:     global_buffer
      - .address_space:  global
        .offset:         24
        .size:           8
        .value_kind:     global_buffer
      - .address_space:  global
        .offset:         32
        .size:           8
        .value_kind:     global_buffer
      - .address_space:  global
        .offset:         40
        .size:           8
        .value_kind:     global_buffer
      - .address_space:  global
        .offset:         48
        .size:           8
        .value_kind:     global_buffer
      - .address_space:  global
        .offset:         56
        .size:           8
        .value_kind:     global_buffer
      - .offset:         64
        .size:           4
        .value_kind:     by_value
      - .offset:         68
        .size:           4
        .value_kind:     by_value
      - .offset:         72
        .size:           4
        .value_kind:     by_value
      - .offset:         76
        .size:           4
        .value_kind:     by_value
      - .offset:         80
        .size:           4
        .value_kind:     by_value
      - .offset:         84
        .size:           4
        .value_kind:     by_value
      - .offset:         88
        .size:           4
        .value_kind:     by_value
      - .offset:         92
        .size:           12
        .value_kind:     by_value
      - .offset:         104
        .size:           4
        .value_kind:     by_value
      - .offset:         108
        .size:           4
        .value_kind:     by_value
      - .offset:         112
        .size:           4
        .value_kind:     by_value
      - .offset:         116
        .size:           4
        .value_kind:     by_value
      - .offset:         120
        .size:           4
        .value_kind:     by_value
      - .offset:         124
        .size:           4
        .value_kind:     by_value
      - .offset:         128
        .size:           4
        .value_kind:     by_value
      - .offset:         132
        .size:           4
        .value_kind:     by_value
      - .offset:         136
        .size:           4
        .value_kind:     by_value
      - .offset:         140
        .size:           4
        .value_kind:     by_value
      - .offset:         144
        .size:           4
        .value_kind:     by_value
      - .offset:         152
        .size:           8
        .value_kind:     by_value
      - .offset:         160
        .size:           4
        .value_kind:     by_value
      - .offset:         164
        .size:           4
        .value_kind:     by_value
      - .offset:         168
        .size:           8
        .value_kind:     by_value
      - .offset:         176
        .size:           4
        .value_kind:     by_value
      - .offset:         180
        .size:           4
        .value_kind:     by_value
      - .offset:         184
        .size:           4
        .value_kind:     by_value
      - .offset:         188
        .size:           4
        .value_kind:     by_value
      - .offset:         192
        .size:           4
        .value_kind:     by_value
      - .offset:         200
        .size:           8
        .value_kind:     by_value
      - .offset:         208
        .size:           4
        .value_kind:     hidden_block_count_x
      - .offset:         212
        .size:           4
        .value_kind:     hidden_block_count_y
      - .offset:         216
        .size:           4
        .value_kind:     hidden_block_count_z
      - .offset:         220
        .size:           2
        .value_kind:     hidden_group_size_x
      - .offset:         222
        .size:           2
        .value_kind:     hidden_group_size_y
      - .offset:         224
        .size:           2
        .value_kind:     hidden_group_size_z
      - .offset:         226
        .size:           2
        .value_kind:     hidden_remainder_x
      - .offset:         228
        .size:           2
        .value_kind:     hidden_remainder_y
      - .offset:         230
        .size:           2
        .value_kind:     hidden_remainder_z
      - .offset:         248
        .size:           8
        .value_kind:     hidden_global_offset_x
      - .offset:         256
        .size:           8
        .value_kind:     hidden_global_offset_y
      - .offset:         264
        .size:           8
        .value_kind:     hidden_global_offset_z
      - .offset:         272
        .size:           2
        .value_kind:     hidden_grid_dims
      - .offset:         288
        .size:           8
        .value_kind:     hidden_hostcall_buffer
    .group_segment_fixed_size: 0
    .kernarg_segment_align: 8
    .kernarg_segment_size: 464
    .language:       OpenCL C
    .language_version:
      - 2
      - 0
    .max_flat_workgroup_size: 128
    .name:           _ZL15flash_attn_tileILi64ELi64ELi32ELi1ELb1EEvPKcS1_S1_S1_S1_PKiPfP15HIP_vector_typeIfLj2EEffffjfiS5_IjLj3EEiiiiiiiiiiiliiliiiiil
    .private_segment_fixed_size: 16
    .sgpr_count:     36
    .sgpr_spill_count: 0
    .symbol:         _ZL15flash_attn_tileILi64ELi64ELi32ELi1ELb1EEvPKcS1_S1_S1_S1_PKiPfP15HIP_vector_typeIfLj2EEffffjfiS5_IjLj3EEiiiiiiiiiiiliiliiiiil.kd
    .uniform_work_group_size: 1
    .uses_dynamic_stack: false
    .vgpr_count:     50
    .vgpr_spill_count: 0
    .wavefront_size: 32
  - .args:
      - .address_space:  global
        .offset:         0
        .size:           8
        .value_kind:     global_buffer
      - .address_space:  global
        .offset:         8
        .size:           8
        .value_kind:     global_buffer
      - .address_space:  global
        .offset:         16
        .size:           8
        .value_kind:     global_buffer
      - .address_space:  global
        .offset:         24
        .size:           8
        .value_kind:     global_buffer
      - .address_space:  global
        .offset:         32
        .size:           8
        .value_kind:     global_buffer
      - .address_space:  global
        .offset:         40
        .size:           8
        .value_kind:     global_buffer
      - .address_space:  global
        .offset:         48
        .size:           8
        .value_kind:     global_buffer
      - .address_space:  global
        .offset:         56
        .size:           8
        .value_kind:     global_buffer
      - .offset:         64
        .size:           4
        .value_kind:     by_value
      - .offset:         68
        .size:           4
        .value_kind:     by_value
      - .offset:         72
        .size:           4
        .value_kind:     by_value
      - .offset:         76
        .size:           4
        .value_kind:     by_value
      - .offset:         80
        .size:           4
        .value_kind:     by_value
      - .offset:         84
        .size:           4
        .value_kind:     by_value
      - .offset:         88
        .size:           4
        .value_kind:     by_value
      - .offset:         92
        .size:           12
        .value_kind:     by_value
      - .offset:         104
        .size:           4
        .value_kind:     by_value
      - .offset:         108
        .size:           4
        .value_kind:     by_value
      - .offset:         112
        .size:           4
        .value_kind:     by_value
      - .offset:         116
        .size:           4
        .value_kind:     by_value
      - .offset:         120
        .size:           4
        .value_kind:     by_value
      - .offset:         124
        .size:           4
        .value_kind:     by_value
      - .offset:         128
        .size:           4
        .value_kind:     by_value
      - .offset:         132
        .size:           4
        .value_kind:     by_value
      - .offset:         136
        .size:           4
        .value_kind:     by_value
      - .offset:         140
        .size:           4
        .value_kind:     by_value
      - .offset:         144
        .size:           4
        .value_kind:     by_value
      - .offset:         152
        .size:           8
        .value_kind:     by_value
      - .offset:         160
        .size:           4
        .value_kind:     by_value
      - .offset:         164
        .size:           4
        .value_kind:     by_value
      - .offset:         168
        .size:           8
        .value_kind:     by_value
      - .offset:         176
        .size:           4
        .value_kind:     by_value
      - .offset:         180
        .size:           4
        .value_kind:     by_value
      - .offset:         184
        .size:           4
        .value_kind:     by_value
      - .offset:         188
        .size:           4
        .value_kind:     by_value
      - .offset:         192
        .size:           4
        .value_kind:     by_value
      - .offset:         200
        .size:           8
        .value_kind:     by_value
      - .offset:         208
        .size:           4
        .value_kind:     hidden_block_count_x
      - .offset:         212
        .size:           4
        .value_kind:     hidden_block_count_y
      - .offset:         216
        .size:           4
        .value_kind:     hidden_block_count_z
      - .offset:         220
        .size:           2
        .value_kind:     hidden_group_size_x
      - .offset:         222
        .size:           2
        .value_kind:     hidden_group_size_y
      - .offset:         224
        .size:           2
        .value_kind:     hidden_group_size_z
      - .offset:         226
        .size:           2
        .value_kind:     hidden_remainder_x
      - .offset:         228
        .size:           2
        .value_kind:     hidden_remainder_y
      - .offset:         230
        .size:           2
        .value_kind:     hidden_remainder_z
      - .offset:         248
        .size:           8
        .value_kind:     hidden_global_offset_x
      - .offset:         256
        .size:           8
        .value_kind:     hidden_global_offset_y
      - .offset:         264
        .size:           8
        .value_kind:     hidden_global_offset_z
      - .offset:         272
        .size:           2
        .value_kind:     hidden_grid_dims
      - .offset:         288
        .size:           8
        .value_kind:     hidden_hostcall_buffer
    .group_segment_fixed_size: 0
    .kernarg_segment_align: 8
    .kernarg_segment_size: 464
    .language:       OpenCL C
    .language_version:
      - 2
      - 0
    .max_flat_workgroup_size: 128
    .name:           _ZL15flash_attn_tileILi64ELi64ELi16ELi1ELb1EEvPKcS1_S1_S1_S1_PKiPfP15HIP_vector_typeIfLj2EEffffjfiS5_IjLj3EEiiiiiiiiiiiliiliiiiil
    .private_segment_fixed_size: 16
    .sgpr_count:     36
    .sgpr_spill_count: 0
    .symbol:         _ZL15flash_attn_tileILi64ELi64ELi16ELi1ELb1EEvPKcS1_S1_S1_S1_PKiPfP15HIP_vector_typeIfLj2EEffffjfiS5_IjLj3EEiiiiiiiiiiiliiliiiiil.kd
    .uniform_work_group_size: 1
    .uses_dynamic_stack: false
    .vgpr_count:     50
    .vgpr_spill_count: 0
    .wavefront_size: 32
  - .args:
      - .address_space:  global
        .offset:         0
        .size:           8
        .value_kind:     global_buffer
      - .address_space:  global
        .offset:         8
        .size:           8
        .value_kind:     global_buffer
      - .address_space:  global
        .offset:         16
        .size:           8
        .value_kind:     global_buffer
      - .address_space:  global
        .offset:         24
        .size:           8
        .value_kind:     global_buffer
      - .address_space:  global
        .offset:         32
        .size:           8
        .value_kind:     global_buffer
      - .address_space:  global
        .offset:         40
        .size:           8
        .value_kind:     global_buffer
      - .address_space:  global
        .offset:         48
        .size:           8
        .value_kind:     global_buffer
      - .address_space:  global
        .offset:         56
        .size:           8
        .value_kind:     global_buffer
      - .offset:         64
        .size:           4
        .value_kind:     by_value
      - .offset:         68
        .size:           4
        .value_kind:     by_value
      - .offset:         72
        .size:           4
        .value_kind:     by_value
      - .offset:         76
        .size:           4
        .value_kind:     by_value
      - .offset:         80
        .size:           4
        .value_kind:     by_value
      - .offset:         84
        .size:           4
        .value_kind:     by_value
      - .offset:         88
        .size:           4
        .value_kind:     by_value
      - .offset:         92
        .size:           12
        .value_kind:     by_value
      - .offset:         104
        .size:           4
        .value_kind:     by_value
      - .offset:         108
        .size:           4
        .value_kind:     by_value
      - .offset:         112
        .size:           4
        .value_kind:     by_value
      - .offset:         116
        .size:           4
        .value_kind:     by_value
      - .offset:         120
        .size:           4
        .value_kind:     by_value
      - .offset:         124
        .size:           4
        .value_kind:     by_value
      - .offset:         128
        .size:           4
        .value_kind:     by_value
      - .offset:         132
        .size:           4
        .value_kind:     by_value
      - .offset:         136
        .size:           4
        .value_kind:     by_value
      - .offset:         140
        .size:           4
        .value_kind:     by_value
      - .offset:         144
        .size:           4
        .value_kind:     by_value
      - .offset:         152
        .size:           8
        .value_kind:     by_value
      - .offset:         160
        .size:           4
        .value_kind:     by_value
      - .offset:         164
        .size:           4
        .value_kind:     by_value
      - .offset:         168
        .size:           8
        .value_kind:     by_value
      - .offset:         176
        .size:           4
        .value_kind:     by_value
      - .offset:         180
        .size:           4
        .value_kind:     by_value
      - .offset:         184
        .size:           4
        .value_kind:     by_value
      - .offset:         188
        .size:           4
        .value_kind:     by_value
      - .offset:         192
        .size:           4
        .value_kind:     by_value
      - .offset:         200
        .size:           8
        .value_kind:     by_value
      - .offset:         208
        .size:           4
        .value_kind:     hidden_block_count_x
      - .offset:         212
        .size:           4
        .value_kind:     hidden_block_count_y
      - .offset:         216
        .size:           4
        .value_kind:     hidden_block_count_z
      - .offset:         220
        .size:           2
        .value_kind:     hidden_group_size_x
      - .offset:         222
        .size:           2
        .value_kind:     hidden_group_size_y
      - .offset:         224
        .size:           2
        .value_kind:     hidden_group_size_z
      - .offset:         226
        .size:           2
        .value_kind:     hidden_remainder_x
      - .offset:         228
        .size:           2
        .value_kind:     hidden_remainder_y
      - .offset:         230
        .size:           2
        .value_kind:     hidden_remainder_z
      - .offset:         248
        .size:           8
        .value_kind:     hidden_global_offset_x
      - .offset:         256
        .size:           8
        .value_kind:     hidden_global_offset_y
      - .offset:         264
        .size:           8
        .value_kind:     hidden_global_offset_z
      - .offset:         272
        .size:           2
        .value_kind:     hidden_grid_dims
      - .offset:         288
        .size:           8
        .value_kind:     hidden_hostcall_buffer
    .group_segment_fixed_size: 0
    .kernarg_segment_align: 8
    .kernarg_segment_size: 464
    .language:       OpenCL C
    .language_version:
      - 2
      - 0
    .max_flat_workgroup_size: 128
    .name:           _ZL15flash_attn_tileILi64ELi64ELi8ELi1ELb1EEvPKcS1_S1_S1_S1_PKiPfP15HIP_vector_typeIfLj2EEffffjfiS5_IjLj3EEiiiiiiiiiiiliiliiiiil
    .private_segment_fixed_size: 16
    .sgpr_count:     36
    .sgpr_spill_count: 0
    .symbol:         _ZL15flash_attn_tileILi64ELi64ELi8ELi1ELb1EEvPKcS1_S1_S1_S1_PKiPfP15HIP_vector_typeIfLj2EEffffjfiS5_IjLj3EEiiiiiiiiiiiliiliiiiil.kd
    .uniform_work_group_size: 1
    .uses_dynamic_stack: false
    .vgpr_count:     50
    .vgpr_spill_count: 0
    .wavefront_size: 32
  - .args:
      - .address_space:  global
        .offset:         0
        .size:           8
        .value_kind:     global_buffer
      - .address_space:  global
        .offset:         8
        .size:           8
        .value_kind:     global_buffer
      - .address_space:  global
        .offset:         16
        .size:           8
        .value_kind:     global_buffer
      - .address_space:  global
        .offset:         24
        .size:           8
        .value_kind:     global_buffer
      - .address_space:  global
        .offset:         32
        .size:           8
        .value_kind:     global_buffer
      - .address_space:  global
        .offset:         40
        .size:           8
        .value_kind:     global_buffer
      - .address_space:  global
        .offset:         48
        .size:           8
        .value_kind:     global_buffer
      - .address_space:  global
        .offset:         56
        .size:           8
        .value_kind:     global_buffer
      - .offset:         64
        .size:           4
        .value_kind:     by_value
      - .offset:         68
        .size:           4
        .value_kind:     by_value
      - .offset:         72
        .size:           4
        .value_kind:     by_value
      - .offset:         76
        .size:           4
        .value_kind:     by_value
      - .offset:         80
        .size:           4
        .value_kind:     by_value
      - .offset:         84
        .size:           4
        .value_kind:     by_value
      - .offset:         88
        .size:           4
        .value_kind:     by_value
      - .offset:         92
        .size:           12
        .value_kind:     by_value
      - .offset:         104
        .size:           4
        .value_kind:     by_value
      - .offset:         108
        .size:           4
        .value_kind:     by_value
      - .offset:         112
        .size:           4
        .value_kind:     by_value
      - .offset:         116
        .size:           4
        .value_kind:     by_value
      - .offset:         120
        .size:           4
        .value_kind:     by_value
      - .offset:         124
        .size:           4
        .value_kind:     by_value
      - .offset:         128
        .size:           4
        .value_kind:     by_value
      - .offset:         132
        .size:           4
        .value_kind:     by_value
      - .offset:         136
        .size:           4
        .value_kind:     by_value
      - .offset:         140
        .size:           4
        .value_kind:     by_value
      - .offset:         144
        .size:           4
        .value_kind:     by_value
      - .offset:         152
        .size:           8
        .value_kind:     by_value
      - .offset:         160
        .size:           4
        .value_kind:     by_value
      - .offset:         164
        .size:           4
        .value_kind:     by_value
      - .offset:         168
        .size:           8
        .value_kind:     by_value
      - .offset:         176
        .size:           4
        .value_kind:     by_value
      - .offset:         180
        .size:           4
        .value_kind:     by_value
      - .offset:         184
        .size:           4
        .value_kind:     by_value
      - .offset:         188
        .size:           4
        .value_kind:     by_value
      - .offset:         192
        .size:           4
        .value_kind:     by_value
      - .offset:         200
        .size:           8
        .value_kind:     by_value
      - .offset:         208
        .size:           4
        .value_kind:     hidden_block_count_x
      - .offset:         212
        .size:           4
        .value_kind:     hidden_block_count_y
      - .offset:         216
        .size:           4
        .value_kind:     hidden_block_count_z
      - .offset:         220
        .size:           2
        .value_kind:     hidden_group_size_x
      - .offset:         222
        .size:           2
        .value_kind:     hidden_group_size_y
      - .offset:         224
        .size:           2
        .value_kind:     hidden_group_size_z
      - .offset:         226
        .size:           2
        .value_kind:     hidden_remainder_x
      - .offset:         228
        .size:           2
        .value_kind:     hidden_remainder_y
      - .offset:         230
        .size:           2
        .value_kind:     hidden_remainder_z
      - .offset:         248
        .size:           8
        .value_kind:     hidden_global_offset_x
      - .offset:         256
        .size:           8
        .value_kind:     hidden_global_offset_y
      - .offset:         264
        .size:           8
        .value_kind:     hidden_global_offset_z
      - .offset:         272
        .size:           2
        .value_kind:     hidden_grid_dims
      - .offset:         288
        .size:           8
        .value_kind:     hidden_hostcall_buffer
    .group_segment_fixed_size: 0
    .kernarg_segment_align: 8
    .kernarg_segment_size: 464
    .language:       OpenCL C
    .language_version:
      - 2
      - 0
    .max_flat_workgroup_size: 64
    .name:           _ZL15flash_attn_tileILi64ELi64ELi4ELi1ELb1EEvPKcS1_S1_S1_S1_PKiPfP15HIP_vector_typeIfLj2EEffffjfiS5_IjLj3EEiiiiiiiiiiiliiliiiiil
    .private_segment_fixed_size: 16
    .sgpr_count:     36
    .sgpr_spill_count: 0
    .symbol:         _ZL15flash_attn_tileILi64ELi64ELi4ELi1ELb1EEvPKcS1_S1_S1_S1_PKiPfP15HIP_vector_typeIfLj2EEffffjfiS5_IjLj3EEiiiiiiiiiiiliiliiiiil.kd
    .uniform_work_group_size: 1
    .uses_dynamic_stack: false
    .vgpr_count:     50
    .vgpr_spill_count: 0
    .wavefront_size: 32
  - .args:
      - .address_space:  global
        .offset:         0
        .size:           8
        .value_kind:     global_buffer
      - .address_space:  global
        .offset:         8
        .size:           8
        .value_kind:     global_buffer
      - .address_space:  global
        .offset:         16
        .size:           8
        .value_kind:     global_buffer
      - .address_space:  global
        .offset:         24
        .size:           8
        .value_kind:     global_buffer
      - .address_space:  global
        .offset:         32
        .size:           8
        .value_kind:     global_buffer
      - .address_space:  global
        .offset:         40
        .size:           8
        .value_kind:     global_buffer
      - .address_space:  global
        .offset:         48
        .size:           8
        .value_kind:     global_buffer
      - .address_space:  global
        .offset:         56
        .size:           8
        .value_kind:     global_buffer
      - .offset:         64
        .size:           4
        .value_kind:     by_value
      - .offset:         68
        .size:           4
        .value_kind:     by_value
      - .offset:         72
        .size:           4
        .value_kind:     by_value
      - .offset:         76
        .size:           4
        .value_kind:     by_value
      - .offset:         80
        .size:           4
        .value_kind:     by_value
      - .offset:         84
        .size:           4
        .value_kind:     by_value
      - .offset:         88
        .size:           4
        .value_kind:     by_value
      - .offset:         92
        .size:           12
        .value_kind:     by_value
      - .offset:         104
        .size:           4
        .value_kind:     by_value
      - .offset:         108
        .size:           4
        .value_kind:     by_value
      - .offset:         112
        .size:           4
        .value_kind:     by_value
      - .offset:         116
        .size:           4
        .value_kind:     by_value
      - .offset:         120
        .size:           4
        .value_kind:     by_value
      - .offset:         124
        .size:           4
        .value_kind:     by_value
      - .offset:         128
        .size:           4
        .value_kind:     by_value
      - .offset:         132
        .size:           4
        .value_kind:     by_value
      - .offset:         136
        .size:           4
        .value_kind:     by_value
      - .offset:         140
        .size:           4
        .value_kind:     by_value
      - .offset:         144
        .size:           4
        .value_kind:     by_value
      - .offset:         152
        .size:           8
        .value_kind:     by_value
      - .offset:         160
        .size:           4
        .value_kind:     by_value
      - .offset:         164
        .size:           4
        .value_kind:     by_value
      - .offset:         168
        .size:           8
        .value_kind:     by_value
      - .offset:         176
        .size:           4
        .value_kind:     by_value
      - .offset:         180
        .size:           4
        .value_kind:     by_value
      - .offset:         184
        .size:           4
        .value_kind:     by_value
      - .offset:         188
        .size:           4
        .value_kind:     by_value
      - .offset:         192
        .size:           4
        .value_kind:     by_value
      - .offset:         200
        .size:           8
        .value_kind:     by_value
      - .offset:         208
        .size:           4
        .value_kind:     hidden_block_count_x
      - .offset:         212
        .size:           4
        .value_kind:     hidden_block_count_y
      - .offset:         216
        .size:           4
        .value_kind:     hidden_block_count_z
      - .offset:         220
        .size:           2
        .value_kind:     hidden_group_size_x
      - .offset:         222
        .size:           2
        .value_kind:     hidden_group_size_y
      - .offset:         224
        .size:           2
        .value_kind:     hidden_group_size_z
      - .offset:         226
        .size:           2
        .value_kind:     hidden_remainder_x
      - .offset:         228
        .size:           2
        .value_kind:     hidden_remainder_y
      - .offset:         230
        .size:           2
        .value_kind:     hidden_remainder_z
      - .offset:         248
        .size:           8
        .value_kind:     hidden_global_offset_x
      - .offset:         256
        .size:           8
        .value_kind:     hidden_global_offset_y
      - .offset:         264
        .size:           8
        .value_kind:     hidden_global_offset_z
      - .offset:         272
        .size:           2
        .value_kind:     hidden_grid_dims
      - .offset:         288
        .size:           8
        .value_kind:     hidden_hostcall_buffer
    .group_segment_fixed_size: 0
    .kernarg_segment_align: 8
    .kernarg_segment_size: 464
    .language:       OpenCL C
    .language_version:
      - 2
      - 0
    .max_flat_workgroup_size: 64
    .name:           _ZL15flash_attn_tileILi64ELi64ELi2ELi1ELb1EEvPKcS1_S1_S1_S1_PKiPfP15HIP_vector_typeIfLj2EEffffjfiS5_IjLj3EEiiiiiiiiiiiliiliiiiil
    .private_segment_fixed_size: 16
    .sgpr_count:     36
    .sgpr_spill_count: 0
    .symbol:         _ZL15flash_attn_tileILi64ELi64ELi2ELi1ELb1EEvPKcS1_S1_S1_S1_PKiPfP15HIP_vector_typeIfLj2EEffffjfiS5_IjLj3EEiiiiiiiiiiiliiliiiiil.kd
    .uniform_work_group_size: 1
    .uses_dynamic_stack: false
    .vgpr_count:     50
    .vgpr_spill_count: 0
    .wavefront_size: 32
amdhsa.target:   amdgcn-amd-amdhsa--gfx1250
amdhsa.version:
  - 1
  - 2
...

	.end_amdgpu_metadata
